;; amdgpu-corpus repo=ROCm/rocSPARSE kind=compiled arch=gfx1250 opt=O3
	.amdgcn_target "amdgcn-amd-amdhsa--gfx1250"
	.amdhsa_code_object_version 6
	.section	.text._ZN9rocsparseL19gebsrmvn_2xn_kernelILj128ELj1ELj4EfEEvi20rocsparse_direction_NS_24const_host_device_scalarIT2_EEPKiS6_PKS3_S8_S4_PS3_21rocsparse_index_base_b,"axG",@progbits,_ZN9rocsparseL19gebsrmvn_2xn_kernelILj128ELj1ELj4EfEEvi20rocsparse_direction_NS_24const_host_device_scalarIT2_EEPKiS6_PKS3_S8_S4_PS3_21rocsparse_index_base_b,comdat
	.globl	_ZN9rocsparseL19gebsrmvn_2xn_kernelILj128ELj1ELj4EfEEvi20rocsparse_direction_NS_24const_host_device_scalarIT2_EEPKiS6_PKS3_S8_S4_PS3_21rocsparse_index_base_b ; -- Begin function _ZN9rocsparseL19gebsrmvn_2xn_kernelILj128ELj1ELj4EfEEvi20rocsparse_direction_NS_24const_host_device_scalarIT2_EEPKiS6_PKS3_S8_S4_PS3_21rocsparse_index_base_b
	.p2align	8
	.type	_ZN9rocsparseL19gebsrmvn_2xn_kernelILj128ELj1ELj4EfEEvi20rocsparse_direction_NS_24const_host_device_scalarIT2_EEPKiS6_PKS3_S8_S4_PS3_21rocsparse_index_base_b,@function
_ZN9rocsparseL19gebsrmvn_2xn_kernelILj128ELj1ELj4EfEEvi20rocsparse_direction_NS_24const_host_device_scalarIT2_EEPKiS6_PKS3_S8_S4_PS3_21rocsparse_index_base_b: ; @_ZN9rocsparseL19gebsrmvn_2xn_kernelILj128ELj1ELj4EfEEvi20rocsparse_direction_NS_24const_host_device_scalarIT2_EEPKiS6_PKS3_S8_S4_PS3_21rocsparse_index_base_b
; %bb.0:
	s_clause 0x2
	s_load_b64 s[16:17], s[0:1], 0x40
	s_load_b64 s[14:15], s[0:1], 0x8
	;; [unrolled: 1-line block ×3, first 2 shown]
	s_wait_kmcnt 0x0
	s_bitcmp1_b32 s17, 0
	s_cselect_b32 s2, -1, 0
	s_delay_alu instid0(SALU_CYCLE_1)
	s_and_b32 vcc_lo, exec_lo, s2
	s_xor_b32 s2, s2, -1
	s_cbranch_vccnz .LBB0_2
; %bb.1:
	s_load_b32 s14, s[14:15], 0x0
.LBB0_2:
	s_and_not1_b32 vcc_lo, exec_lo, s2
	s_cbranch_vccnz .LBB0_4
; %bb.3:
	s_load_b32 s12, s[12:13], 0x0
.LBB0_4:
	s_wait_kmcnt 0x0
	s_cmp_eq_f32 s14, 0
	s_cselect_b32 s2, -1, 0
	s_cmp_eq_f32 s12, 1.0
	s_cselect_b32 s3, -1, 0
	s_delay_alu instid0(SALU_CYCLE_1) | instskip(NEXT) | instid1(SALU_CYCLE_1)
	s_and_b32 s2, s2, s3
	s_and_b32 vcc_lo, exec_lo, s2
	s_cbranch_vccnz .LBB0_23
; %bb.5:
	s_load_b64 s[2:3], s[0:1], 0x0
	s_bfe_u32 s4, ttmp6, 0x4000c
	s_and_b32 s5, ttmp6, 15
	s_add_co_i32 s4, s4, 1
	s_getreg_b32 s6, hwreg(HW_REG_IB_STS2, 6, 4)
	s_mul_i32 s4, ttmp9, s4
	v_lshrrev_b32_e32 v1, 2, v0
	s_add_co_i32 s5, s5, s4
	s_cmp_eq_u32 s6, 0
	s_cselect_b32 s4, ttmp9, s5
	s_delay_alu instid0(VALU_DEP_1) | instid1(SALU_CYCLE_1)
	v_lshl_or_b32 v2, s4, 5, v1
	s_wait_kmcnt 0x0
	s_delay_alu instid0(VALU_DEP_1)
	v_cmp_gt_i32_e32 vcc_lo, s2, v2
	s_and_saveexec_b32 s2, vcc_lo
	s_cbranch_execz .LBB0_23
; %bb.6:
	s_load_b256 s[4:11], s[0:1], 0x10
	v_ashrrev_i32_e32 v3, 31, v2
	s_cmp_lg_u32 s3, 0
	s_wait_kmcnt 0x0
	s_delay_alu instid0(VALU_DEP_1)
	v_lshl_add_u64 v[4:5], v[2:3], 2, s[4:5]
	v_and_b32_e32 v3, 3, v0
	global_load_b64 v[4:5], v[4:5], off
	s_wait_loadcnt 0x0
	v_subrev_nc_u32_e32 v0, s16, v4
	v_subrev_nc_u32_e32 v6, s16, v5
	s_delay_alu instid0(VALU_DEP_2) | instskip(NEXT) | instid1(VALU_DEP_1)
	v_add_nc_u32_e32 v7, v0, v3
	v_cmp_lt_i32_e64 s2, v7, v6
	s_cbranch_scc0 .LBB0_12
; %bb.7:
	v_mov_b32_e32 v1, 0
	s_delay_alu instid0(VALU_DEP_1)
	v_mov_b32_e32 v0, v1
	s_and_saveexec_b32 s3, s2
	s_cbranch_execz .LBB0_11
; %bb.8:
	v_dual_mov_b32 v5, 0 :: v_dual_lshlrev_b32 v4, 1, v7
	v_mov_b32_e32 v8, v7
	s_mov_b32 s4, 0
	s_delay_alu instid0(VALU_DEP_2)
	v_dual_mov_b32 v0, v5 :: v_dual_mov_b32 v1, v5
.LBB0_9:                                ; =>This Inner Loop Header: Depth=1
	global_load_b32 v9, v8, s[6:7] scale_offset
	v_lshl_add_u64 v[10:11], v[4:5], 2, s[8:9]
	s_wait_xcnt 0x0
	v_add_nc_u32_e32 v8, 4, v8
	v_add_nc_u32_e32 v4, 8, v4
	s_delay_alu instid0(VALU_DEP_2)
	v_cmp_ge_i32_e32 vcc_lo, v8, v6
	s_or_b32 s4, vcc_lo, s4
	s_wait_loadcnt 0x0
	v_subrev_nc_u32_e32 v9, s16, v9
	global_load_b64 v[12:13], v[10:11], off
	global_load_b32 v14, v9, s[10:11] scale_offset
	s_wait_loadcnt 0x0
	v_pk_fma_f32 v[0:1], v[12:13], v[14:15], v[0:1] op_sel_hi:[1,0,1]
	s_and_not1_b32 exec_lo, exec_lo, s4
	s_cbranch_execnz .LBB0_9
; %bb.10:
	s_or_b32 exec_lo, exec_lo, s4
.LBB0_11:
	s_delay_alu instid0(SALU_CYCLE_1)
	s_or_b32 exec_lo, exec_lo, s3
	s_cbranch_execz .LBB0_13
	s_branch .LBB0_18
.LBB0_12:
                                        ; implicit-def: $vgpr1
.LBB0_13:
	v_mov_b32_e32 v1, 0
	s_delay_alu instid0(VALU_DEP_1)
	v_mov_b32_e32 v0, v1
	s_and_saveexec_b32 s3, s2
	s_cbranch_execz .LBB0_17
; %bb.14:
	v_dual_mov_b32 v5, 0 :: v_dual_lshlrev_b32 v4, 1, v7
	s_mov_b32 s2, 0
	s_delay_alu instid0(VALU_DEP_1)
	v_dual_mov_b32 v0, v5 :: v_dual_mov_b32 v1, v5
.LBB0_15:                               ; =>This Inner Loop Header: Depth=1
	global_load_b32 v10, v7, s[6:7] scale_offset
	v_lshl_add_u64 v[8:9], v[4:5], 2, s[8:9]
	s_wait_xcnt 0x0
	v_dual_add_nc_u32 v7, 4, v7 :: v_dual_add_nc_u32 v4, 8, v4
	s_delay_alu instid0(VALU_DEP_1)
	v_cmp_ge_i32_e32 vcc_lo, v7, v6
	s_or_b32 s2, vcc_lo, s2
	s_wait_loadcnt 0x0
	v_subrev_nc_u32_e32 v13, s16, v10
	global_load_b64 v[10:11], v[8:9], off
	global_load_b32 v12, v13, s[10:11] scale_offset
	s_wait_loadcnt 0x0
	v_pk_fma_f32 v[0:1], v[10:11], v[12:13], v[0:1] op_sel_hi:[1,0,1]
	s_and_not1_b32 exec_lo, exec_lo, s2
	s_cbranch_execnz .LBB0_15
; %bb.16:
	s_or_b32 exec_lo, exec_lo, s2
.LBB0_17:
	s_delay_alu instid0(SALU_CYCLE_1)
	s_or_b32 exec_lo, exec_lo, s3
.LBB0_18:
	v_mbcnt_lo_u32_b32 v6, -1, 0
	s_mov_b32 s2, -1
	s_delay_alu instid0(VALU_DEP_1) | instskip(SKIP_1) | instid1(VALU_DEP_1)
	v_xor_b32_e32 v7, 1, v6
	v_xor_b32_e32 v4, 2, v6
	v_cmp_gt_i32_e32 vcc_lo, 32, v4
	v_cndmask_b32_e32 v4, v6, v4, vcc_lo
	s_delay_alu instid0(VALU_DEP_4) | instskip(SKIP_2) | instid1(VALU_DEP_2)
	v_cmp_gt_i32_e32 vcc_lo, 32, v7
	v_cndmask_b32_e32 v6, v6, v7, vcc_lo
	v_cmp_eq_u32_e32 vcc_lo, 3, v3
	v_dual_lshlrev_b32 v6, 2, v6 :: v_dual_lshlrev_b32 v5, 2, v4
	ds_bpermute_b32 v4, v5, v0
	ds_bpermute_b32 v5, v5, v1
	s_wait_dscnt 0x0
	v_pk_add_f32 v[0:1], v[0:1], v[4:5]
	ds_bpermute_b32 v4, v6, v0
	ds_bpermute_b32 v5, v6, v1
	s_and_b32 exec_lo, exec_lo, vcc_lo
	s_cbranch_execz .LBB0_23
; %bb.19:
	s_load_b64 s[0:1], s[0:1], 0x38
	s_wait_dscnt 0x0
	v_pk_add_f32 v[0:1], v[0:1], v[4:5]
	v_lshlrev_b32_e32 v2, 1, v2
	s_cmp_eq_f32 s12, 0
	s_cbranch_scc0 .LBB0_21
; %bb.20:
	s_delay_alu instid0(VALU_DEP_1) | instskip(SKIP_3) | instid1(VALU_DEP_2)
	v_ashrrev_i32_e32 v3, 31, v2
	v_pk_mul_f32 v[6:7], s[14:15], v[0:1] op_sel_hi:[0,1]
	s_mov_b32 s2, 0
	s_wait_kmcnt 0x0
	v_lshl_add_u64 v[4:5], v[2:3], 2, s[0:1]
	global_store_b64 v[4:5], v[6:7], off
.LBB0_21:
	s_and_not1_b32 vcc_lo, exec_lo, s2
	s_cbranch_vccnz .LBB0_23
; %bb.22:
	v_ashrrev_i32_e32 v3, 31, v2
	v_pk_mul_f32 v[0:1], s[14:15], v[0:1] op_sel_hi:[0,1]
	s_wait_kmcnt 0x0
	s_delay_alu instid0(VALU_DEP_2)
	v_lshl_add_u64 v[2:3], v[2:3], 2, s[0:1]
	global_load_b64 v[4:5], v[2:3], off
	s_wait_loadcnt 0x0
	v_pk_fma_f32 v[0:1], s[12:13], v[4:5], v[0:1] op_sel_hi:[0,1,1]
	global_store_b64 v[2:3], v[0:1], off
.LBB0_23:
	s_endpgm
	.section	.rodata,"a",@progbits
	.p2align	6, 0x0
	.amdhsa_kernel _ZN9rocsparseL19gebsrmvn_2xn_kernelILj128ELj1ELj4EfEEvi20rocsparse_direction_NS_24const_host_device_scalarIT2_EEPKiS6_PKS3_S8_S4_PS3_21rocsparse_index_base_b
		.amdhsa_group_segment_fixed_size 0
		.amdhsa_private_segment_fixed_size 0
		.amdhsa_kernarg_size 72
		.amdhsa_user_sgpr_count 2
		.amdhsa_user_sgpr_dispatch_ptr 0
		.amdhsa_user_sgpr_queue_ptr 0
		.amdhsa_user_sgpr_kernarg_segment_ptr 1
		.amdhsa_user_sgpr_dispatch_id 0
		.amdhsa_user_sgpr_kernarg_preload_length 0
		.amdhsa_user_sgpr_kernarg_preload_offset 0
		.amdhsa_user_sgpr_private_segment_size 0
		.amdhsa_wavefront_size32 1
		.amdhsa_uses_dynamic_stack 0
		.amdhsa_enable_private_segment 0
		.amdhsa_system_sgpr_workgroup_id_x 1
		.amdhsa_system_sgpr_workgroup_id_y 0
		.amdhsa_system_sgpr_workgroup_id_z 0
		.amdhsa_system_sgpr_workgroup_info 0
		.amdhsa_system_vgpr_workitem_id 0
		.amdhsa_next_free_vgpr 16
		.amdhsa_next_free_sgpr 18
		.amdhsa_named_barrier_count 0
		.amdhsa_reserve_vcc 1
		.amdhsa_float_round_mode_32 0
		.amdhsa_float_round_mode_16_64 0
		.amdhsa_float_denorm_mode_32 3
		.amdhsa_float_denorm_mode_16_64 3
		.amdhsa_fp16_overflow 0
		.amdhsa_memory_ordered 1
		.amdhsa_forward_progress 1
		.amdhsa_inst_pref_size 7
		.amdhsa_round_robin_scheduling 0
		.amdhsa_exception_fp_ieee_invalid_op 0
		.amdhsa_exception_fp_denorm_src 0
		.amdhsa_exception_fp_ieee_div_zero 0
		.amdhsa_exception_fp_ieee_overflow 0
		.amdhsa_exception_fp_ieee_underflow 0
		.amdhsa_exception_fp_ieee_inexact 0
		.amdhsa_exception_int_div_zero 0
	.end_amdhsa_kernel
	.section	.text._ZN9rocsparseL19gebsrmvn_2xn_kernelILj128ELj1ELj4EfEEvi20rocsparse_direction_NS_24const_host_device_scalarIT2_EEPKiS6_PKS3_S8_S4_PS3_21rocsparse_index_base_b,"axG",@progbits,_ZN9rocsparseL19gebsrmvn_2xn_kernelILj128ELj1ELj4EfEEvi20rocsparse_direction_NS_24const_host_device_scalarIT2_EEPKiS6_PKS3_S8_S4_PS3_21rocsparse_index_base_b,comdat
.Lfunc_end0:
	.size	_ZN9rocsparseL19gebsrmvn_2xn_kernelILj128ELj1ELj4EfEEvi20rocsparse_direction_NS_24const_host_device_scalarIT2_EEPKiS6_PKS3_S8_S4_PS3_21rocsparse_index_base_b, .Lfunc_end0-_ZN9rocsparseL19gebsrmvn_2xn_kernelILj128ELj1ELj4EfEEvi20rocsparse_direction_NS_24const_host_device_scalarIT2_EEPKiS6_PKS3_S8_S4_PS3_21rocsparse_index_base_b
                                        ; -- End function
	.set _ZN9rocsparseL19gebsrmvn_2xn_kernelILj128ELj1ELj4EfEEvi20rocsparse_direction_NS_24const_host_device_scalarIT2_EEPKiS6_PKS3_S8_S4_PS3_21rocsparse_index_base_b.num_vgpr, 16
	.set _ZN9rocsparseL19gebsrmvn_2xn_kernelILj128ELj1ELj4EfEEvi20rocsparse_direction_NS_24const_host_device_scalarIT2_EEPKiS6_PKS3_S8_S4_PS3_21rocsparse_index_base_b.num_agpr, 0
	.set _ZN9rocsparseL19gebsrmvn_2xn_kernelILj128ELj1ELj4EfEEvi20rocsparse_direction_NS_24const_host_device_scalarIT2_EEPKiS6_PKS3_S8_S4_PS3_21rocsparse_index_base_b.numbered_sgpr, 18
	.set _ZN9rocsparseL19gebsrmvn_2xn_kernelILj128ELj1ELj4EfEEvi20rocsparse_direction_NS_24const_host_device_scalarIT2_EEPKiS6_PKS3_S8_S4_PS3_21rocsparse_index_base_b.num_named_barrier, 0
	.set _ZN9rocsparseL19gebsrmvn_2xn_kernelILj128ELj1ELj4EfEEvi20rocsparse_direction_NS_24const_host_device_scalarIT2_EEPKiS6_PKS3_S8_S4_PS3_21rocsparse_index_base_b.private_seg_size, 0
	.set _ZN9rocsparseL19gebsrmvn_2xn_kernelILj128ELj1ELj4EfEEvi20rocsparse_direction_NS_24const_host_device_scalarIT2_EEPKiS6_PKS3_S8_S4_PS3_21rocsparse_index_base_b.uses_vcc, 1
	.set _ZN9rocsparseL19gebsrmvn_2xn_kernelILj128ELj1ELj4EfEEvi20rocsparse_direction_NS_24const_host_device_scalarIT2_EEPKiS6_PKS3_S8_S4_PS3_21rocsparse_index_base_b.uses_flat_scratch, 0
	.set _ZN9rocsparseL19gebsrmvn_2xn_kernelILj128ELj1ELj4EfEEvi20rocsparse_direction_NS_24const_host_device_scalarIT2_EEPKiS6_PKS3_S8_S4_PS3_21rocsparse_index_base_b.has_dyn_sized_stack, 0
	.set _ZN9rocsparseL19gebsrmvn_2xn_kernelILj128ELj1ELj4EfEEvi20rocsparse_direction_NS_24const_host_device_scalarIT2_EEPKiS6_PKS3_S8_S4_PS3_21rocsparse_index_base_b.has_recursion, 0
	.set _ZN9rocsparseL19gebsrmvn_2xn_kernelILj128ELj1ELj4EfEEvi20rocsparse_direction_NS_24const_host_device_scalarIT2_EEPKiS6_PKS3_S8_S4_PS3_21rocsparse_index_base_b.has_indirect_call, 0
	.section	.AMDGPU.csdata,"",@progbits
; Kernel info:
; codeLenInByte = 860
; TotalNumSgprs: 20
; NumVgprs: 16
; ScratchSize: 0
; MemoryBound: 0
; FloatMode: 240
; IeeeMode: 1
; LDSByteSize: 0 bytes/workgroup (compile time only)
; SGPRBlocks: 0
; VGPRBlocks: 0
; NumSGPRsForWavesPerEU: 20
; NumVGPRsForWavesPerEU: 16
; NamedBarCnt: 0
; Occupancy: 16
; WaveLimiterHint : 1
; COMPUTE_PGM_RSRC2:SCRATCH_EN: 0
; COMPUTE_PGM_RSRC2:USER_SGPR: 2
; COMPUTE_PGM_RSRC2:TRAP_HANDLER: 0
; COMPUTE_PGM_RSRC2:TGID_X_EN: 1
; COMPUTE_PGM_RSRC2:TGID_Y_EN: 0
; COMPUTE_PGM_RSRC2:TGID_Z_EN: 0
; COMPUTE_PGM_RSRC2:TIDIG_COMP_CNT: 0
	.section	.text._ZN9rocsparseL19gebsrmvn_2xn_kernelILj128ELj1ELj8EfEEvi20rocsparse_direction_NS_24const_host_device_scalarIT2_EEPKiS6_PKS3_S8_S4_PS3_21rocsparse_index_base_b,"axG",@progbits,_ZN9rocsparseL19gebsrmvn_2xn_kernelILj128ELj1ELj8EfEEvi20rocsparse_direction_NS_24const_host_device_scalarIT2_EEPKiS6_PKS3_S8_S4_PS3_21rocsparse_index_base_b,comdat
	.globl	_ZN9rocsparseL19gebsrmvn_2xn_kernelILj128ELj1ELj8EfEEvi20rocsparse_direction_NS_24const_host_device_scalarIT2_EEPKiS6_PKS3_S8_S4_PS3_21rocsparse_index_base_b ; -- Begin function _ZN9rocsparseL19gebsrmvn_2xn_kernelILj128ELj1ELj8EfEEvi20rocsparse_direction_NS_24const_host_device_scalarIT2_EEPKiS6_PKS3_S8_S4_PS3_21rocsparse_index_base_b
	.p2align	8
	.type	_ZN9rocsparseL19gebsrmvn_2xn_kernelILj128ELj1ELj8EfEEvi20rocsparse_direction_NS_24const_host_device_scalarIT2_EEPKiS6_PKS3_S8_S4_PS3_21rocsparse_index_base_b,@function
_ZN9rocsparseL19gebsrmvn_2xn_kernelILj128ELj1ELj8EfEEvi20rocsparse_direction_NS_24const_host_device_scalarIT2_EEPKiS6_PKS3_S8_S4_PS3_21rocsparse_index_base_b: ; @_ZN9rocsparseL19gebsrmvn_2xn_kernelILj128ELj1ELj8EfEEvi20rocsparse_direction_NS_24const_host_device_scalarIT2_EEPKiS6_PKS3_S8_S4_PS3_21rocsparse_index_base_b
; %bb.0:
	s_clause 0x2
	s_load_b64 s[16:17], s[0:1], 0x40
	s_load_b64 s[14:15], s[0:1], 0x8
	;; [unrolled: 1-line block ×3, first 2 shown]
	s_wait_kmcnt 0x0
	s_bitcmp1_b32 s17, 0
	s_cselect_b32 s2, -1, 0
	s_delay_alu instid0(SALU_CYCLE_1)
	s_and_b32 vcc_lo, exec_lo, s2
	s_xor_b32 s2, s2, -1
	s_cbranch_vccnz .LBB1_2
; %bb.1:
	s_load_b32 s14, s[14:15], 0x0
.LBB1_2:
	s_and_not1_b32 vcc_lo, exec_lo, s2
	s_cbranch_vccnz .LBB1_4
; %bb.3:
	s_load_b32 s12, s[12:13], 0x0
.LBB1_4:
	s_wait_kmcnt 0x0
	s_cmp_eq_f32 s14, 0
	s_cselect_b32 s2, -1, 0
	s_cmp_eq_f32 s12, 1.0
	s_cselect_b32 s3, -1, 0
	s_delay_alu instid0(SALU_CYCLE_1) | instskip(NEXT) | instid1(SALU_CYCLE_1)
	s_and_b32 s2, s2, s3
	s_and_b32 vcc_lo, exec_lo, s2
	s_cbranch_vccnz .LBB1_23
; %bb.5:
	s_load_b64 s[2:3], s[0:1], 0x0
	s_bfe_u32 s4, ttmp6, 0x4000c
	s_and_b32 s5, ttmp6, 15
	s_add_co_i32 s4, s4, 1
	s_getreg_b32 s6, hwreg(HW_REG_IB_STS2, 6, 4)
	s_mul_i32 s4, ttmp9, s4
	v_lshrrev_b32_e32 v1, 3, v0
	s_add_co_i32 s5, s5, s4
	s_cmp_eq_u32 s6, 0
	s_cselect_b32 s4, ttmp9, s5
	s_delay_alu instid0(VALU_DEP_1) | instid1(SALU_CYCLE_1)
	v_lshl_or_b32 v2, s4, 4, v1
	s_wait_kmcnt 0x0
	s_delay_alu instid0(VALU_DEP_1)
	v_cmp_gt_i32_e32 vcc_lo, s2, v2
	s_and_saveexec_b32 s2, vcc_lo
	s_cbranch_execz .LBB1_23
; %bb.6:
	s_load_b256 s[4:11], s[0:1], 0x10
	v_ashrrev_i32_e32 v3, 31, v2
	s_cmp_lg_u32 s3, 0
	s_wait_kmcnt 0x0
	s_delay_alu instid0(VALU_DEP_1)
	v_lshl_add_u64 v[4:5], v[2:3], 2, s[4:5]
	v_and_b32_e32 v3, 7, v0
	global_load_b64 v[4:5], v[4:5], off
	s_wait_loadcnt 0x0
	v_subrev_nc_u32_e32 v0, s16, v4
	v_subrev_nc_u32_e32 v6, s16, v5
	s_delay_alu instid0(VALU_DEP_2) | instskip(NEXT) | instid1(VALU_DEP_1)
	v_add_nc_u32_e32 v7, v0, v3
	v_cmp_lt_i32_e64 s2, v7, v6
	s_cbranch_scc0 .LBB1_12
; %bb.7:
	v_mov_b32_e32 v1, 0
	s_delay_alu instid0(VALU_DEP_1)
	v_mov_b32_e32 v0, v1
	s_and_saveexec_b32 s3, s2
	s_cbranch_execz .LBB1_11
; %bb.8:
	v_dual_mov_b32 v5, 0 :: v_dual_lshlrev_b32 v4, 1, v7
	v_mov_b32_e32 v8, v7
	s_mov_b32 s4, 0
	s_delay_alu instid0(VALU_DEP_2)
	v_dual_mov_b32 v0, v5 :: v_dual_mov_b32 v1, v5
.LBB1_9:                                ; =>This Inner Loop Header: Depth=1
	global_load_b32 v9, v8, s[6:7] scale_offset
	v_lshl_add_u64 v[10:11], v[4:5], 2, s[8:9]
	s_wait_xcnt 0x0
	v_add_nc_u32_e32 v8, 8, v8
	v_add_nc_u32_e32 v4, 16, v4
	s_delay_alu instid0(VALU_DEP_2)
	v_cmp_ge_i32_e32 vcc_lo, v8, v6
	s_or_b32 s4, vcc_lo, s4
	s_wait_loadcnt 0x0
	v_subrev_nc_u32_e32 v9, s16, v9
	global_load_b64 v[12:13], v[10:11], off
	global_load_b32 v14, v9, s[10:11] scale_offset
	s_wait_loadcnt 0x0
	v_pk_fma_f32 v[0:1], v[12:13], v[14:15], v[0:1] op_sel_hi:[1,0,1]
	s_and_not1_b32 exec_lo, exec_lo, s4
	s_cbranch_execnz .LBB1_9
; %bb.10:
	s_or_b32 exec_lo, exec_lo, s4
.LBB1_11:
	s_delay_alu instid0(SALU_CYCLE_1)
	s_or_b32 exec_lo, exec_lo, s3
	s_cbranch_execz .LBB1_13
	s_branch .LBB1_18
.LBB1_12:
                                        ; implicit-def: $vgpr1
.LBB1_13:
	v_mov_b32_e32 v1, 0
	s_delay_alu instid0(VALU_DEP_1)
	v_mov_b32_e32 v0, v1
	s_and_saveexec_b32 s3, s2
	s_cbranch_execz .LBB1_17
; %bb.14:
	v_dual_mov_b32 v5, 0 :: v_dual_lshlrev_b32 v4, 1, v7
	s_mov_b32 s2, 0
	s_delay_alu instid0(VALU_DEP_1)
	v_dual_mov_b32 v0, v5 :: v_dual_mov_b32 v1, v5
.LBB1_15:                               ; =>This Inner Loop Header: Depth=1
	global_load_b32 v10, v7, s[6:7] scale_offset
	v_lshl_add_u64 v[8:9], v[4:5], 2, s[8:9]
	s_wait_xcnt 0x0
	v_dual_add_nc_u32 v7, 8, v7 :: v_dual_add_nc_u32 v4, 16, v4
	s_delay_alu instid0(VALU_DEP_1)
	v_cmp_ge_i32_e32 vcc_lo, v7, v6
	s_or_b32 s2, vcc_lo, s2
	s_wait_loadcnt 0x0
	v_subrev_nc_u32_e32 v13, s16, v10
	global_load_b64 v[10:11], v[8:9], off
	global_load_b32 v12, v13, s[10:11] scale_offset
	s_wait_loadcnt 0x0
	v_pk_fma_f32 v[0:1], v[10:11], v[12:13], v[0:1] op_sel_hi:[1,0,1]
	s_and_not1_b32 exec_lo, exec_lo, s2
	s_cbranch_execnz .LBB1_15
; %bb.16:
	s_or_b32 exec_lo, exec_lo, s2
.LBB1_17:
	s_delay_alu instid0(SALU_CYCLE_1)
	s_or_b32 exec_lo, exec_lo, s3
.LBB1_18:
	v_mbcnt_lo_u32_b32 v6, -1, 0
	s_mov_b32 s2, -1
	s_delay_alu instid0(VALU_DEP_1) | instskip(SKIP_1) | instid1(VALU_DEP_1)
	v_xor_b32_e32 v7, 2, v6
	v_xor_b32_e32 v4, 4, v6
	v_cmp_gt_i32_e32 vcc_lo, 32, v4
	v_cndmask_b32_e32 v4, v6, v4, vcc_lo
	s_delay_alu instid0(VALU_DEP_4) | instskip(SKIP_1) | instid1(VALU_DEP_1)
	v_cmp_gt_i32_e32 vcc_lo, 32, v7
	v_cndmask_b32_e32 v7, v6, v7, vcc_lo
	v_dual_lshlrev_b32 v7, 2, v7 :: v_dual_lshlrev_b32 v5, 2, v4
	ds_bpermute_b32 v4, v5, v0
	ds_bpermute_b32 v5, v5, v1
	s_wait_dscnt 0x0
	v_pk_add_f32 v[0:1], v[0:1], v[4:5]
	ds_bpermute_b32 v4, v7, v0
	ds_bpermute_b32 v5, v7, v1
	v_xor_b32_e32 v7, 1, v6
	s_delay_alu instid0(VALU_DEP_1) | instskip(SKIP_2) | instid1(VALU_DEP_2)
	v_cmp_gt_i32_e32 vcc_lo, 32, v7
	v_cndmask_b32_e32 v6, v6, v7, vcc_lo
	v_cmp_eq_u32_e32 vcc_lo, 7, v3
	v_lshlrev_b32_e32 v6, 2, v6
	s_wait_dscnt 0x0
	v_pk_add_f32 v[0:1], v[0:1], v[4:5]
	ds_bpermute_b32 v4, v6, v0
	ds_bpermute_b32 v5, v6, v1
	s_and_b32 exec_lo, exec_lo, vcc_lo
	s_cbranch_execz .LBB1_23
; %bb.19:
	s_load_b64 s[0:1], s[0:1], 0x38
	s_wait_dscnt 0x0
	v_pk_add_f32 v[0:1], v[0:1], v[4:5]
	v_lshlrev_b32_e32 v2, 1, v2
	s_cmp_eq_f32 s12, 0
	s_cbranch_scc0 .LBB1_21
; %bb.20:
	s_delay_alu instid0(VALU_DEP_1) | instskip(SKIP_3) | instid1(VALU_DEP_2)
	v_ashrrev_i32_e32 v3, 31, v2
	v_pk_mul_f32 v[6:7], s[14:15], v[0:1] op_sel_hi:[0,1]
	s_mov_b32 s2, 0
	s_wait_kmcnt 0x0
	v_lshl_add_u64 v[4:5], v[2:3], 2, s[0:1]
	global_store_b64 v[4:5], v[6:7], off
.LBB1_21:
	s_and_not1_b32 vcc_lo, exec_lo, s2
	s_cbranch_vccnz .LBB1_23
; %bb.22:
	v_ashrrev_i32_e32 v3, 31, v2
	v_pk_mul_f32 v[0:1], s[14:15], v[0:1] op_sel_hi:[0,1]
	s_wait_kmcnt 0x0
	s_delay_alu instid0(VALU_DEP_2)
	v_lshl_add_u64 v[2:3], v[2:3], 2, s[0:1]
	global_load_b64 v[4:5], v[2:3], off
	s_wait_loadcnt 0x0
	v_pk_fma_f32 v[0:1], s[12:13], v[4:5], v[0:1] op_sel_hi:[0,1,1]
	global_store_b64 v[2:3], v[0:1], off
.LBB1_23:
	s_endpgm
	.section	.rodata,"a",@progbits
	.p2align	6, 0x0
	.amdhsa_kernel _ZN9rocsparseL19gebsrmvn_2xn_kernelILj128ELj1ELj8EfEEvi20rocsparse_direction_NS_24const_host_device_scalarIT2_EEPKiS6_PKS3_S8_S4_PS3_21rocsparse_index_base_b
		.amdhsa_group_segment_fixed_size 0
		.amdhsa_private_segment_fixed_size 0
		.amdhsa_kernarg_size 72
		.amdhsa_user_sgpr_count 2
		.amdhsa_user_sgpr_dispatch_ptr 0
		.amdhsa_user_sgpr_queue_ptr 0
		.amdhsa_user_sgpr_kernarg_segment_ptr 1
		.amdhsa_user_sgpr_dispatch_id 0
		.amdhsa_user_sgpr_kernarg_preload_length 0
		.amdhsa_user_sgpr_kernarg_preload_offset 0
		.amdhsa_user_sgpr_private_segment_size 0
		.amdhsa_wavefront_size32 1
		.amdhsa_uses_dynamic_stack 0
		.amdhsa_enable_private_segment 0
		.amdhsa_system_sgpr_workgroup_id_x 1
		.amdhsa_system_sgpr_workgroup_id_y 0
		.amdhsa_system_sgpr_workgroup_id_z 0
		.amdhsa_system_sgpr_workgroup_info 0
		.amdhsa_system_vgpr_workitem_id 0
		.amdhsa_next_free_vgpr 16
		.amdhsa_next_free_sgpr 18
		.amdhsa_named_barrier_count 0
		.amdhsa_reserve_vcc 1
		.amdhsa_float_round_mode_32 0
		.amdhsa_float_round_mode_16_64 0
		.amdhsa_float_denorm_mode_32 3
		.amdhsa_float_denorm_mode_16_64 3
		.amdhsa_fp16_overflow 0
		.amdhsa_memory_ordered 1
		.amdhsa_forward_progress 1
		.amdhsa_inst_pref_size 8
		.amdhsa_round_robin_scheduling 0
		.amdhsa_exception_fp_ieee_invalid_op 0
		.amdhsa_exception_fp_denorm_src 0
		.amdhsa_exception_fp_ieee_div_zero 0
		.amdhsa_exception_fp_ieee_overflow 0
		.amdhsa_exception_fp_ieee_underflow 0
		.amdhsa_exception_fp_ieee_inexact 0
		.amdhsa_exception_int_div_zero 0
	.end_amdhsa_kernel
	.section	.text._ZN9rocsparseL19gebsrmvn_2xn_kernelILj128ELj1ELj8EfEEvi20rocsparse_direction_NS_24const_host_device_scalarIT2_EEPKiS6_PKS3_S8_S4_PS3_21rocsparse_index_base_b,"axG",@progbits,_ZN9rocsparseL19gebsrmvn_2xn_kernelILj128ELj1ELj8EfEEvi20rocsparse_direction_NS_24const_host_device_scalarIT2_EEPKiS6_PKS3_S8_S4_PS3_21rocsparse_index_base_b,comdat
.Lfunc_end1:
	.size	_ZN9rocsparseL19gebsrmvn_2xn_kernelILj128ELj1ELj8EfEEvi20rocsparse_direction_NS_24const_host_device_scalarIT2_EEPKiS6_PKS3_S8_S4_PS3_21rocsparse_index_base_b, .Lfunc_end1-_ZN9rocsparseL19gebsrmvn_2xn_kernelILj128ELj1ELj8EfEEvi20rocsparse_direction_NS_24const_host_device_scalarIT2_EEPKiS6_PKS3_S8_S4_PS3_21rocsparse_index_base_b
                                        ; -- End function
	.set _ZN9rocsparseL19gebsrmvn_2xn_kernelILj128ELj1ELj8EfEEvi20rocsparse_direction_NS_24const_host_device_scalarIT2_EEPKiS6_PKS3_S8_S4_PS3_21rocsparse_index_base_b.num_vgpr, 16
	.set _ZN9rocsparseL19gebsrmvn_2xn_kernelILj128ELj1ELj8EfEEvi20rocsparse_direction_NS_24const_host_device_scalarIT2_EEPKiS6_PKS3_S8_S4_PS3_21rocsparse_index_base_b.num_agpr, 0
	.set _ZN9rocsparseL19gebsrmvn_2xn_kernelILj128ELj1ELj8EfEEvi20rocsparse_direction_NS_24const_host_device_scalarIT2_EEPKiS6_PKS3_S8_S4_PS3_21rocsparse_index_base_b.numbered_sgpr, 18
	.set _ZN9rocsparseL19gebsrmvn_2xn_kernelILj128ELj1ELj8EfEEvi20rocsparse_direction_NS_24const_host_device_scalarIT2_EEPKiS6_PKS3_S8_S4_PS3_21rocsparse_index_base_b.num_named_barrier, 0
	.set _ZN9rocsparseL19gebsrmvn_2xn_kernelILj128ELj1ELj8EfEEvi20rocsparse_direction_NS_24const_host_device_scalarIT2_EEPKiS6_PKS3_S8_S4_PS3_21rocsparse_index_base_b.private_seg_size, 0
	.set _ZN9rocsparseL19gebsrmvn_2xn_kernelILj128ELj1ELj8EfEEvi20rocsparse_direction_NS_24const_host_device_scalarIT2_EEPKiS6_PKS3_S8_S4_PS3_21rocsparse_index_base_b.uses_vcc, 1
	.set _ZN9rocsparseL19gebsrmvn_2xn_kernelILj128ELj1ELj8EfEEvi20rocsparse_direction_NS_24const_host_device_scalarIT2_EEPKiS6_PKS3_S8_S4_PS3_21rocsparse_index_base_b.uses_flat_scratch, 0
	.set _ZN9rocsparseL19gebsrmvn_2xn_kernelILj128ELj1ELj8EfEEvi20rocsparse_direction_NS_24const_host_device_scalarIT2_EEPKiS6_PKS3_S8_S4_PS3_21rocsparse_index_base_b.has_dyn_sized_stack, 0
	.set _ZN9rocsparseL19gebsrmvn_2xn_kernelILj128ELj1ELj8EfEEvi20rocsparse_direction_NS_24const_host_device_scalarIT2_EEPKiS6_PKS3_S8_S4_PS3_21rocsparse_index_base_b.has_recursion, 0
	.set _ZN9rocsparseL19gebsrmvn_2xn_kernelILj128ELj1ELj8EfEEvi20rocsparse_direction_NS_24const_host_device_scalarIT2_EEPKiS6_PKS3_S8_S4_PS3_21rocsparse_index_base_b.has_indirect_call, 0
	.section	.AMDGPU.csdata,"",@progbits
; Kernel info:
; codeLenInByte = 908
; TotalNumSgprs: 20
; NumVgprs: 16
; ScratchSize: 0
; MemoryBound: 0
; FloatMode: 240
; IeeeMode: 1
; LDSByteSize: 0 bytes/workgroup (compile time only)
; SGPRBlocks: 0
; VGPRBlocks: 0
; NumSGPRsForWavesPerEU: 20
; NumVGPRsForWavesPerEU: 16
; NamedBarCnt: 0
; Occupancy: 16
; WaveLimiterHint : 1
; COMPUTE_PGM_RSRC2:SCRATCH_EN: 0
; COMPUTE_PGM_RSRC2:USER_SGPR: 2
; COMPUTE_PGM_RSRC2:TRAP_HANDLER: 0
; COMPUTE_PGM_RSRC2:TGID_X_EN: 1
; COMPUTE_PGM_RSRC2:TGID_Y_EN: 0
; COMPUTE_PGM_RSRC2:TGID_Z_EN: 0
; COMPUTE_PGM_RSRC2:TIDIG_COMP_CNT: 0
	.section	.text._ZN9rocsparseL19gebsrmvn_2xn_kernelILj128ELj1ELj16EfEEvi20rocsparse_direction_NS_24const_host_device_scalarIT2_EEPKiS6_PKS3_S8_S4_PS3_21rocsparse_index_base_b,"axG",@progbits,_ZN9rocsparseL19gebsrmvn_2xn_kernelILj128ELj1ELj16EfEEvi20rocsparse_direction_NS_24const_host_device_scalarIT2_EEPKiS6_PKS3_S8_S4_PS3_21rocsparse_index_base_b,comdat
	.globl	_ZN9rocsparseL19gebsrmvn_2xn_kernelILj128ELj1ELj16EfEEvi20rocsparse_direction_NS_24const_host_device_scalarIT2_EEPKiS6_PKS3_S8_S4_PS3_21rocsparse_index_base_b ; -- Begin function _ZN9rocsparseL19gebsrmvn_2xn_kernelILj128ELj1ELj16EfEEvi20rocsparse_direction_NS_24const_host_device_scalarIT2_EEPKiS6_PKS3_S8_S4_PS3_21rocsparse_index_base_b
	.p2align	8
	.type	_ZN9rocsparseL19gebsrmvn_2xn_kernelILj128ELj1ELj16EfEEvi20rocsparse_direction_NS_24const_host_device_scalarIT2_EEPKiS6_PKS3_S8_S4_PS3_21rocsparse_index_base_b,@function
_ZN9rocsparseL19gebsrmvn_2xn_kernelILj128ELj1ELj16EfEEvi20rocsparse_direction_NS_24const_host_device_scalarIT2_EEPKiS6_PKS3_S8_S4_PS3_21rocsparse_index_base_b: ; @_ZN9rocsparseL19gebsrmvn_2xn_kernelILj128ELj1ELj16EfEEvi20rocsparse_direction_NS_24const_host_device_scalarIT2_EEPKiS6_PKS3_S8_S4_PS3_21rocsparse_index_base_b
; %bb.0:
	s_clause 0x2
	s_load_b64 s[16:17], s[0:1], 0x40
	s_load_b64 s[14:15], s[0:1], 0x8
	;; [unrolled: 1-line block ×3, first 2 shown]
	s_wait_kmcnt 0x0
	s_bitcmp1_b32 s17, 0
	s_cselect_b32 s2, -1, 0
	s_delay_alu instid0(SALU_CYCLE_1)
	s_and_b32 vcc_lo, exec_lo, s2
	s_xor_b32 s2, s2, -1
	s_cbranch_vccnz .LBB2_2
; %bb.1:
	s_load_b32 s14, s[14:15], 0x0
.LBB2_2:
	s_and_not1_b32 vcc_lo, exec_lo, s2
	s_cbranch_vccnz .LBB2_4
; %bb.3:
	s_load_b32 s12, s[12:13], 0x0
.LBB2_4:
	s_wait_kmcnt 0x0
	s_cmp_eq_f32 s14, 0
	s_cselect_b32 s2, -1, 0
	s_cmp_eq_f32 s12, 1.0
	s_cselect_b32 s3, -1, 0
	s_delay_alu instid0(SALU_CYCLE_1) | instskip(NEXT) | instid1(SALU_CYCLE_1)
	s_and_b32 s2, s2, s3
	s_and_b32 vcc_lo, exec_lo, s2
	s_cbranch_vccnz .LBB2_23
; %bb.5:
	s_load_b64 s[2:3], s[0:1], 0x0
	s_bfe_u32 s4, ttmp6, 0x4000c
	s_and_b32 s5, ttmp6, 15
	s_add_co_i32 s4, s4, 1
	s_getreg_b32 s6, hwreg(HW_REG_IB_STS2, 6, 4)
	s_mul_i32 s4, ttmp9, s4
	v_lshrrev_b32_e32 v1, 4, v0
	s_add_co_i32 s5, s5, s4
	s_cmp_eq_u32 s6, 0
	s_cselect_b32 s4, ttmp9, s5
	s_delay_alu instid0(VALU_DEP_1) | instid1(SALU_CYCLE_1)
	v_lshl_or_b32 v2, s4, 3, v1
	s_wait_kmcnt 0x0
	s_delay_alu instid0(VALU_DEP_1)
	v_cmp_gt_i32_e32 vcc_lo, s2, v2
	s_and_saveexec_b32 s2, vcc_lo
	s_cbranch_execz .LBB2_23
; %bb.6:
	s_load_b256 s[4:11], s[0:1], 0x10
	v_ashrrev_i32_e32 v3, 31, v2
	s_cmp_lg_u32 s3, 0
	s_wait_kmcnt 0x0
	s_delay_alu instid0(VALU_DEP_1)
	v_lshl_add_u64 v[4:5], v[2:3], 2, s[4:5]
	v_and_b32_e32 v3, 15, v0
	global_load_b64 v[4:5], v[4:5], off
	s_wait_loadcnt 0x0
	v_subrev_nc_u32_e32 v0, s16, v4
	v_subrev_nc_u32_e32 v6, s16, v5
	s_delay_alu instid0(VALU_DEP_2) | instskip(NEXT) | instid1(VALU_DEP_1)
	v_add_nc_u32_e32 v7, v0, v3
	v_cmp_lt_i32_e64 s2, v7, v6
	s_cbranch_scc0 .LBB2_12
; %bb.7:
	v_mov_b32_e32 v1, 0
	s_delay_alu instid0(VALU_DEP_1)
	v_mov_b32_e32 v0, v1
	s_and_saveexec_b32 s3, s2
	s_cbranch_execz .LBB2_11
; %bb.8:
	v_dual_mov_b32 v5, 0 :: v_dual_lshlrev_b32 v4, 1, v7
	v_mov_b32_e32 v8, v7
	s_mov_b32 s4, 0
	s_delay_alu instid0(VALU_DEP_2)
	v_dual_mov_b32 v0, v5 :: v_dual_mov_b32 v1, v5
.LBB2_9:                                ; =>This Inner Loop Header: Depth=1
	global_load_b32 v9, v8, s[6:7] scale_offset
	v_lshl_add_u64 v[10:11], v[4:5], 2, s[8:9]
	s_wait_xcnt 0x0
	v_add_nc_u32_e32 v8, 16, v8
	v_add_nc_u32_e32 v4, 32, v4
	s_delay_alu instid0(VALU_DEP_2)
	v_cmp_ge_i32_e32 vcc_lo, v8, v6
	s_or_b32 s4, vcc_lo, s4
	s_wait_loadcnt 0x0
	v_subrev_nc_u32_e32 v9, s16, v9
	global_load_b64 v[12:13], v[10:11], off
	global_load_b32 v14, v9, s[10:11] scale_offset
	s_wait_loadcnt 0x0
	v_pk_fma_f32 v[0:1], v[12:13], v[14:15], v[0:1] op_sel_hi:[1,0,1]
	s_and_not1_b32 exec_lo, exec_lo, s4
	s_cbranch_execnz .LBB2_9
; %bb.10:
	s_or_b32 exec_lo, exec_lo, s4
.LBB2_11:
	s_delay_alu instid0(SALU_CYCLE_1)
	s_or_b32 exec_lo, exec_lo, s3
	s_cbranch_execz .LBB2_13
	s_branch .LBB2_18
.LBB2_12:
                                        ; implicit-def: $vgpr1
.LBB2_13:
	v_mov_b32_e32 v1, 0
	s_delay_alu instid0(VALU_DEP_1)
	v_mov_b32_e32 v0, v1
	s_and_saveexec_b32 s3, s2
	s_cbranch_execz .LBB2_17
; %bb.14:
	v_dual_mov_b32 v5, 0 :: v_dual_lshlrev_b32 v4, 1, v7
	s_mov_b32 s2, 0
	s_delay_alu instid0(VALU_DEP_1)
	v_dual_mov_b32 v0, v5 :: v_dual_mov_b32 v1, v5
.LBB2_15:                               ; =>This Inner Loop Header: Depth=1
	global_load_b32 v10, v7, s[6:7] scale_offset
	v_lshl_add_u64 v[8:9], v[4:5], 2, s[8:9]
	s_wait_xcnt 0x0
	v_dual_add_nc_u32 v7, 16, v7 :: v_dual_add_nc_u32 v4, 32, v4
	s_delay_alu instid0(VALU_DEP_1)
	v_cmp_ge_i32_e32 vcc_lo, v7, v6
	s_or_b32 s2, vcc_lo, s2
	s_wait_loadcnt 0x0
	v_subrev_nc_u32_e32 v13, s16, v10
	global_load_b64 v[10:11], v[8:9], off
	global_load_b32 v12, v13, s[10:11] scale_offset
	s_wait_loadcnt 0x0
	v_pk_fma_f32 v[0:1], v[10:11], v[12:13], v[0:1] op_sel_hi:[1,0,1]
	s_and_not1_b32 exec_lo, exec_lo, s2
	s_cbranch_execnz .LBB2_15
; %bb.16:
	s_or_b32 exec_lo, exec_lo, s2
.LBB2_17:
	s_delay_alu instid0(SALU_CYCLE_1)
	s_or_b32 exec_lo, exec_lo, s3
.LBB2_18:
	v_mbcnt_lo_u32_b32 v6, -1, 0
	s_mov_b32 s2, -1
	s_delay_alu instid0(VALU_DEP_1) | instskip(SKIP_1) | instid1(VALU_DEP_1)
	v_xor_b32_e32 v7, 4, v6
	v_xor_b32_e32 v4, 8, v6
	v_cmp_gt_i32_e32 vcc_lo, 32, v4
	v_cndmask_b32_e32 v4, v6, v4, vcc_lo
	s_delay_alu instid0(VALU_DEP_4) | instskip(SKIP_1) | instid1(VALU_DEP_1)
	v_cmp_gt_i32_e32 vcc_lo, 32, v7
	v_cndmask_b32_e32 v7, v6, v7, vcc_lo
	v_dual_lshlrev_b32 v7, 2, v7 :: v_dual_lshlrev_b32 v5, 2, v4
	ds_bpermute_b32 v4, v5, v0
	ds_bpermute_b32 v5, v5, v1
	s_wait_dscnt 0x0
	v_pk_add_f32 v[0:1], v[0:1], v[4:5]
	ds_bpermute_b32 v4, v7, v0
	ds_bpermute_b32 v5, v7, v1
	v_xor_b32_e32 v7, 2, v6
	s_delay_alu instid0(VALU_DEP_1) | instskip(SKIP_1) | instid1(VALU_DEP_1)
	v_cmp_gt_i32_e32 vcc_lo, 32, v7
	v_cndmask_b32_e32 v7, v6, v7, vcc_lo
	v_lshlrev_b32_e32 v7, 2, v7
	s_wait_dscnt 0x0
	v_pk_add_f32 v[0:1], v[0:1], v[4:5]
	ds_bpermute_b32 v4, v7, v0
	ds_bpermute_b32 v5, v7, v1
	v_xor_b32_e32 v7, 1, v6
	s_delay_alu instid0(VALU_DEP_1) | instskip(SKIP_2) | instid1(VALU_DEP_2)
	v_cmp_gt_i32_e32 vcc_lo, 32, v7
	v_cndmask_b32_e32 v6, v6, v7, vcc_lo
	v_cmp_eq_u32_e32 vcc_lo, 15, v3
	v_lshlrev_b32_e32 v6, 2, v6
	s_wait_dscnt 0x0
	v_pk_add_f32 v[0:1], v[0:1], v[4:5]
	ds_bpermute_b32 v4, v6, v0
	ds_bpermute_b32 v5, v6, v1
	s_and_b32 exec_lo, exec_lo, vcc_lo
	s_cbranch_execz .LBB2_23
; %bb.19:
	s_load_b64 s[0:1], s[0:1], 0x38
	s_wait_dscnt 0x0
	v_pk_add_f32 v[0:1], v[0:1], v[4:5]
	v_lshlrev_b32_e32 v2, 1, v2
	s_cmp_eq_f32 s12, 0
	s_cbranch_scc0 .LBB2_21
; %bb.20:
	s_delay_alu instid0(VALU_DEP_1) | instskip(SKIP_3) | instid1(VALU_DEP_2)
	v_ashrrev_i32_e32 v3, 31, v2
	v_pk_mul_f32 v[6:7], s[14:15], v[0:1] op_sel_hi:[0,1]
	s_mov_b32 s2, 0
	s_wait_kmcnt 0x0
	v_lshl_add_u64 v[4:5], v[2:3], 2, s[0:1]
	global_store_b64 v[4:5], v[6:7], off
.LBB2_21:
	s_and_not1_b32 vcc_lo, exec_lo, s2
	s_cbranch_vccnz .LBB2_23
; %bb.22:
	v_ashrrev_i32_e32 v3, 31, v2
	v_pk_mul_f32 v[0:1], s[14:15], v[0:1] op_sel_hi:[0,1]
	s_wait_kmcnt 0x0
	s_delay_alu instid0(VALU_DEP_2)
	v_lshl_add_u64 v[2:3], v[2:3], 2, s[0:1]
	global_load_b64 v[4:5], v[2:3], off
	s_wait_loadcnt 0x0
	v_pk_fma_f32 v[0:1], s[12:13], v[4:5], v[0:1] op_sel_hi:[0,1,1]
	global_store_b64 v[2:3], v[0:1], off
.LBB2_23:
	s_endpgm
	.section	.rodata,"a",@progbits
	.p2align	6, 0x0
	.amdhsa_kernel _ZN9rocsparseL19gebsrmvn_2xn_kernelILj128ELj1ELj16EfEEvi20rocsparse_direction_NS_24const_host_device_scalarIT2_EEPKiS6_PKS3_S8_S4_PS3_21rocsparse_index_base_b
		.amdhsa_group_segment_fixed_size 0
		.amdhsa_private_segment_fixed_size 0
		.amdhsa_kernarg_size 72
		.amdhsa_user_sgpr_count 2
		.amdhsa_user_sgpr_dispatch_ptr 0
		.amdhsa_user_sgpr_queue_ptr 0
		.amdhsa_user_sgpr_kernarg_segment_ptr 1
		.amdhsa_user_sgpr_dispatch_id 0
		.amdhsa_user_sgpr_kernarg_preload_length 0
		.amdhsa_user_sgpr_kernarg_preload_offset 0
		.amdhsa_user_sgpr_private_segment_size 0
		.amdhsa_wavefront_size32 1
		.amdhsa_uses_dynamic_stack 0
		.amdhsa_enable_private_segment 0
		.amdhsa_system_sgpr_workgroup_id_x 1
		.amdhsa_system_sgpr_workgroup_id_y 0
		.amdhsa_system_sgpr_workgroup_id_z 0
		.amdhsa_system_sgpr_workgroup_info 0
		.amdhsa_system_vgpr_workitem_id 0
		.amdhsa_next_free_vgpr 16
		.amdhsa_next_free_sgpr 18
		.amdhsa_named_barrier_count 0
		.amdhsa_reserve_vcc 1
		.amdhsa_float_round_mode_32 0
		.amdhsa_float_round_mode_16_64 0
		.amdhsa_float_denorm_mode_32 3
		.amdhsa_float_denorm_mode_16_64 3
		.amdhsa_fp16_overflow 0
		.amdhsa_memory_ordered 1
		.amdhsa_forward_progress 1
		.amdhsa_inst_pref_size 8
		.amdhsa_round_robin_scheduling 0
		.amdhsa_exception_fp_ieee_invalid_op 0
		.amdhsa_exception_fp_denorm_src 0
		.amdhsa_exception_fp_ieee_div_zero 0
		.amdhsa_exception_fp_ieee_overflow 0
		.amdhsa_exception_fp_ieee_underflow 0
		.amdhsa_exception_fp_ieee_inexact 0
		.amdhsa_exception_int_div_zero 0
	.end_amdhsa_kernel
	.section	.text._ZN9rocsparseL19gebsrmvn_2xn_kernelILj128ELj1ELj16EfEEvi20rocsparse_direction_NS_24const_host_device_scalarIT2_EEPKiS6_PKS3_S8_S4_PS3_21rocsparse_index_base_b,"axG",@progbits,_ZN9rocsparseL19gebsrmvn_2xn_kernelILj128ELj1ELj16EfEEvi20rocsparse_direction_NS_24const_host_device_scalarIT2_EEPKiS6_PKS3_S8_S4_PS3_21rocsparse_index_base_b,comdat
.Lfunc_end2:
	.size	_ZN9rocsparseL19gebsrmvn_2xn_kernelILj128ELj1ELj16EfEEvi20rocsparse_direction_NS_24const_host_device_scalarIT2_EEPKiS6_PKS3_S8_S4_PS3_21rocsparse_index_base_b, .Lfunc_end2-_ZN9rocsparseL19gebsrmvn_2xn_kernelILj128ELj1ELj16EfEEvi20rocsparse_direction_NS_24const_host_device_scalarIT2_EEPKiS6_PKS3_S8_S4_PS3_21rocsparse_index_base_b
                                        ; -- End function
	.set _ZN9rocsparseL19gebsrmvn_2xn_kernelILj128ELj1ELj16EfEEvi20rocsparse_direction_NS_24const_host_device_scalarIT2_EEPKiS6_PKS3_S8_S4_PS3_21rocsparse_index_base_b.num_vgpr, 16
	.set _ZN9rocsparseL19gebsrmvn_2xn_kernelILj128ELj1ELj16EfEEvi20rocsparse_direction_NS_24const_host_device_scalarIT2_EEPKiS6_PKS3_S8_S4_PS3_21rocsparse_index_base_b.num_agpr, 0
	.set _ZN9rocsparseL19gebsrmvn_2xn_kernelILj128ELj1ELj16EfEEvi20rocsparse_direction_NS_24const_host_device_scalarIT2_EEPKiS6_PKS3_S8_S4_PS3_21rocsparse_index_base_b.numbered_sgpr, 18
	.set _ZN9rocsparseL19gebsrmvn_2xn_kernelILj128ELj1ELj16EfEEvi20rocsparse_direction_NS_24const_host_device_scalarIT2_EEPKiS6_PKS3_S8_S4_PS3_21rocsparse_index_base_b.num_named_barrier, 0
	.set _ZN9rocsparseL19gebsrmvn_2xn_kernelILj128ELj1ELj16EfEEvi20rocsparse_direction_NS_24const_host_device_scalarIT2_EEPKiS6_PKS3_S8_S4_PS3_21rocsparse_index_base_b.private_seg_size, 0
	.set _ZN9rocsparseL19gebsrmvn_2xn_kernelILj128ELj1ELj16EfEEvi20rocsparse_direction_NS_24const_host_device_scalarIT2_EEPKiS6_PKS3_S8_S4_PS3_21rocsparse_index_base_b.uses_vcc, 1
	.set _ZN9rocsparseL19gebsrmvn_2xn_kernelILj128ELj1ELj16EfEEvi20rocsparse_direction_NS_24const_host_device_scalarIT2_EEPKiS6_PKS3_S8_S4_PS3_21rocsparse_index_base_b.uses_flat_scratch, 0
	.set _ZN9rocsparseL19gebsrmvn_2xn_kernelILj128ELj1ELj16EfEEvi20rocsparse_direction_NS_24const_host_device_scalarIT2_EEPKiS6_PKS3_S8_S4_PS3_21rocsparse_index_base_b.has_dyn_sized_stack, 0
	.set _ZN9rocsparseL19gebsrmvn_2xn_kernelILj128ELj1ELj16EfEEvi20rocsparse_direction_NS_24const_host_device_scalarIT2_EEPKiS6_PKS3_S8_S4_PS3_21rocsparse_index_base_b.has_recursion, 0
	.set _ZN9rocsparseL19gebsrmvn_2xn_kernelILj128ELj1ELj16EfEEvi20rocsparse_direction_NS_24const_host_device_scalarIT2_EEPKiS6_PKS3_S8_S4_PS3_21rocsparse_index_base_b.has_indirect_call, 0
	.section	.AMDGPU.csdata,"",@progbits
; Kernel info:
; codeLenInByte = 956
; TotalNumSgprs: 20
; NumVgprs: 16
; ScratchSize: 0
; MemoryBound: 0
; FloatMode: 240
; IeeeMode: 1
; LDSByteSize: 0 bytes/workgroup (compile time only)
; SGPRBlocks: 0
; VGPRBlocks: 0
; NumSGPRsForWavesPerEU: 20
; NumVGPRsForWavesPerEU: 16
; NamedBarCnt: 0
; Occupancy: 16
; WaveLimiterHint : 1
; COMPUTE_PGM_RSRC2:SCRATCH_EN: 0
; COMPUTE_PGM_RSRC2:USER_SGPR: 2
; COMPUTE_PGM_RSRC2:TRAP_HANDLER: 0
; COMPUTE_PGM_RSRC2:TGID_X_EN: 1
; COMPUTE_PGM_RSRC2:TGID_Y_EN: 0
; COMPUTE_PGM_RSRC2:TGID_Z_EN: 0
; COMPUTE_PGM_RSRC2:TIDIG_COMP_CNT: 0
	.section	.text._ZN9rocsparseL19gebsrmvn_2xn_kernelILj128ELj1ELj32EfEEvi20rocsparse_direction_NS_24const_host_device_scalarIT2_EEPKiS6_PKS3_S8_S4_PS3_21rocsparse_index_base_b,"axG",@progbits,_ZN9rocsparseL19gebsrmvn_2xn_kernelILj128ELj1ELj32EfEEvi20rocsparse_direction_NS_24const_host_device_scalarIT2_EEPKiS6_PKS3_S8_S4_PS3_21rocsparse_index_base_b,comdat
	.globl	_ZN9rocsparseL19gebsrmvn_2xn_kernelILj128ELj1ELj32EfEEvi20rocsparse_direction_NS_24const_host_device_scalarIT2_EEPKiS6_PKS3_S8_S4_PS3_21rocsparse_index_base_b ; -- Begin function _ZN9rocsparseL19gebsrmvn_2xn_kernelILj128ELj1ELj32EfEEvi20rocsparse_direction_NS_24const_host_device_scalarIT2_EEPKiS6_PKS3_S8_S4_PS3_21rocsparse_index_base_b
	.p2align	8
	.type	_ZN9rocsparseL19gebsrmvn_2xn_kernelILj128ELj1ELj32EfEEvi20rocsparse_direction_NS_24const_host_device_scalarIT2_EEPKiS6_PKS3_S8_S4_PS3_21rocsparse_index_base_b,@function
_ZN9rocsparseL19gebsrmvn_2xn_kernelILj128ELj1ELj32EfEEvi20rocsparse_direction_NS_24const_host_device_scalarIT2_EEPKiS6_PKS3_S8_S4_PS3_21rocsparse_index_base_b: ; @_ZN9rocsparseL19gebsrmvn_2xn_kernelILj128ELj1ELj32EfEEvi20rocsparse_direction_NS_24const_host_device_scalarIT2_EEPKiS6_PKS3_S8_S4_PS3_21rocsparse_index_base_b
; %bb.0:
	s_clause 0x2
	s_load_b64 s[16:17], s[0:1], 0x40
	s_load_b64 s[14:15], s[0:1], 0x8
	;; [unrolled: 1-line block ×3, first 2 shown]
	s_wait_kmcnt 0x0
	s_bitcmp1_b32 s17, 0
	s_cselect_b32 s2, -1, 0
	s_delay_alu instid0(SALU_CYCLE_1)
	s_and_b32 vcc_lo, exec_lo, s2
	s_xor_b32 s2, s2, -1
	s_cbranch_vccnz .LBB3_2
; %bb.1:
	s_load_b32 s14, s[14:15], 0x0
.LBB3_2:
	s_and_not1_b32 vcc_lo, exec_lo, s2
	s_cbranch_vccnz .LBB3_4
; %bb.3:
	s_load_b32 s12, s[12:13], 0x0
.LBB3_4:
	s_wait_kmcnt 0x0
	s_cmp_eq_f32 s14, 0
	s_cselect_b32 s2, -1, 0
	s_cmp_eq_f32 s12, 1.0
	s_cselect_b32 s3, -1, 0
	s_delay_alu instid0(SALU_CYCLE_1) | instskip(NEXT) | instid1(SALU_CYCLE_1)
	s_and_b32 s2, s2, s3
	s_and_b32 vcc_lo, exec_lo, s2
	s_cbranch_vccnz .LBB3_23
; %bb.5:
	s_load_b64 s[2:3], s[0:1], 0x0
	s_bfe_u32 s4, ttmp6, 0x4000c
	s_and_b32 s5, ttmp6, 15
	s_add_co_i32 s4, s4, 1
	s_getreg_b32 s6, hwreg(HW_REG_IB_STS2, 6, 4)
	s_mul_i32 s4, ttmp9, s4
	v_lshrrev_b32_e32 v1, 5, v0
	s_add_co_i32 s5, s5, s4
	s_cmp_eq_u32 s6, 0
	s_cselect_b32 s4, ttmp9, s5
	s_delay_alu instid0(VALU_DEP_1) | instid1(SALU_CYCLE_1)
	v_lshl_or_b32 v2, s4, 2, v1
	s_wait_kmcnt 0x0
	s_delay_alu instid0(VALU_DEP_1)
	v_cmp_gt_i32_e32 vcc_lo, s2, v2
	s_and_saveexec_b32 s2, vcc_lo
	s_cbranch_execz .LBB3_23
; %bb.6:
	s_load_b256 s[4:11], s[0:1], 0x10
	v_ashrrev_i32_e32 v3, 31, v2
	s_cmp_lg_u32 s3, 0
	s_wait_kmcnt 0x0
	s_delay_alu instid0(VALU_DEP_1)
	v_lshl_add_u64 v[4:5], v[2:3], 2, s[4:5]
	v_and_b32_e32 v3, 31, v0
	global_load_b64 v[4:5], v[4:5], off
	s_wait_loadcnt 0x0
	v_subrev_nc_u32_e32 v0, s16, v4
	v_subrev_nc_u32_e32 v6, s16, v5
	s_delay_alu instid0(VALU_DEP_2) | instskip(NEXT) | instid1(VALU_DEP_1)
	v_add_nc_u32_e32 v7, v0, v3
	v_cmp_lt_i32_e64 s2, v7, v6
	s_cbranch_scc0 .LBB3_12
; %bb.7:
	v_mov_b32_e32 v1, 0
	s_delay_alu instid0(VALU_DEP_1)
	v_mov_b32_e32 v0, v1
	s_and_saveexec_b32 s3, s2
	s_cbranch_execz .LBB3_11
; %bb.8:
	v_dual_mov_b32 v5, 0 :: v_dual_lshlrev_b32 v4, 1, v7
	v_mov_b32_e32 v8, v7
	s_mov_b32 s4, 0
	s_delay_alu instid0(VALU_DEP_2)
	v_dual_mov_b32 v0, v5 :: v_dual_mov_b32 v1, v5
.LBB3_9:                                ; =>This Inner Loop Header: Depth=1
	global_load_b32 v9, v8, s[6:7] scale_offset
	v_lshl_add_u64 v[10:11], v[4:5], 2, s[8:9]
	s_wait_xcnt 0x0
	v_add_nc_u32_e32 v8, 32, v8
	v_add_nc_u32_e32 v4, 64, v4
	s_delay_alu instid0(VALU_DEP_2)
	v_cmp_ge_i32_e32 vcc_lo, v8, v6
	s_or_b32 s4, vcc_lo, s4
	s_wait_loadcnt 0x0
	v_subrev_nc_u32_e32 v9, s16, v9
	global_load_b64 v[12:13], v[10:11], off
	global_load_b32 v14, v9, s[10:11] scale_offset
	s_wait_loadcnt 0x0
	v_pk_fma_f32 v[0:1], v[12:13], v[14:15], v[0:1] op_sel_hi:[1,0,1]
	s_and_not1_b32 exec_lo, exec_lo, s4
	s_cbranch_execnz .LBB3_9
; %bb.10:
	s_or_b32 exec_lo, exec_lo, s4
.LBB3_11:
	s_delay_alu instid0(SALU_CYCLE_1)
	s_or_b32 exec_lo, exec_lo, s3
	s_cbranch_execz .LBB3_13
	s_branch .LBB3_18
.LBB3_12:
                                        ; implicit-def: $vgpr1
.LBB3_13:
	v_mov_b32_e32 v1, 0
	s_delay_alu instid0(VALU_DEP_1)
	v_mov_b32_e32 v0, v1
	s_and_saveexec_b32 s3, s2
	s_cbranch_execz .LBB3_17
; %bb.14:
	v_dual_mov_b32 v5, 0 :: v_dual_lshlrev_b32 v4, 1, v7
	s_mov_b32 s2, 0
	s_delay_alu instid0(VALU_DEP_1)
	v_dual_mov_b32 v0, v5 :: v_dual_mov_b32 v1, v5
.LBB3_15:                               ; =>This Inner Loop Header: Depth=1
	global_load_b32 v10, v7, s[6:7] scale_offset
	v_lshl_add_u64 v[8:9], v[4:5], 2, s[8:9]
	s_wait_xcnt 0x0
	v_dual_add_nc_u32 v7, 32, v7 :: v_dual_add_nc_u32 v4, 64, v4
	s_delay_alu instid0(VALU_DEP_1)
	v_cmp_ge_i32_e32 vcc_lo, v7, v6
	s_or_b32 s2, vcc_lo, s2
	s_wait_loadcnt 0x0
	v_subrev_nc_u32_e32 v13, s16, v10
	global_load_b64 v[10:11], v[8:9], off
	global_load_b32 v12, v13, s[10:11] scale_offset
	s_wait_loadcnt 0x0
	v_pk_fma_f32 v[0:1], v[10:11], v[12:13], v[0:1] op_sel_hi:[1,0,1]
	s_and_not1_b32 exec_lo, exec_lo, s2
	s_cbranch_execnz .LBB3_15
; %bb.16:
	s_or_b32 exec_lo, exec_lo, s2
.LBB3_17:
	s_delay_alu instid0(SALU_CYCLE_1)
	s_or_b32 exec_lo, exec_lo, s3
.LBB3_18:
	v_mbcnt_lo_u32_b32 v6, -1, 0
	s_mov_b32 s2, -1
	s_delay_alu instid0(VALU_DEP_1) | instskip(SKIP_1) | instid1(VALU_DEP_1)
	v_xor_b32_e32 v7, 8, v6
	v_xor_b32_e32 v4, 16, v6
	v_cmp_gt_i32_e32 vcc_lo, 32, v4
	v_cndmask_b32_e32 v4, v6, v4, vcc_lo
	s_delay_alu instid0(VALU_DEP_4) | instskip(SKIP_1) | instid1(VALU_DEP_1)
	v_cmp_gt_i32_e32 vcc_lo, 32, v7
	v_cndmask_b32_e32 v7, v6, v7, vcc_lo
	v_dual_lshlrev_b32 v7, 2, v7 :: v_dual_lshlrev_b32 v5, 2, v4
	ds_bpermute_b32 v4, v5, v0
	ds_bpermute_b32 v5, v5, v1
	s_wait_dscnt 0x0
	v_pk_add_f32 v[0:1], v[0:1], v[4:5]
	ds_bpermute_b32 v4, v7, v0
	ds_bpermute_b32 v5, v7, v1
	v_xor_b32_e32 v7, 4, v6
	s_delay_alu instid0(VALU_DEP_1) | instskip(SKIP_1) | instid1(VALU_DEP_1)
	v_cmp_gt_i32_e32 vcc_lo, 32, v7
	v_cndmask_b32_e32 v7, v6, v7, vcc_lo
	v_lshlrev_b32_e32 v7, 2, v7
	s_wait_dscnt 0x0
	v_pk_add_f32 v[0:1], v[0:1], v[4:5]
	ds_bpermute_b32 v4, v7, v0
	ds_bpermute_b32 v5, v7, v1
	v_xor_b32_e32 v7, 2, v6
	s_delay_alu instid0(VALU_DEP_1) | instskip(SKIP_1) | instid1(VALU_DEP_1)
	v_cmp_gt_i32_e32 vcc_lo, 32, v7
	v_cndmask_b32_e32 v7, v6, v7, vcc_lo
	v_lshlrev_b32_e32 v7, 2, v7
	s_wait_dscnt 0x0
	v_pk_add_f32 v[0:1], v[0:1], v[4:5]
	ds_bpermute_b32 v4, v7, v0
	ds_bpermute_b32 v5, v7, v1
	v_xor_b32_e32 v7, 1, v6
	s_delay_alu instid0(VALU_DEP_1) | instskip(SKIP_2) | instid1(VALU_DEP_2)
	v_cmp_gt_i32_e32 vcc_lo, 32, v7
	v_cndmask_b32_e32 v6, v6, v7, vcc_lo
	v_cmp_eq_u32_e32 vcc_lo, 31, v3
	v_lshlrev_b32_e32 v6, 2, v6
	s_wait_dscnt 0x0
	v_pk_add_f32 v[0:1], v[0:1], v[4:5]
	ds_bpermute_b32 v4, v6, v0
	ds_bpermute_b32 v5, v6, v1
	s_and_b32 exec_lo, exec_lo, vcc_lo
	s_cbranch_execz .LBB3_23
; %bb.19:
	s_load_b64 s[0:1], s[0:1], 0x38
	s_wait_dscnt 0x0
	v_pk_add_f32 v[0:1], v[0:1], v[4:5]
	v_lshlrev_b32_e32 v2, 1, v2
	s_cmp_eq_f32 s12, 0
	s_cbranch_scc0 .LBB3_21
; %bb.20:
	s_delay_alu instid0(VALU_DEP_1) | instskip(SKIP_3) | instid1(VALU_DEP_2)
	v_ashrrev_i32_e32 v3, 31, v2
	v_pk_mul_f32 v[6:7], s[14:15], v[0:1] op_sel_hi:[0,1]
	s_mov_b32 s2, 0
	s_wait_kmcnt 0x0
	v_lshl_add_u64 v[4:5], v[2:3], 2, s[0:1]
	global_store_b64 v[4:5], v[6:7], off
.LBB3_21:
	s_and_not1_b32 vcc_lo, exec_lo, s2
	s_cbranch_vccnz .LBB3_23
; %bb.22:
	v_ashrrev_i32_e32 v3, 31, v2
	v_pk_mul_f32 v[0:1], s[14:15], v[0:1] op_sel_hi:[0,1]
	s_wait_kmcnt 0x0
	s_delay_alu instid0(VALU_DEP_2)
	v_lshl_add_u64 v[2:3], v[2:3], 2, s[0:1]
	global_load_b64 v[4:5], v[2:3], off
	s_wait_loadcnt 0x0
	v_pk_fma_f32 v[0:1], s[12:13], v[4:5], v[0:1] op_sel_hi:[0,1,1]
	global_store_b64 v[2:3], v[0:1], off
.LBB3_23:
	s_endpgm
	.section	.rodata,"a",@progbits
	.p2align	6, 0x0
	.amdhsa_kernel _ZN9rocsparseL19gebsrmvn_2xn_kernelILj128ELj1ELj32EfEEvi20rocsparse_direction_NS_24const_host_device_scalarIT2_EEPKiS6_PKS3_S8_S4_PS3_21rocsparse_index_base_b
		.amdhsa_group_segment_fixed_size 0
		.amdhsa_private_segment_fixed_size 0
		.amdhsa_kernarg_size 72
		.amdhsa_user_sgpr_count 2
		.amdhsa_user_sgpr_dispatch_ptr 0
		.amdhsa_user_sgpr_queue_ptr 0
		.amdhsa_user_sgpr_kernarg_segment_ptr 1
		.amdhsa_user_sgpr_dispatch_id 0
		.amdhsa_user_sgpr_kernarg_preload_length 0
		.amdhsa_user_sgpr_kernarg_preload_offset 0
		.amdhsa_user_sgpr_private_segment_size 0
		.amdhsa_wavefront_size32 1
		.amdhsa_uses_dynamic_stack 0
		.amdhsa_enable_private_segment 0
		.amdhsa_system_sgpr_workgroup_id_x 1
		.amdhsa_system_sgpr_workgroup_id_y 0
		.amdhsa_system_sgpr_workgroup_id_z 0
		.amdhsa_system_sgpr_workgroup_info 0
		.amdhsa_system_vgpr_workitem_id 0
		.amdhsa_next_free_vgpr 16
		.amdhsa_next_free_sgpr 18
		.amdhsa_named_barrier_count 0
		.amdhsa_reserve_vcc 1
		.amdhsa_float_round_mode_32 0
		.amdhsa_float_round_mode_16_64 0
		.amdhsa_float_denorm_mode_32 3
		.amdhsa_float_denorm_mode_16_64 3
		.amdhsa_fp16_overflow 0
		.amdhsa_memory_ordered 1
		.amdhsa_forward_progress 1
		.amdhsa_inst_pref_size 8
		.amdhsa_round_robin_scheduling 0
		.amdhsa_exception_fp_ieee_invalid_op 0
		.amdhsa_exception_fp_denorm_src 0
		.amdhsa_exception_fp_ieee_div_zero 0
		.amdhsa_exception_fp_ieee_overflow 0
		.amdhsa_exception_fp_ieee_underflow 0
		.amdhsa_exception_fp_ieee_inexact 0
		.amdhsa_exception_int_div_zero 0
	.end_amdhsa_kernel
	.section	.text._ZN9rocsparseL19gebsrmvn_2xn_kernelILj128ELj1ELj32EfEEvi20rocsparse_direction_NS_24const_host_device_scalarIT2_EEPKiS6_PKS3_S8_S4_PS3_21rocsparse_index_base_b,"axG",@progbits,_ZN9rocsparseL19gebsrmvn_2xn_kernelILj128ELj1ELj32EfEEvi20rocsparse_direction_NS_24const_host_device_scalarIT2_EEPKiS6_PKS3_S8_S4_PS3_21rocsparse_index_base_b,comdat
.Lfunc_end3:
	.size	_ZN9rocsparseL19gebsrmvn_2xn_kernelILj128ELj1ELj32EfEEvi20rocsparse_direction_NS_24const_host_device_scalarIT2_EEPKiS6_PKS3_S8_S4_PS3_21rocsparse_index_base_b, .Lfunc_end3-_ZN9rocsparseL19gebsrmvn_2xn_kernelILj128ELj1ELj32EfEEvi20rocsparse_direction_NS_24const_host_device_scalarIT2_EEPKiS6_PKS3_S8_S4_PS3_21rocsparse_index_base_b
                                        ; -- End function
	.set _ZN9rocsparseL19gebsrmvn_2xn_kernelILj128ELj1ELj32EfEEvi20rocsparse_direction_NS_24const_host_device_scalarIT2_EEPKiS6_PKS3_S8_S4_PS3_21rocsparse_index_base_b.num_vgpr, 16
	.set _ZN9rocsparseL19gebsrmvn_2xn_kernelILj128ELj1ELj32EfEEvi20rocsparse_direction_NS_24const_host_device_scalarIT2_EEPKiS6_PKS3_S8_S4_PS3_21rocsparse_index_base_b.num_agpr, 0
	.set _ZN9rocsparseL19gebsrmvn_2xn_kernelILj128ELj1ELj32EfEEvi20rocsparse_direction_NS_24const_host_device_scalarIT2_EEPKiS6_PKS3_S8_S4_PS3_21rocsparse_index_base_b.numbered_sgpr, 18
	.set _ZN9rocsparseL19gebsrmvn_2xn_kernelILj128ELj1ELj32EfEEvi20rocsparse_direction_NS_24const_host_device_scalarIT2_EEPKiS6_PKS3_S8_S4_PS3_21rocsparse_index_base_b.num_named_barrier, 0
	.set _ZN9rocsparseL19gebsrmvn_2xn_kernelILj128ELj1ELj32EfEEvi20rocsparse_direction_NS_24const_host_device_scalarIT2_EEPKiS6_PKS3_S8_S4_PS3_21rocsparse_index_base_b.private_seg_size, 0
	.set _ZN9rocsparseL19gebsrmvn_2xn_kernelILj128ELj1ELj32EfEEvi20rocsparse_direction_NS_24const_host_device_scalarIT2_EEPKiS6_PKS3_S8_S4_PS3_21rocsparse_index_base_b.uses_vcc, 1
	.set _ZN9rocsparseL19gebsrmvn_2xn_kernelILj128ELj1ELj32EfEEvi20rocsparse_direction_NS_24const_host_device_scalarIT2_EEPKiS6_PKS3_S8_S4_PS3_21rocsparse_index_base_b.uses_flat_scratch, 0
	.set _ZN9rocsparseL19gebsrmvn_2xn_kernelILj128ELj1ELj32EfEEvi20rocsparse_direction_NS_24const_host_device_scalarIT2_EEPKiS6_PKS3_S8_S4_PS3_21rocsparse_index_base_b.has_dyn_sized_stack, 0
	.set _ZN9rocsparseL19gebsrmvn_2xn_kernelILj128ELj1ELj32EfEEvi20rocsparse_direction_NS_24const_host_device_scalarIT2_EEPKiS6_PKS3_S8_S4_PS3_21rocsparse_index_base_b.has_recursion, 0
	.set _ZN9rocsparseL19gebsrmvn_2xn_kernelILj128ELj1ELj32EfEEvi20rocsparse_direction_NS_24const_host_device_scalarIT2_EEPKiS6_PKS3_S8_S4_PS3_21rocsparse_index_base_b.has_indirect_call, 0
	.section	.AMDGPU.csdata,"",@progbits
; Kernel info:
; codeLenInByte = 1004
; TotalNumSgprs: 20
; NumVgprs: 16
; ScratchSize: 0
; MemoryBound: 0
; FloatMode: 240
; IeeeMode: 1
; LDSByteSize: 0 bytes/workgroup (compile time only)
; SGPRBlocks: 0
; VGPRBlocks: 0
; NumSGPRsForWavesPerEU: 20
; NumVGPRsForWavesPerEU: 16
; NamedBarCnt: 0
; Occupancy: 16
; WaveLimiterHint : 1
; COMPUTE_PGM_RSRC2:SCRATCH_EN: 0
; COMPUTE_PGM_RSRC2:USER_SGPR: 2
; COMPUTE_PGM_RSRC2:TRAP_HANDLER: 0
; COMPUTE_PGM_RSRC2:TGID_X_EN: 1
; COMPUTE_PGM_RSRC2:TGID_Y_EN: 0
; COMPUTE_PGM_RSRC2:TGID_Z_EN: 0
; COMPUTE_PGM_RSRC2:TIDIG_COMP_CNT: 0
	.section	.text._ZN9rocsparseL19gebsrmvn_2xn_kernelILj128ELj1ELj64EfEEvi20rocsparse_direction_NS_24const_host_device_scalarIT2_EEPKiS6_PKS3_S8_S4_PS3_21rocsparse_index_base_b,"axG",@progbits,_ZN9rocsparseL19gebsrmvn_2xn_kernelILj128ELj1ELj64EfEEvi20rocsparse_direction_NS_24const_host_device_scalarIT2_EEPKiS6_PKS3_S8_S4_PS3_21rocsparse_index_base_b,comdat
	.globl	_ZN9rocsparseL19gebsrmvn_2xn_kernelILj128ELj1ELj64EfEEvi20rocsparse_direction_NS_24const_host_device_scalarIT2_EEPKiS6_PKS3_S8_S4_PS3_21rocsparse_index_base_b ; -- Begin function _ZN9rocsparseL19gebsrmvn_2xn_kernelILj128ELj1ELj64EfEEvi20rocsparse_direction_NS_24const_host_device_scalarIT2_EEPKiS6_PKS3_S8_S4_PS3_21rocsparse_index_base_b
	.p2align	8
	.type	_ZN9rocsparseL19gebsrmvn_2xn_kernelILj128ELj1ELj64EfEEvi20rocsparse_direction_NS_24const_host_device_scalarIT2_EEPKiS6_PKS3_S8_S4_PS3_21rocsparse_index_base_b,@function
_ZN9rocsparseL19gebsrmvn_2xn_kernelILj128ELj1ELj64EfEEvi20rocsparse_direction_NS_24const_host_device_scalarIT2_EEPKiS6_PKS3_S8_S4_PS3_21rocsparse_index_base_b: ; @_ZN9rocsparseL19gebsrmvn_2xn_kernelILj128ELj1ELj64EfEEvi20rocsparse_direction_NS_24const_host_device_scalarIT2_EEPKiS6_PKS3_S8_S4_PS3_21rocsparse_index_base_b
; %bb.0:
	s_clause 0x2
	s_load_b64 s[16:17], s[0:1], 0x40
	s_load_b64 s[14:15], s[0:1], 0x8
	s_load_b64 s[12:13], s[0:1], 0x30
	s_wait_kmcnt 0x0
	s_bitcmp1_b32 s17, 0
	s_cselect_b32 s2, -1, 0
	s_delay_alu instid0(SALU_CYCLE_1)
	s_and_b32 vcc_lo, exec_lo, s2
	s_xor_b32 s2, s2, -1
	s_cbranch_vccnz .LBB4_2
; %bb.1:
	s_load_b32 s14, s[14:15], 0x0
.LBB4_2:
	s_and_not1_b32 vcc_lo, exec_lo, s2
	s_cbranch_vccnz .LBB4_4
; %bb.3:
	s_load_b32 s12, s[12:13], 0x0
.LBB4_4:
	s_wait_kmcnt 0x0
	s_cmp_eq_f32 s14, 0
	s_cselect_b32 s2, -1, 0
	s_cmp_eq_f32 s12, 1.0
	s_cselect_b32 s3, -1, 0
	s_delay_alu instid0(SALU_CYCLE_1) | instskip(NEXT) | instid1(SALU_CYCLE_1)
	s_and_b32 s2, s2, s3
	s_and_b32 vcc_lo, exec_lo, s2
	s_cbranch_vccnz .LBB4_23
; %bb.5:
	s_load_b64 s[2:3], s[0:1], 0x0
	s_bfe_u32 s4, ttmp6, 0x4000c
	s_and_b32 s5, ttmp6, 15
	s_add_co_i32 s4, s4, 1
	s_getreg_b32 s6, hwreg(HW_REG_IB_STS2, 6, 4)
	s_mul_i32 s4, ttmp9, s4
	v_lshrrev_b32_e32 v1, 6, v0
	s_add_co_i32 s5, s5, s4
	s_cmp_eq_u32 s6, 0
	s_cselect_b32 s4, ttmp9, s5
	s_delay_alu instid0(VALU_DEP_1) | instid1(SALU_CYCLE_1)
	v_lshl_or_b32 v2, s4, 1, v1
	s_wait_kmcnt 0x0
	s_delay_alu instid0(VALU_DEP_1)
	v_cmp_gt_i32_e32 vcc_lo, s2, v2
	s_and_saveexec_b32 s2, vcc_lo
	s_cbranch_execz .LBB4_23
; %bb.6:
	s_load_b256 s[4:11], s[0:1], 0x10
	v_ashrrev_i32_e32 v3, 31, v2
	s_cmp_lg_u32 s3, 0
	s_wait_kmcnt 0x0
	s_delay_alu instid0(VALU_DEP_1)
	v_lshl_add_u64 v[4:5], v[2:3], 2, s[4:5]
	v_and_b32_e32 v3, 63, v0
	global_load_b64 v[4:5], v[4:5], off
	s_wait_loadcnt 0x0
	v_subrev_nc_u32_e32 v0, s16, v4
	v_subrev_nc_u32_e32 v6, s16, v5
	s_delay_alu instid0(VALU_DEP_2) | instskip(NEXT) | instid1(VALU_DEP_1)
	v_add_nc_u32_e32 v7, v0, v3
	v_cmp_lt_i32_e64 s2, v7, v6
	s_cbranch_scc0 .LBB4_12
; %bb.7:
	v_mov_b32_e32 v1, 0
	s_delay_alu instid0(VALU_DEP_1)
	v_mov_b32_e32 v0, v1
	s_and_saveexec_b32 s3, s2
	s_cbranch_execz .LBB4_11
; %bb.8:
	v_dual_mov_b32 v5, 0 :: v_dual_lshlrev_b32 v4, 1, v7
	v_mov_b32_e32 v8, v7
	s_mov_b32 s4, 0
	s_delay_alu instid0(VALU_DEP_2)
	v_dual_mov_b32 v0, v5 :: v_dual_mov_b32 v1, v5
.LBB4_9:                                ; =>This Inner Loop Header: Depth=1
	global_load_b32 v9, v8, s[6:7] scale_offset
	v_lshl_add_u64 v[10:11], v[4:5], 2, s[8:9]
	s_wait_xcnt 0x0
	v_add_nc_u32_e32 v8, 64, v8
	v_add_nc_u32_e32 v4, 0x80, v4
	s_delay_alu instid0(VALU_DEP_2)
	v_cmp_ge_i32_e32 vcc_lo, v8, v6
	s_or_b32 s4, vcc_lo, s4
	s_wait_loadcnt 0x0
	v_subrev_nc_u32_e32 v9, s16, v9
	global_load_b64 v[12:13], v[10:11], off
	global_load_b32 v14, v9, s[10:11] scale_offset
	s_wait_loadcnt 0x0
	v_pk_fma_f32 v[0:1], v[12:13], v[14:15], v[0:1] op_sel_hi:[1,0,1]
	s_and_not1_b32 exec_lo, exec_lo, s4
	s_cbranch_execnz .LBB4_9
; %bb.10:
	s_or_b32 exec_lo, exec_lo, s4
.LBB4_11:
	s_delay_alu instid0(SALU_CYCLE_1)
	s_or_b32 exec_lo, exec_lo, s3
	s_cbranch_execz .LBB4_13
	s_branch .LBB4_18
.LBB4_12:
                                        ; implicit-def: $vgpr1
.LBB4_13:
	v_mov_b32_e32 v1, 0
	s_delay_alu instid0(VALU_DEP_1)
	v_mov_b32_e32 v0, v1
	s_and_saveexec_b32 s3, s2
	s_cbranch_execz .LBB4_17
; %bb.14:
	v_dual_mov_b32 v5, 0 :: v_dual_lshlrev_b32 v4, 1, v7
	s_mov_b32 s2, 0
	s_delay_alu instid0(VALU_DEP_1)
	v_dual_mov_b32 v0, v5 :: v_dual_mov_b32 v1, v5
.LBB4_15:                               ; =>This Inner Loop Header: Depth=1
	global_load_b32 v10, v7, s[6:7] scale_offset
	v_lshl_add_u64 v[8:9], v[4:5], 2, s[8:9]
	s_wait_xcnt 0x0
	v_add_nc_u32_e32 v7, 64, v7
	v_add_nc_u32_e32 v4, 0x80, v4
	s_delay_alu instid0(VALU_DEP_2)
	v_cmp_ge_i32_e32 vcc_lo, v7, v6
	s_or_b32 s2, vcc_lo, s2
	s_wait_loadcnt 0x0
	v_subrev_nc_u32_e32 v13, s16, v10
	global_load_b64 v[10:11], v[8:9], off
	global_load_b32 v12, v13, s[10:11] scale_offset
	s_wait_loadcnt 0x0
	v_pk_fma_f32 v[0:1], v[10:11], v[12:13], v[0:1] op_sel_hi:[1,0,1]
	s_and_not1_b32 exec_lo, exec_lo, s2
	s_cbranch_execnz .LBB4_15
; %bb.16:
	s_or_b32 exec_lo, exec_lo, s2
.LBB4_17:
	s_delay_alu instid0(SALU_CYCLE_1)
	s_or_b32 exec_lo, exec_lo, s3
.LBB4_18:
	v_mbcnt_lo_u32_b32 v6, -1, 0
	s_mov_b32 s2, -1
	s_delay_alu instid0(VALU_DEP_1) | instskip(SKIP_1) | instid1(VALU_DEP_1)
	v_xor_b32_e32 v7, 16, v6
	v_or_b32_e32 v4, 32, v6
	v_cmp_gt_i32_e32 vcc_lo, 32, v4
	v_cndmask_b32_e32 v4, v6, v4, vcc_lo
	s_delay_alu instid0(VALU_DEP_4) | instskip(SKIP_1) | instid1(VALU_DEP_1)
	v_cmp_gt_i32_e32 vcc_lo, 32, v7
	v_cndmask_b32_e32 v7, v6, v7, vcc_lo
	v_dual_lshlrev_b32 v7, 2, v7 :: v_dual_lshlrev_b32 v5, 2, v4
	ds_bpermute_b32 v4, v5, v0
	ds_bpermute_b32 v5, v5, v1
	s_wait_dscnt 0x0
	v_pk_add_f32 v[0:1], v[0:1], v[4:5]
	ds_bpermute_b32 v4, v7, v0
	ds_bpermute_b32 v5, v7, v1
	v_xor_b32_e32 v7, 8, v6
	s_delay_alu instid0(VALU_DEP_1) | instskip(SKIP_1) | instid1(VALU_DEP_1)
	v_cmp_gt_i32_e32 vcc_lo, 32, v7
	v_cndmask_b32_e32 v7, v6, v7, vcc_lo
	v_lshlrev_b32_e32 v7, 2, v7
	s_wait_dscnt 0x0
	v_pk_add_f32 v[0:1], v[0:1], v[4:5]
	ds_bpermute_b32 v4, v7, v0
	ds_bpermute_b32 v5, v7, v1
	v_xor_b32_e32 v7, 4, v6
	s_delay_alu instid0(VALU_DEP_1) | instskip(SKIP_1) | instid1(VALU_DEP_1)
	v_cmp_gt_i32_e32 vcc_lo, 32, v7
	v_cndmask_b32_e32 v7, v6, v7, vcc_lo
	v_lshlrev_b32_e32 v7, 2, v7
	;; [unrolled: 9-line block ×3, first 2 shown]
	s_wait_dscnt 0x0
	v_pk_add_f32 v[0:1], v[0:1], v[4:5]
	ds_bpermute_b32 v4, v7, v0
	ds_bpermute_b32 v5, v7, v1
	v_xor_b32_e32 v7, 1, v6
	s_delay_alu instid0(VALU_DEP_1) | instskip(SKIP_2) | instid1(VALU_DEP_2)
	v_cmp_gt_i32_e32 vcc_lo, 32, v7
	v_cndmask_b32_e32 v6, v6, v7, vcc_lo
	v_cmp_eq_u32_e32 vcc_lo, 63, v3
	v_lshlrev_b32_e32 v6, 2, v6
	s_wait_dscnt 0x0
	v_pk_add_f32 v[0:1], v[0:1], v[4:5]
	ds_bpermute_b32 v4, v6, v0
	ds_bpermute_b32 v5, v6, v1
	s_and_b32 exec_lo, exec_lo, vcc_lo
	s_cbranch_execz .LBB4_23
; %bb.19:
	s_load_b64 s[0:1], s[0:1], 0x38
	s_wait_dscnt 0x0
	v_pk_add_f32 v[0:1], v[0:1], v[4:5]
	v_lshlrev_b32_e32 v2, 1, v2
	s_cmp_eq_f32 s12, 0
	s_cbranch_scc0 .LBB4_21
; %bb.20:
	s_delay_alu instid0(VALU_DEP_1) | instskip(SKIP_3) | instid1(VALU_DEP_2)
	v_ashrrev_i32_e32 v3, 31, v2
	v_pk_mul_f32 v[6:7], s[14:15], v[0:1] op_sel_hi:[0,1]
	s_mov_b32 s2, 0
	s_wait_kmcnt 0x0
	v_lshl_add_u64 v[4:5], v[2:3], 2, s[0:1]
	global_store_b64 v[4:5], v[6:7], off
.LBB4_21:
	s_and_not1_b32 vcc_lo, exec_lo, s2
	s_cbranch_vccnz .LBB4_23
; %bb.22:
	v_ashrrev_i32_e32 v3, 31, v2
	v_pk_mul_f32 v[0:1], s[14:15], v[0:1] op_sel_hi:[0,1]
	s_wait_kmcnt 0x0
	s_delay_alu instid0(VALU_DEP_2)
	v_lshl_add_u64 v[2:3], v[2:3], 2, s[0:1]
	global_load_b64 v[4:5], v[2:3], off
	s_wait_loadcnt 0x0
	v_pk_fma_f32 v[0:1], s[12:13], v[4:5], v[0:1] op_sel_hi:[0,1,1]
	global_store_b64 v[2:3], v[0:1], off
.LBB4_23:
	s_endpgm
	.section	.rodata,"a",@progbits
	.p2align	6, 0x0
	.amdhsa_kernel _ZN9rocsparseL19gebsrmvn_2xn_kernelILj128ELj1ELj64EfEEvi20rocsparse_direction_NS_24const_host_device_scalarIT2_EEPKiS6_PKS3_S8_S4_PS3_21rocsparse_index_base_b
		.amdhsa_group_segment_fixed_size 0
		.amdhsa_private_segment_fixed_size 0
		.amdhsa_kernarg_size 72
		.amdhsa_user_sgpr_count 2
		.amdhsa_user_sgpr_dispatch_ptr 0
		.amdhsa_user_sgpr_queue_ptr 0
		.amdhsa_user_sgpr_kernarg_segment_ptr 1
		.amdhsa_user_sgpr_dispatch_id 0
		.amdhsa_user_sgpr_kernarg_preload_length 0
		.amdhsa_user_sgpr_kernarg_preload_offset 0
		.amdhsa_user_sgpr_private_segment_size 0
		.amdhsa_wavefront_size32 1
		.amdhsa_uses_dynamic_stack 0
		.amdhsa_enable_private_segment 0
		.amdhsa_system_sgpr_workgroup_id_x 1
		.amdhsa_system_sgpr_workgroup_id_y 0
		.amdhsa_system_sgpr_workgroup_id_z 0
		.amdhsa_system_sgpr_workgroup_info 0
		.amdhsa_system_vgpr_workitem_id 0
		.amdhsa_next_free_vgpr 16
		.amdhsa_next_free_sgpr 18
		.amdhsa_named_barrier_count 0
		.amdhsa_reserve_vcc 1
		.amdhsa_float_round_mode_32 0
		.amdhsa_float_round_mode_16_64 0
		.amdhsa_float_denorm_mode_32 3
		.amdhsa_float_denorm_mode_16_64 3
		.amdhsa_fp16_overflow 0
		.amdhsa_memory_ordered 1
		.amdhsa_forward_progress 1
		.amdhsa_inst_pref_size 9
		.amdhsa_round_robin_scheduling 0
		.amdhsa_exception_fp_ieee_invalid_op 0
		.amdhsa_exception_fp_denorm_src 0
		.amdhsa_exception_fp_ieee_div_zero 0
		.amdhsa_exception_fp_ieee_overflow 0
		.amdhsa_exception_fp_ieee_underflow 0
		.amdhsa_exception_fp_ieee_inexact 0
		.amdhsa_exception_int_div_zero 0
	.end_amdhsa_kernel
	.section	.text._ZN9rocsparseL19gebsrmvn_2xn_kernelILj128ELj1ELj64EfEEvi20rocsparse_direction_NS_24const_host_device_scalarIT2_EEPKiS6_PKS3_S8_S4_PS3_21rocsparse_index_base_b,"axG",@progbits,_ZN9rocsparseL19gebsrmvn_2xn_kernelILj128ELj1ELj64EfEEvi20rocsparse_direction_NS_24const_host_device_scalarIT2_EEPKiS6_PKS3_S8_S4_PS3_21rocsparse_index_base_b,comdat
.Lfunc_end4:
	.size	_ZN9rocsparseL19gebsrmvn_2xn_kernelILj128ELj1ELj64EfEEvi20rocsparse_direction_NS_24const_host_device_scalarIT2_EEPKiS6_PKS3_S8_S4_PS3_21rocsparse_index_base_b, .Lfunc_end4-_ZN9rocsparseL19gebsrmvn_2xn_kernelILj128ELj1ELj64EfEEvi20rocsparse_direction_NS_24const_host_device_scalarIT2_EEPKiS6_PKS3_S8_S4_PS3_21rocsparse_index_base_b
                                        ; -- End function
	.set _ZN9rocsparseL19gebsrmvn_2xn_kernelILj128ELj1ELj64EfEEvi20rocsparse_direction_NS_24const_host_device_scalarIT2_EEPKiS6_PKS3_S8_S4_PS3_21rocsparse_index_base_b.num_vgpr, 16
	.set _ZN9rocsparseL19gebsrmvn_2xn_kernelILj128ELj1ELj64EfEEvi20rocsparse_direction_NS_24const_host_device_scalarIT2_EEPKiS6_PKS3_S8_S4_PS3_21rocsparse_index_base_b.num_agpr, 0
	.set _ZN9rocsparseL19gebsrmvn_2xn_kernelILj128ELj1ELj64EfEEvi20rocsparse_direction_NS_24const_host_device_scalarIT2_EEPKiS6_PKS3_S8_S4_PS3_21rocsparse_index_base_b.numbered_sgpr, 18
	.set _ZN9rocsparseL19gebsrmvn_2xn_kernelILj128ELj1ELj64EfEEvi20rocsparse_direction_NS_24const_host_device_scalarIT2_EEPKiS6_PKS3_S8_S4_PS3_21rocsparse_index_base_b.num_named_barrier, 0
	.set _ZN9rocsparseL19gebsrmvn_2xn_kernelILj128ELj1ELj64EfEEvi20rocsparse_direction_NS_24const_host_device_scalarIT2_EEPKiS6_PKS3_S8_S4_PS3_21rocsparse_index_base_b.private_seg_size, 0
	.set _ZN9rocsparseL19gebsrmvn_2xn_kernelILj128ELj1ELj64EfEEvi20rocsparse_direction_NS_24const_host_device_scalarIT2_EEPKiS6_PKS3_S8_S4_PS3_21rocsparse_index_base_b.uses_vcc, 1
	.set _ZN9rocsparseL19gebsrmvn_2xn_kernelILj128ELj1ELj64EfEEvi20rocsparse_direction_NS_24const_host_device_scalarIT2_EEPKiS6_PKS3_S8_S4_PS3_21rocsparse_index_base_b.uses_flat_scratch, 0
	.set _ZN9rocsparseL19gebsrmvn_2xn_kernelILj128ELj1ELj64EfEEvi20rocsparse_direction_NS_24const_host_device_scalarIT2_EEPKiS6_PKS3_S8_S4_PS3_21rocsparse_index_base_b.has_dyn_sized_stack, 0
	.set _ZN9rocsparseL19gebsrmvn_2xn_kernelILj128ELj1ELj64EfEEvi20rocsparse_direction_NS_24const_host_device_scalarIT2_EEPKiS6_PKS3_S8_S4_PS3_21rocsparse_index_base_b.has_recursion, 0
	.set _ZN9rocsparseL19gebsrmvn_2xn_kernelILj128ELj1ELj64EfEEvi20rocsparse_direction_NS_24const_host_device_scalarIT2_EEPKiS6_PKS3_S8_S4_PS3_21rocsparse_index_base_b.has_indirect_call, 0
	.section	.AMDGPU.csdata,"",@progbits
; Kernel info:
; codeLenInByte = 1056
; TotalNumSgprs: 20
; NumVgprs: 16
; ScratchSize: 0
; MemoryBound: 0
; FloatMode: 240
; IeeeMode: 1
; LDSByteSize: 0 bytes/workgroup (compile time only)
; SGPRBlocks: 0
; VGPRBlocks: 0
; NumSGPRsForWavesPerEU: 20
; NumVGPRsForWavesPerEU: 16
; NamedBarCnt: 0
; Occupancy: 16
; WaveLimiterHint : 1
; COMPUTE_PGM_RSRC2:SCRATCH_EN: 0
; COMPUTE_PGM_RSRC2:USER_SGPR: 2
; COMPUTE_PGM_RSRC2:TRAP_HANDLER: 0
; COMPUTE_PGM_RSRC2:TGID_X_EN: 1
; COMPUTE_PGM_RSRC2:TGID_Y_EN: 0
; COMPUTE_PGM_RSRC2:TGID_Z_EN: 0
; COMPUTE_PGM_RSRC2:TIDIG_COMP_CNT: 0
	.section	.text._ZN9rocsparseL19gebsrmvn_2xn_kernelILj128ELj3ELj4EfEEvi20rocsparse_direction_NS_24const_host_device_scalarIT2_EEPKiS6_PKS3_S8_S4_PS3_21rocsparse_index_base_b,"axG",@progbits,_ZN9rocsparseL19gebsrmvn_2xn_kernelILj128ELj3ELj4EfEEvi20rocsparse_direction_NS_24const_host_device_scalarIT2_EEPKiS6_PKS3_S8_S4_PS3_21rocsparse_index_base_b,comdat
	.globl	_ZN9rocsparseL19gebsrmvn_2xn_kernelILj128ELj3ELj4EfEEvi20rocsparse_direction_NS_24const_host_device_scalarIT2_EEPKiS6_PKS3_S8_S4_PS3_21rocsparse_index_base_b ; -- Begin function _ZN9rocsparseL19gebsrmvn_2xn_kernelILj128ELj3ELj4EfEEvi20rocsparse_direction_NS_24const_host_device_scalarIT2_EEPKiS6_PKS3_S8_S4_PS3_21rocsparse_index_base_b
	.p2align	8
	.type	_ZN9rocsparseL19gebsrmvn_2xn_kernelILj128ELj3ELj4EfEEvi20rocsparse_direction_NS_24const_host_device_scalarIT2_EEPKiS6_PKS3_S8_S4_PS3_21rocsparse_index_base_b,@function
_ZN9rocsparseL19gebsrmvn_2xn_kernelILj128ELj3ELj4EfEEvi20rocsparse_direction_NS_24const_host_device_scalarIT2_EEPKiS6_PKS3_S8_S4_PS3_21rocsparse_index_base_b: ; @_ZN9rocsparseL19gebsrmvn_2xn_kernelILj128ELj3ELj4EfEEvi20rocsparse_direction_NS_24const_host_device_scalarIT2_EEPKiS6_PKS3_S8_S4_PS3_21rocsparse_index_base_b
; %bb.0:
	s_clause 0x2
	s_load_b64 s[16:17], s[0:1], 0x40
	s_load_b64 s[14:15], s[0:1], 0x8
	;; [unrolled: 1-line block ×3, first 2 shown]
	s_wait_kmcnt 0x0
	s_bitcmp1_b32 s17, 0
	s_cselect_b32 s2, -1, 0
	s_delay_alu instid0(SALU_CYCLE_1)
	s_and_b32 vcc_lo, exec_lo, s2
	s_xor_b32 s2, s2, -1
	s_cbranch_vccnz .LBB5_2
; %bb.1:
	s_load_b32 s14, s[14:15], 0x0
.LBB5_2:
	s_and_not1_b32 vcc_lo, exec_lo, s2
	s_cbranch_vccnz .LBB5_4
; %bb.3:
	s_load_b32 s12, s[12:13], 0x0
.LBB5_4:
	s_wait_kmcnt 0x0
	s_cmp_eq_f32 s14, 0
	s_cselect_b32 s2, -1, 0
	s_cmp_eq_f32 s12, 1.0
	s_cselect_b32 s3, -1, 0
	s_delay_alu instid0(SALU_CYCLE_1) | instskip(NEXT) | instid1(SALU_CYCLE_1)
	s_and_b32 s2, s2, s3
	s_and_b32 vcc_lo, exec_lo, s2
	s_cbranch_vccnz .LBB5_23
; %bb.5:
	s_load_b64 s[2:3], s[0:1], 0x0
	s_bfe_u32 s4, ttmp6, 0x4000c
	s_and_b32 s5, ttmp6, 15
	s_add_co_i32 s4, s4, 1
	s_getreg_b32 s6, hwreg(HW_REG_IB_STS2, 6, 4)
	s_mul_i32 s4, ttmp9, s4
	v_lshrrev_b32_e32 v1, 2, v0
	s_add_co_i32 s5, s5, s4
	s_cmp_eq_u32 s6, 0
	s_cselect_b32 s4, ttmp9, s5
	s_delay_alu instid0(VALU_DEP_1) | instid1(SALU_CYCLE_1)
	v_lshl_or_b32 v2, s4, 5, v1
	s_wait_kmcnt 0x0
	s_delay_alu instid0(VALU_DEP_1)
	v_cmp_gt_i32_e32 vcc_lo, s2, v2
	s_and_saveexec_b32 s2, vcc_lo
	s_cbranch_execz .LBB5_23
; %bb.6:
	s_load_b256 s[4:11], s[0:1], 0x10
	v_ashrrev_i32_e32 v3, 31, v2
	s_cmp_lg_u32 s3, 0
	s_wait_kmcnt 0x0
	s_delay_alu instid0(VALU_DEP_1)
	v_lshl_add_u64 v[4:5], v[2:3], 2, s[4:5]
	v_and_b32_e32 v3, 3, v0
	global_load_b64 v[4:5], v[4:5], off
	s_wait_loadcnt 0x0
	v_subrev_nc_u32_e32 v0, s16, v4
	v_subrev_nc_u32_e32 v6, s16, v5
	s_delay_alu instid0(VALU_DEP_2) | instskip(NEXT) | instid1(VALU_DEP_1)
	v_add_nc_u32_e32 v7, v0, v3
	v_cmp_lt_i32_e64 s2, v7, v6
	s_cbranch_scc0 .LBB5_12
; %bb.7:
	v_mov_b32_e32 v1, 0
	s_delay_alu instid0(VALU_DEP_1)
	v_mov_b32_e32 v0, v1
	s_and_saveexec_b32 s3, s2
	s_cbranch_execz .LBB5_11
; %bb.8:
	v_mul_lo_u32 v4, v7, 6
	v_dual_mov_b32 v5, 0 :: v_dual_mov_b32 v8, v7
	s_mov_b32 s4, 0
	s_delay_alu instid0(VALU_DEP_1)
	v_dual_mov_b32 v0, v5 :: v_dual_mov_b32 v1, v5
.LBB5_9:                                ; =>This Inner Loop Header: Depth=1
	global_load_b32 v9, v8, s[6:7] scale_offset
	v_lshl_add_u64 v[10:11], v[4:5], 2, s[8:9]
	v_dual_mov_b32 v13, v5 :: v_dual_add_nc_u32 v12, 2, v4
	v_dual_mov_b32 v15, v5 :: v_dual_add_nc_u32 v14, 4, v4
	global_load_b64 v[10:11], v[10:11], off
	s_wait_xcnt 0x1
	v_add_nc_u32_e32 v8, 4, v8
	v_lshl_add_u64 v[12:13], v[12:13], 2, s[8:9]
	v_add_nc_u32_e32 v4, 24, v4
	v_lshl_add_u64 v[14:15], v[14:15], 2, s[8:9]
	s_delay_alu instid0(VALU_DEP_4) | instskip(SKIP_4) | instid1(VALU_DEP_1)
	v_cmp_ge_i32_e32 vcc_lo, v8, v6
	global_load_b64 v[12:13], v[12:13], off
	s_or_b32 s4, vcc_lo, s4
	s_wait_loadcnt 0x2
	v_subrev_nc_u32_e32 v9, s16, v9
	v_lshl_add_u32 v9, v9, 1, v9
	global_load_b32 v16, v9, s[10:11] scale_offset
	s_wait_xcnt 0x0
	v_dual_add_nc_u32 v17, 1, v9 :: v_dual_add_nc_u32 v9, 2, v9
	global_load_b32 v18, v17, s[10:11] scale_offset
	global_load_b64 v[20:21], v[14:15], off
	global_load_b32 v22, v9, s[10:11] scale_offset
	s_wait_loadcnt 0x3
	v_pk_fma_f32 v[0:1], v[10:11], v[16:17], v[0:1] op_sel_hi:[1,0,1]
	s_wait_loadcnt 0x2
	s_delay_alu instid0(VALU_DEP_1) | instskip(SKIP_1) | instid1(VALU_DEP_1)
	v_pk_fma_f32 v[0:1], v[12:13], v[18:19], v[0:1] op_sel_hi:[1,0,1]
	s_wait_loadcnt 0x0
	v_pk_fma_f32 v[0:1], v[20:21], v[22:23], v[0:1] op_sel_hi:[1,0,1]
	s_and_not1_b32 exec_lo, exec_lo, s4
	s_cbranch_execnz .LBB5_9
; %bb.10:
	s_or_b32 exec_lo, exec_lo, s4
.LBB5_11:
	s_delay_alu instid0(SALU_CYCLE_1)
	s_or_b32 exec_lo, exec_lo, s3
	s_cbranch_execz .LBB5_13
	s_branch .LBB5_18
.LBB5_12:
                                        ; implicit-def: $vgpr1
.LBB5_13:
	v_mov_b32_e32 v1, 0
	s_delay_alu instid0(VALU_DEP_1)
	v_mov_b32_e32 v0, v1
	s_and_saveexec_b32 s3, s2
	s_cbranch_execz .LBB5_17
; %bb.14:
	v_mad_u32 v8, v7, 6, 5
	v_mov_b32_e32 v5, 0
	s_mov_b32 s2, 0
	s_delay_alu instid0(VALU_DEP_1)
	v_dual_mov_b32 v0, v5 :: v_dual_mov_b32 v1, v5
.LBB5_15:                               ; =>This Inner Loop Header: Depth=1
	global_load_b32 v9, v7, s[6:7] scale_offset
	v_dual_add_nc_u32 v4, -5, v8 :: v_dual_add_nc_u32 v14, -1, v8
	s_wait_xcnt 0x0
	v_dual_add_nc_u32 v17, -3, v8 :: v_dual_add_nc_u32 v7, 4, v7
	s_delay_alu instid0(VALU_DEP_2) | instskip(SKIP_4) | instid1(VALU_DEP_2)
	v_lshl_add_u64 v[10:11], v[4:5], 2, s[8:9]
	global_load_b64 v[10:11], v[10:11], off
	s_wait_loadcnt 0x1
	v_subrev_nc_u32_e32 v4, s16, v9
	v_add_nc_u32_e32 v9, -2, v8
	v_lshl_add_u32 v12, v4, 1, v4
	global_load_b32 v13, v9, s[8:9] scale_offset
	global_load_b32 v4, v12, s[10:11] scale_offset
	s_wait_xcnt 0x0
	v_dual_add_nc_u32 v9, 1, v12 :: v_dual_add_nc_u32 v12, 2, v12
	global_load_b32 v15, v14, s[8:9] scale_offset
	global_load_b32 v16, v9, s[10:11] scale_offset
	s_clause 0x1
	global_load_b32 v19, v8, s[8:9] scale_offset
	global_load_b32 v18, v17, s[8:9] scale_offset
	;; [unrolled: 1-line block ×3, first 2 shown]
	s_wait_loadcnt 0x7
	s_wait_xcnt 0x0
	v_dual_mov_b32 v12, v10 :: v_dual_mov_b32 v14, v11
	v_add_nc_u32_e32 v8, 24, v8
	v_cmp_ge_i32_e32 vcc_lo, v7, v6
	s_or_b32 s2, vcc_lo, s2
	s_wait_loadcnt 0x5
	v_pk_fma_f32 v[0:1], v[12:13], v[4:5], v[0:1] op_sel_hi:[1,0,1]
	s_wait_loadcnt 0x3
	s_delay_alu instid0(VALU_DEP_1) | instskip(SKIP_1) | instid1(VALU_DEP_1)
	v_pk_fma_f32 v[0:1], v[14:15], v[16:17], v[0:1] op_sel_hi:[1,0,1]
	s_wait_loadcnt 0x0
	v_pk_fma_f32 v[0:1], v[18:19], v[20:21], v[0:1] op_sel_hi:[1,0,1]
	s_and_not1_b32 exec_lo, exec_lo, s2
	s_cbranch_execnz .LBB5_15
; %bb.16:
	s_or_b32 exec_lo, exec_lo, s2
.LBB5_17:
	s_delay_alu instid0(SALU_CYCLE_1)
	s_or_b32 exec_lo, exec_lo, s3
.LBB5_18:
	v_mbcnt_lo_u32_b32 v6, -1, 0
	s_mov_b32 s2, -1
	s_delay_alu instid0(VALU_DEP_1) | instskip(SKIP_1) | instid1(VALU_DEP_1)
	v_xor_b32_e32 v7, 1, v6
	v_xor_b32_e32 v4, 2, v6
	v_cmp_gt_i32_e32 vcc_lo, 32, v4
	v_cndmask_b32_e32 v4, v6, v4, vcc_lo
	s_delay_alu instid0(VALU_DEP_4) | instskip(SKIP_2) | instid1(VALU_DEP_2)
	v_cmp_gt_i32_e32 vcc_lo, 32, v7
	v_cndmask_b32_e32 v6, v6, v7, vcc_lo
	v_cmp_eq_u32_e32 vcc_lo, 3, v3
	v_dual_lshlrev_b32 v6, 2, v6 :: v_dual_lshlrev_b32 v5, 2, v4
	ds_bpermute_b32 v4, v5, v0
	ds_bpermute_b32 v5, v5, v1
	s_wait_dscnt 0x0
	v_pk_add_f32 v[0:1], v[0:1], v[4:5]
	ds_bpermute_b32 v4, v6, v0
	ds_bpermute_b32 v5, v6, v1
	s_and_b32 exec_lo, exec_lo, vcc_lo
	s_cbranch_execz .LBB5_23
; %bb.19:
	s_load_b64 s[0:1], s[0:1], 0x38
	s_wait_dscnt 0x0
	v_pk_add_f32 v[0:1], v[0:1], v[4:5]
	v_lshlrev_b32_e32 v2, 1, v2
	s_cmp_eq_f32 s12, 0
	s_cbranch_scc0 .LBB5_21
; %bb.20:
	s_delay_alu instid0(VALU_DEP_1) | instskip(SKIP_3) | instid1(VALU_DEP_2)
	v_ashrrev_i32_e32 v3, 31, v2
	v_pk_mul_f32 v[6:7], s[14:15], v[0:1] op_sel_hi:[0,1]
	s_mov_b32 s2, 0
	s_wait_kmcnt 0x0
	v_lshl_add_u64 v[4:5], v[2:3], 2, s[0:1]
	global_store_b64 v[4:5], v[6:7], off
.LBB5_21:
	s_and_not1_b32 vcc_lo, exec_lo, s2
	s_cbranch_vccnz .LBB5_23
; %bb.22:
	v_ashrrev_i32_e32 v3, 31, v2
	v_pk_mul_f32 v[0:1], s[14:15], v[0:1] op_sel_hi:[0,1]
	s_wait_kmcnt 0x0
	s_delay_alu instid0(VALU_DEP_2)
	v_lshl_add_u64 v[2:3], v[2:3], 2, s[0:1]
	global_load_b64 v[4:5], v[2:3], off
	s_wait_loadcnt 0x0
	v_pk_fma_f32 v[0:1], s[12:13], v[4:5], v[0:1] op_sel_hi:[0,1,1]
	global_store_b64 v[2:3], v[0:1], off
.LBB5_23:
	s_endpgm
	.section	.rodata,"a",@progbits
	.p2align	6, 0x0
	.amdhsa_kernel _ZN9rocsparseL19gebsrmvn_2xn_kernelILj128ELj3ELj4EfEEvi20rocsparse_direction_NS_24const_host_device_scalarIT2_EEPKiS6_PKS3_S8_S4_PS3_21rocsparse_index_base_b
		.amdhsa_group_segment_fixed_size 0
		.amdhsa_private_segment_fixed_size 0
		.amdhsa_kernarg_size 72
		.amdhsa_user_sgpr_count 2
		.amdhsa_user_sgpr_dispatch_ptr 0
		.amdhsa_user_sgpr_queue_ptr 0
		.amdhsa_user_sgpr_kernarg_segment_ptr 1
		.amdhsa_user_sgpr_dispatch_id 0
		.amdhsa_user_sgpr_kernarg_preload_length 0
		.amdhsa_user_sgpr_kernarg_preload_offset 0
		.amdhsa_user_sgpr_private_segment_size 0
		.amdhsa_wavefront_size32 1
		.amdhsa_uses_dynamic_stack 0
		.amdhsa_enable_private_segment 0
		.amdhsa_system_sgpr_workgroup_id_x 1
		.amdhsa_system_sgpr_workgroup_id_y 0
		.amdhsa_system_sgpr_workgroup_id_z 0
		.amdhsa_system_sgpr_workgroup_info 0
		.amdhsa_system_vgpr_workitem_id 0
		.amdhsa_next_free_vgpr 24
		.amdhsa_next_free_sgpr 18
		.amdhsa_named_barrier_count 0
		.amdhsa_reserve_vcc 1
		.amdhsa_float_round_mode_32 0
		.amdhsa_float_round_mode_16_64 0
		.amdhsa_float_denorm_mode_32 3
		.amdhsa_float_denorm_mode_16_64 3
		.amdhsa_fp16_overflow 0
		.amdhsa_memory_ordered 1
		.amdhsa_forward_progress 1
		.amdhsa_inst_pref_size 10
		.amdhsa_round_robin_scheduling 0
		.amdhsa_exception_fp_ieee_invalid_op 0
		.amdhsa_exception_fp_denorm_src 0
		.amdhsa_exception_fp_ieee_div_zero 0
		.amdhsa_exception_fp_ieee_overflow 0
		.amdhsa_exception_fp_ieee_underflow 0
		.amdhsa_exception_fp_ieee_inexact 0
		.amdhsa_exception_int_div_zero 0
	.end_amdhsa_kernel
	.section	.text._ZN9rocsparseL19gebsrmvn_2xn_kernelILj128ELj3ELj4EfEEvi20rocsparse_direction_NS_24const_host_device_scalarIT2_EEPKiS6_PKS3_S8_S4_PS3_21rocsparse_index_base_b,"axG",@progbits,_ZN9rocsparseL19gebsrmvn_2xn_kernelILj128ELj3ELj4EfEEvi20rocsparse_direction_NS_24const_host_device_scalarIT2_EEPKiS6_PKS3_S8_S4_PS3_21rocsparse_index_base_b,comdat
.Lfunc_end5:
	.size	_ZN9rocsparseL19gebsrmvn_2xn_kernelILj128ELj3ELj4EfEEvi20rocsparse_direction_NS_24const_host_device_scalarIT2_EEPKiS6_PKS3_S8_S4_PS3_21rocsparse_index_base_b, .Lfunc_end5-_ZN9rocsparseL19gebsrmvn_2xn_kernelILj128ELj3ELj4EfEEvi20rocsparse_direction_NS_24const_host_device_scalarIT2_EEPKiS6_PKS3_S8_S4_PS3_21rocsparse_index_base_b
                                        ; -- End function
	.set _ZN9rocsparseL19gebsrmvn_2xn_kernelILj128ELj3ELj4EfEEvi20rocsparse_direction_NS_24const_host_device_scalarIT2_EEPKiS6_PKS3_S8_S4_PS3_21rocsparse_index_base_b.num_vgpr, 24
	.set _ZN9rocsparseL19gebsrmvn_2xn_kernelILj128ELj3ELj4EfEEvi20rocsparse_direction_NS_24const_host_device_scalarIT2_EEPKiS6_PKS3_S8_S4_PS3_21rocsparse_index_base_b.num_agpr, 0
	.set _ZN9rocsparseL19gebsrmvn_2xn_kernelILj128ELj3ELj4EfEEvi20rocsparse_direction_NS_24const_host_device_scalarIT2_EEPKiS6_PKS3_S8_S4_PS3_21rocsparse_index_base_b.numbered_sgpr, 18
	.set _ZN9rocsparseL19gebsrmvn_2xn_kernelILj128ELj3ELj4EfEEvi20rocsparse_direction_NS_24const_host_device_scalarIT2_EEPKiS6_PKS3_S8_S4_PS3_21rocsparse_index_base_b.num_named_barrier, 0
	.set _ZN9rocsparseL19gebsrmvn_2xn_kernelILj128ELj3ELj4EfEEvi20rocsparse_direction_NS_24const_host_device_scalarIT2_EEPKiS6_PKS3_S8_S4_PS3_21rocsparse_index_base_b.private_seg_size, 0
	.set _ZN9rocsparseL19gebsrmvn_2xn_kernelILj128ELj3ELj4EfEEvi20rocsparse_direction_NS_24const_host_device_scalarIT2_EEPKiS6_PKS3_S8_S4_PS3_21rocsparse_index_base_b.uses_vcc, 1
	.set _ZN9rocsparseL19gebsrmvn_2xn_kernelILj128ELj3ELj4EfEEvi20rocsparse_direction_NS_24const_host_device_scalarIT2_EEPKiS6_PKS3_S8_S4_PS3_21rocsparse_index_base_b.uses_flat_scratch, 0
	.set _ZN9rocsparseL19gebsrmvn_2xn_kernelILj128ELj3ELj4EfEEvi20rocsparse_direction_NS_24const_host_device_scalarIT2_EEPKiS6_PKS3_S8_S4_PS3_21rocsparse_index_base_b.has_dyn_sized_stack, 0
	.set _ZN9rocsparseL19gebsrmvn_2xn_kernelILj128ELj3ELj4EfEEvi20rocsparse_direction_NS_24const_host_device_scalarIT2_EEPKiS6_PKS3_S8_S4_PS3_21rocsparse_index_base_b.has_recursion, 0
	.set _ZN9rocsparseL19gebsrmvn_2xn_kernelILj128ELj3ELj4EfEEvi20rocsparse_direction_NS_24const_host_device_scalarIT2_EEPKiS6_PKS3_S8_S4_PS3_21rocsparse_index_base_b.has_indirect_call, 0
	.section	.AMDGPU.csdata,"",@progbits
; Kernel info:
; codeLenInByte = 1168
; TotalNumSgprs: 20
; NumVgprs: 24
; ScratchSize: 0
; MemoryBound: 0
; FloatMode: 240
; IeeeMode: 1
; LDSByteSize: 0 bytes/workgroup (compile time only)
; SGPRBlocks: 0
; VGPRBlocks: 1
; NumSGPRsForWavesPerEU: 20
; NumVGPRsForWavesPerEU: 24
; NamedBarCnt: 0
; Occupancy: 16
; WaveLimiterHint : 1
; COMPUTE_PGM_RSRC2:SCRATCH_EN: 0
; COMPUTE_PGM_RSRC2:USER_SGPR: 2
; COMPUTE_PGM_RSRC2:TRAP_HANDLER: 0
; COMPUTE_PGM_RSRC2:TGID_X_EN: 1
; COMPUTE_PGM_RSRC2:TGID_Y_EN: 0
; COMPUTE_PGM_RSRC2:TGID_Z_EN: 0
; COMPUTE_PGM_RSRC2:TIDIG_COMP_CNT: 0
	.section	.text._ZN9rocsparseL19gebsrmvn_2xn_kernelILj128ELj3ELj8EfEEvi20rocsparse_direction_NS_24const_host_device_scalarIT2_EEPKiS6_PKS3_S8_S4_PS3_21rocsparse_index_base_b,"axG",@progbits,_ZN9rocsparseL19gebsrmvn_2xn_kernelILj128ELj3ELj8EfEEvi20rocsparse_direction_NS_24const_host_device_scalarIT2_EEPKiS6_PKS3_S8_S4_PS3_21rocsparse_index_base_b,comdat
	.globl	_ZN9rocsparseL19gebsrmvn_2xn_kernelILj128ELj3ELj8EfEEvi20rocsparse_direction_NS_24const_host_device_scalarIT2_EEPKiS6_PKS3_S8_S4_PS3_21rocsparse_index_base_b ; -- Begin function _ZN9rocsparseL19gebsrmvn_2xn_kernelILj128ELj3ELj8EfEEvi20rocsparse_direction_NS_24const_host_device_scalarIT2_EEPKiS6_PKS3_S8_S4_PS3_21rocsparse_index_base_b
	.p2align	8
	.type	_ZN9rocsparseL19gebsrmvn_2xn_kernelILj128ELj3ELj8EfEEvi20rocsparse_direction_NS_24const_host_device_scalarIT2_EEPKiS6_PKS3_S8_S4_PS3_21rocsparse_index_base_b,@function
_ZN9rocsparseL19gebsrmvn_2xn_kernelILj128ELj3ELj8EfEEvi20rocsparse_direction_NS_24const_host_device_scalarIT2_EEPKiS6_PKS3_S8_S4_PS3_21rocsparse_index_base_b: ; @_ZN9rocsparseL19gebsrmvn_2xn_kernelILj128ELj3ELj8EfEEvi20rocsparse_direction_NS_24const_host_device_scalarIT2_EEPKiS6_PKS3_S8_S4_PS3_21rocsparse_index_base_b
; %bb.0:
	s_clause 0x2
	s_load_b64 s[16:17], s[0:1], 0x40
	s_load_b64 s[14:15], s[0:1], 0x8
	;; [unrolled: 1-line block ×3, first 2 shown]
	s_wait_kmcnt 0x0
	s_bitcmp1_b32 s17, 0
	s_cselect_b32 s2, -1, 0
	s_delay_alu instid0(SALU_CYCLE_1)
	s_and_b32 vcc_lo, exec_lo, s2
	s_xor_b32 s2, s2, -1
	s_cbranch_vccnz .LBB6_2
; %bb.1:
	s_load_b32 s14, s[14:15], 0x0
.LBB6_2:
	s_and_not1_b32 vcc_lo, exec_lo, s2
	s_cbranch_vccnz .LBB6_4
; %bb.3:
	s_load_b32 s12, s[12:13], 0x0
.LBB6_4:
	s_wait_kmcnt 0x0
	s_cmp_eq_f32 s14, 0
	s_cselect_b32 s2, -1, 0
	s_cmp_eq_f32 s12, 1.0
	s_cselect_b32 s3, -1, 0
	s_delay_alu instid0(SALU_CYCLE_1) | instskip(NEXT) | instid1(SALU_CYCLE_1)
	s_and_b32 s2, s2, s3
	s_and_b32 vcc_lo, exec_lo, s2
	s_cbranch_vccnz .LBB6_23
; %bb.5:
	s_load_b64 s[2:3], s[0:1], 0x0
	s_bfe_u32 s4, ttmp6, 0x4000c
	s_and_b32 s5, ttmp6, 15
	s_add_co_i32 s4, s4, 1
	s_getreg_b32 s6, hwreg(HW_REG_IB_STS2, 6, 4)
	s_mul_i32 s4, ttmp9, s4
	v_lshrrev_b32_e32 v1, 3, v0
	s_add_co_i32 s5, s5, s4
	s_cmp_eq_u32 s6, 0
	s_cselect_b32 s4, ttmp9, s5
	s_delay_alu instid0(VALU_DEP_1) | instid1(SALU_CYCLE_1)
	v_lshl_or_b32 v2, s4, 4, v1
	s_wait_kmcnt 0x0
	s_delay_alu instid0(VALU_DEP_1)
	v_cmp_gt_i32_e32 vcc_lo, s2, v2
	s_and_saveexec_b32 s2, vcc_lo
	s_cbranch_execz .LBB6_23
; %bb.6:
	s_load_b256 s[4:11], s[0:1], 0x10
	v_ashrrev_i32_e32 v3, 31, v2
	s_cmp_lg_u32 s3, 0
	s_wait_kmcnt 0x0
	s_delay_alu instid0(VALU_DEP_1)
	v_lshl_add_u64 v[4:5], v[2:3], 2, s[4:5]
	v_and_b32_e32 v3, 7, v0
	global_load_b64 v[4:5], v[4:5], off
	s_wait_loadcnt 0x0
	v_subrev_nc_u32_e32 v0, s16, v4
	v_subrev_nc_u32_e32 v6, s16, v5
	s_delay_alu instid0(VALU_DEP_2) | instskip(NEXT) | instid1(VALU_DEP_1)
	v_add_nc_u32_e32 v7, v0, v3
	v_cmp_lt_i32_e64 s2, v7, v6
	s_cbranch_scc0 .LBB6_12
; %bb.7:
	v_mov_b32_e32 v1, 0
	s_delay_alu instid0(VALU_DEP_1)
	v_mov_b32_e32 v0, v1
	s_and_saveexec_b32 s3, s2
	s_cbranch_execz .LBB6_11
; %bb.8:
	v_mul_lo_u32 v4, v7, 6
	v_dual_mov_b32 v5, 0 :: v_dual_mov_b32 v8, v7
	s_mov_b32 s4, 0
	s_delay_alu instid0(VALU_DEP_1)
	v_dual_mov_b32 v0, v5 :: v_dual_mov_b32 v1, v5
.LBB6_9:                                ; =>This Inner Loop Header: Depth=1
	global_load_b32 v9, v8, s[6:7] scale_offset
	v_lshl_add_u64 v[10:11], v[4:5], 2, s[8:9]
	v_dual_mov_b32 v13, v5 :: v_dual_add_nc_u32 v12, 2, v4
	v_dual_mov_b32 v15, v5 :: v_dual_add_nc_u32 v14, 4, v4
	global_load_b64 v[10:11], v[10:11], off
	s_wait_xcnt 0x1
	v_add_nc_u32_e32 v8, 8, v8
	v_lshl_add_u64 v[12:13], v[12:13], 2, s[8:9]
	v_add_nc_u32_e32 v4, 48, v4
	v_lshl_add_u64 v[14:15], v[14:15], 2, s[8:9]
	s_delay_alu instid0(VALU_DEP_4) | instskip(SKIP_4) | instid1(VALU_DEP_1)
	v_cmp_ge_i32_e32 vcc_lo, v8, v6
	global_load_b64 v[12:13], v[12:13], off
	s_or_b32 s4, vcc_lo, s4
	s_wait_loadcnt 0x2
	v_subrev_nc_u32_e32 v9, s16, v9
	v_lshl_add_u32 v9, v9, 1, v9
	global_load_b32 v16, v9, s[10:11] scale_offset
	s_wait_xcnt 0x0
	v_dual_add_nc_u32 v17, 1, v9 :: v_dual_add_nc_u32 v9, 2, v9
	global_load_b32 v18, v17, s[10:11] scale_offset
	global_load_b64 v[20:21], v[14:15], off
	global_load_b32 v22, v9, s[10:11] scale_offset
	s_wait_loadcnt 0x3
	v_pk_fma_f32 v[0:1], v[10:11], v[16:17], v[0:1] op_sel_hi:[1,0,1]
	s_wait_loadcnt 0x2
	s_delay_alu instid0(VALU_DEP_1) | instskip(SKIP_1) | instid1(VALU_DEP_1)
	v_pk_fma_f32 v[0:1], v[12:13], v[18:19], v[0:1] op_sel_hi:[1,0,1]
	s_wait_loadcnt 0x0
	v_pk_fma_f32 v[0:1], v[20:21], v[22:23], v[0:1] op_sel_hi:[1,0,1]
	s_and_not1_b32 exec_lo, exec_lo, s4
	s_cbranch_execnz .LBB6_9
; %bb.10:
	s_or_b32 exec_lo, exec_lo, s4
.LBB6_11:
	s_delay_alu instid0(SALU_CYCLE_1)
	s_or_b32 exec_lo, exec_lo, s3
	s_cbranch_execz .LBB6_13
	s_branch .LBB6_18
.LBB6_12:
                                        ; implicit-def: $vgpr1
.LBB6_13:
	v_mov_b32_e32 v1, 0
	s_delay_alu instid0(VALU_DEP_1)
	v_mov_b32_e32 v0, v1
	s_and_saveexec_b32 s3, s2
	s_cbranch_execz .LBB6_17
; %bb.14:
	v_mad_u32 v8, v7, 6, 5
	v_mov_b32_e32 v5, 0
	s_mov_b32 s2, 0
	s_delay_alu instid0(VALU_DEP_1)
	v_dual_mov_b32 v0, v5 :: v_dual_mov_b32 v1, v5
.LBB6_15:                               ; =>This Inner Loop Header: Depth=1
	global_load_b32 v9, v7, s[6:7] scale_offset
	v_dual_add_nc_u32 v4, -5, v8 :: v_dual_add_nc_u32 v14, -1, v8
	s_wait_xcnt 0x0
	v_dual_add_nc_u32 v17, -3, v8 :: v_dual_add_nc_u32 v7, 8, v7
	s_delay_alu instid0(VALU_DEP_2) | instskip(SKIP_4) | instid1(VALU_DEP_2)
	v_lshl_add_u64 v[10:11], v[4:5], 2, s[8:9]
	global_load_b64 v[10:11], v[10:11], off
	s_wait_loadcnt 0x1
	v_subrev_nc_u32_e32 v4, s16, v9
	v_add_nc_u32_e32 v9, -2, v8
	v_lshl_add_u32 v12, v4, 1, v4
	global_load_b32 v13, v9, s[8:9] scale_offset
	global_load_b32 v4, v12, s[10:11] scale_offset
	s_wait_xcnt 0x0
	v_dual_add_nc_u32 v9, 1, v12 :: v_dual_add_nc_u32 v12, 2, v12
	global_load_b32 v15, v14, s[8:9] scale_offset
	global_load_b32 v16, v9, s[10:11] scale_offset
	s_clause 0x1
	global_load_b32 v19, v8, s[8:9] scale_offset
	global_load_b32 v18, v17, s[8:9] scale_offset
	;; [unrolled: 1-line block ×3, first 2 shown]
	s_wait_loadcnt 0x7
	s_wait_xcnt 0x0
	v_dual_mov_b32 v12, v10 :: v_dual_mov_b32 v14, v11
	v_add_nc_u32_e32 v8, 48, v8
	v_cmp_ge_i32_e32 vcc_lo, v7, v6
	s_or_b32 s2, vcc_lo, s2
	s_wait_loadcnt 0x5
	v_pk_fma_f32 v[0:1], v[12:13], v[4:5], v[0:1] op_sel_hi:[1,0,1]
	s_wait_loadcnt 0x3
	s_delay_alu instid0(VALU_DEP_1) | instskip(SKIP_1) | instid1(VALU_DEP_1)
	v_pk_fma_f32 v[0:1], v[14:15], v[16:17], v[0:1] op_sel_hi:[1,0,1]
	s_wait_loadcnt 0x0
	v_pk_fma_f32 v[0:1], v[18:19], v[20:21], v[0:1] op_sel_hi:[1,0,1]
	s_and_not1_b32 exec_lo, exec_lo, s2
	s_cbranch_execnz .LBB6_15
; %bb.16:
	s_or_b32 exec_lo, exec_lo, s2
.LBB6_17:
	s_delay_alu instid0(SALU_CYCLE_1)
	s_or_b32 exec_lo, exec_lo, s3
.LBB6_18:
	v_mbcnt_lo_u32_b32 v6, -1, 0
	s_mov_b32 s2, -1
	s_delay_alu instid0(VALU_DEP_1) | instskip(SKIP_1) | instid1(VALU_DEP_1)
	v_xor_b32_e32 v7, 2, v6
	v_xor_b32_e32 v4, 4, v6
	v_cmp_gt_i32_e32 vcc_lo, 32, v4
	v_cndmask_b32_e32 v4, v6, v4, vcc_lo
	s_delay_alu instid0(VALU_DEP_4) | instskip(SKIP_1) | instid1(VALU_DEP_1)
	v_cmp_gt_i32_e32 vcc_lo, 32, v7
	v_cndmask_b32_e32 v7, v6, v7, vcc_lo
	v_dual_lshlrev_b32 v7, 2, v7 :: v_dual_lshlrev_b32 v5, 2, v4
	ds_bpermute_b32 v4, v5, v0
	ds_bpermute_b32 v5, v5, v1
	s_wait_dscnt 0x0
	v_pk_add_f32 v[0:1], v[0:1], v[4:5]
	ds_bpermute_b32 v4, v7, v0
	ds_bpermute_b32 v5, v7, v1
	v_xor_b32_e32 v7, 1, v6
	s_delay_alu instid0(VALU_DEP_1) | instskip(SKIP_2) | instid1(VALU_DEP_2)
	v_cmp_gt_i32_e32 vcc_lo, 32, v7
	v_cndmask_b32_e32 v6, v6, v7, vcc_lo
	v_cmp_eq_u32_e32 vcc_lo, 7, v3
	v_lshlrev_b32_e32 v6, 2, v6
	s_wait_dscnt 0x0
	v_pk_add_f32 v[0:1], v[0:1], v[4:5]
	ds_bpermute_b32 v4, v6, v0
	ds_bpermute_b32 v5, v6, v1
	s_and_b32 exec_lo, exec_lo, vcc_lo
	s_cbranch_execz .LBB6_23
; %bb.19:
	s_load_b64 s[0:1], s[0:1], 0x38
	s_wait_dscnt 0x0
	v_pk_add_f32 v[0:1], v[0:1], v[4:5]
	v_lshlrev_b32_e32 v2, 1, v2
	s_cmp_eq_f32 s12, 0
	s_cbranch_scc0 .LBB6_21
; %bb.20:
	s_delay_alu instid0(VALU_DEP_1) | instskip(SKIP_3) | instid1(VALU_DEP_2)
	v_ashrrev_i32_e32 v3, 31, v2
	v_pk_mul_f32 v[6:7], s[14:15], v[0:1] op_sel_hi:[0,1]
	s_mov_b32 s2, 0
	s_wait_kmcnt 0x0
	v_lshl_add_u64 v[4:5], v[2:3], 2, s[0:1]
	global_store_b64 v[4:5], v[6:7], off
.LBB6_21:
	s_and_not1_b32 vcc_lo, exec_lo, s2
	s_cbranch_vccnz .LBB6_23
; %bb.22:
	v_ashrrev_i32_e32 v3, 31, v2
	v_pk_mul_f32 v[0:1], s[14:15], v[0:1] op_sel_hi:[0,1]
	s_wait_kmcnt 0x0
	s_delay_alu instid0(VALU_DEP_2)
	v_lshl_add_u64 v[2:3], v[2:3], 2, s[0:1]
	global_load_b64 v[4:5], v[2:3], off
	s_wait_loadcnt 0x0
	v_pk_fma_f32 v[0:1], s[12:13], v[4:5], v[0:1] op_sel_hi:[0,1,1]
	global_store_b64 v[2:3], v[0:1], off
.LBB6_23:
	s_endpgm
	.section	.rodata,"a",@progbits
	.p2align	6, 0x0
	.amdhsa_kernel _ZN9rocsparseL19gebsrmvn_2xn_kernelILj128ELj3ELj8EfEEvi20rocsparse_direction_NS_24const_host_device_scalarIT2_EEPKiS6_PKS3_S8_S4_PS3_21rocsparse_index_base_b
		.amdhsa_group_segment_fixed_size 0
		.amdhsa_private_segment_fixed_size 0
		.amdhsa_kernarg_size 72
		.amdhsa_user_sgpr_count 2
		.amdhsa_user_sgpr_dispatch_ptr 0
		.amdhsa_user_sgpr_queue_ptr 0
		.amdhsa_user_sgpr_kernarg_segment_ptr 1
		.amdhsa_user_sgpr_dispatch_id 0
		.amdhsa_user_sgpr_kernarg_preload_length 0
		.amdhsa_user_sgpr_kernarg_preload_offset 0
		.amdhsa_user_sgpr_private_segment_size 0
		.amdhsa_wavefront_size32 1
		.amdhsa_uses_dynamic_stack 0
		.amdhsa_enable_private_segment 0
		.amdhsa_system_sgpr_workgroup_id_x 1
		.amdhsa_system_sgpr_workgroup_id_y 0
		.amdhsa_system_sgpr_workgroup_id_z 0
		.amdhsa_system_sgpr_workgroup_info 0
		.amdhsa_system_vgpr_workitem_id 0
		.amdhsa_next_free_vgpr 24
		.amdhsa_next_free_sgpr 18
		.amdhsa_named_barrier_count 0
		.amdhsa_reserve_vcc 1
		.amdhsa_float_round_mode_32 0
		.amdhsa_float_round_mode_16_64 0
		.amdhsa_float_denorm_mode_32 3
		.amdhsa_float_denorm_mode_16_64 3
		.amdhsa_fp16_overflow 0
		.amdhsa_memory_ordered 1
		.amdhsa_forward_progress 1
		.amdhsa_inst_pref_size 10
		.amdhsa_round_robin_scheduling 0
		.amdhsa_exception_fp_ieee_invalid_op 0
		.amdhsa_exception_fp_denorm_src 0
		.amdhsa_exception_fp_ieee_div_zero 0
		.amdhsa_exception_fp_ieee_overflow 0
		.amdhsa_exception_fp_ieee_underflow 0
		.amdhsa_exception_fp_ieee_inexact 0
		.amdhsa_exception_int_div_zero 0
	.end_amdhsa_kernel
	.section	.text._ZN9rocsparseL19gebsrmvn_2xn_kernelILj128ELj3ELj8EfEEvi20rocsparse_direction_NS_24const_host_device_scalarIT2_EEPKiS6_PKS3_S8_S4_PS3_21rocsparse_index_base_b,"axG",@progbits,_ZN9rocsparseL19gebsrmvn_2xn_kernelILj128ELj3ELj8EfEEvi20rocsparse_direction_NS_24const_host_device_scalarIT2_EEPKiS6_PKS3_S8_S4_PS3_21rocsparse_index_base_b,comdat
.Lfunc_end6:
	.size	_ZN9rocsparseL19gebsrmvn_2xn_kernelILj128ELj3ELj8EfEEvi20rocsparse_direction_NS_24const_host_device_scalarIT2_EEPKiS6_PKS3_S8_S4_PS3_21rocsparse_index_base_b, .Lfunc_end6-_ZN9rocsparseL19gebsrmvn_2xn_kernelILj128ELj3ELj8EfEEvi20rocsparse_direction_NS_24const_host_device_scalarIT2_EEPKiS6_PKS3_S8_S4_PS3_21rocsparse_index_base_b
                                        ; -- End function
	.set _ZN9rocsparseL19gebsrmvn_2xn_kernelILj128ELj3ELj8EfEEvi20rocsparse_direction_NS_24const_host_device_scalarIT2_EEPKiS6_PKS3_S8_S4_PS3_21rocsparse_index_base_b.num_vgpr, 24
	.set _ZN9rocsparseL19gebsrmvn_2xn_kernelILj128ELj3ELj8EfEEvi20rocsparse_direction_NS_24const_host_device_scalarIT2_EEPKiS6_PKS3_S8_S4_PS3_21rocsparse_index_base_b.num_agpr, 0
	.set _ZN9rocsparseL19gebsrmvn_2xn_kernelILj128ELj3ELj8EfEEvi20rocsparse_direction_NS_24const_host_device_scalarIT2_EEPKiS6_PKS3_S8_S4_PS3_21rocsparse_index_base_b.numbered_sgpr, 18
	.set _ZN9rocsparseL19gebsrmvn_2xn_kernelILj128ELj3ELj8EfEEvi20rocsparse_direction_NS_24const_host_device_scalarIT2_EEPKiS6_PKS3_S8_S4_PS3_21rocsparse_index_base_b.num_named_barrier, 0
	.set _ZN9rocsparseL19gebsrmvn_2xn_kernelILj128ELj3ELj8EfEEvi20rocsparse_direction_NS_24const_host_device_scalarIT2_EEPKiS6_PKS3_S8_S4_PS3_21rocsparse_index_base_b.private_seg_size, 0
	.set _ZN9rocsparseL19gebsrmvn_2xn_kernelILj128ELj3ELj8EfEEvi20rocsparse_direction_NS_24const_host_device_scalarIT2_EEPKiS6_PKS3_S8_S4_PS3_21rocsparse_index_base_b.uses_vcc, 1
	.set _ZN9rocsparseL19gebsrmvn_2xn_kernelILj128ELj3ELj8EfEEvi20rocsparse_direction_NS_24const_host_device_scalarIT2_EEPKiS6_PKS3_S8_S4_PS3_21rocsparse_index_base_b.uses_flat_scratch, 0
	.set _ZN9rocsparseL19gebsrmvn_2xn_kernelILj128ELj3ELj8EfEEvi20rocsparse_direction_NS_24const_host_device_scalarIT2_EEPKiS6_PKS3_S8_S4_PS3_21rocsparse_index_base_b.has_dyn_sized_stack, 0
	.set _ZN9rocsparseL19gebsrmvn_2xn_kernelILj128ELj3ELj8EfEEvi20rocsparse_direction_NS_24const_host_device_scalarIT2_EEPKiS6_PKS3_S8_S4_PS3_21rocsparse_index_base_b.has_recursion, 0
	.set _ZN9rocsparseL19gebsrmvn_2xn_kernelILj128ELj3ELj8EfEEvi20rocsparse_direction_NS_24const_host_device_scalarIT2_EEPKiS6_PKS3_S8_S4_PS3_21rocsparse_index_base_b.has_indirect_call, 0
	.section	.AMDGPU.csdata,"",@progbits
; Kernel info:
; codeLenInByte = 1216
; TotalNumSgprs: 20
; NumVgprs: 24
; ScratchSize: 0
; MemoryBound: 0
; FloatMode: 240
; IeeeMode: 1
; LDSByteSize: 0 bytes/workgroup (compile time only)
; SGPRBlocks: 0
; VGPRBlocks: 1
; NumSGPRsForWavesPerEU: 20
; NumVGPRsForWavesPerEU: 24
; NamedBarCnt: 0
; Occupancy: 16
; WaveLimiterHint : 1
; COMPUTE_PGM_RSRC2:SCRATCH_EN: 0
; COMPUTE_PGM_RSRC2:USER_SGPR: 2
; COMPUTE_PGM_RSRC2:TRAP_HANDLER: 0
; COMPUTE_PGM_RSRC2:TGID_X_EN: 1
; COMPUTE_PGM_RSRC2:TGID_Y_EN: 0
; COMPUTE_PGM_RSRC2:TGID_Z_EN: 0
; COMPUTE_PGM_RSRC2:TIDIG_COMP_CNT: 0
	.section	.text._ZN9rocsparseL19gebsrmvn_2xn_kernelILj128ELj3ELj16EfEEvi20rocsparse_direction_NS_24const_host_device_scalarIT2_EEPKiS6_PKS3_S8_S4_PS3_21rocsparse_index_base_b,"axG",@progbits,_ZN9rocsparseL19gebsrmvn_2xn_kernelILj128ELj3ELj16EfEEvi20rocsparse_direction_NS_24const_host_device_scalarIT2_EEPKiS6_PKS3_S8_S4_PS3_21rocsparse_index_base_b,comdat
	.globl	_ZN9rocsparseL19gebsrmvn_2xn_kernelILj128ELj3ELj16EfEEvi20rocsparse_direction_NS_24const_host_device_scalarIT2_EEPKiS6_PKS3_S8_S4_PS3_21rocsparse_index_base_b ; -- Begin function _ZN9rocsparseL19gebsrmvn_2xn_kernelILj128ELj3ELj16EfEEvi20rocsparse_direction_NS_24const_host_device_scalarIT2_EEPKiS6_PKS3_S8_S4_PS3_21rocsparse_index_base_b
	.p2align	8
	.type	_ZN9rocsparseL19gebsrmvn_2xn_kernelILj128ELj3ELj16EfEEvi20rocsparse_direction_NS_24const_host_device_scalarIT2_EEPKiS6_PKS3_S8_S4_PS3_21rocsparse_index_base_b,@function
_ZN9rocsparseL19gebsrmvn_2xn_kernelILj128ELj3ELj16EfEEvi20rocsparse_direction_NS_24const_host_device_scalarIT2_EEPKiS6_PKS3_S8_S4_PS3_21rocsparse_index_base_b: ; @_ZN9rocsparseL19gebsrmvn_2xn_kernelILj128ELj3ELj16EfEEvi20rocsparse_direction_NS_24const_host_device_scalarIT2_EEPKiS6_PKS3_S8_S4_PS3_21rocsparse_index_base_b
; %bb.0:
	s_clause 0x2
	s_load_b64 s[16:17], s[0:1], 0x40
	s_load_b64 s[14:15], s[0:1], 0x8
	;; [unrolled: 1-line block ×3, first 2 shown]
	s_wait_kmcnt 0x0
	s_bitcmp1_b32 s17, 0
	s_cselect_b32 s2, -1, 0
	s_delay_alu instid0(SALU_CYCLE_1)
	s_and_b32 vcc_lo, exec_lo, s2
	s_xor_b32 s2, s2, -1
	s_cbranch_vccnz .LBB7_2
; %bb.1:
	s_load_b32 s14, s[14:15], 0x0
.LBB7_2:
	s_and_not1_b32 vcc_lo, exec_lo, s2
	s_cbranch_vccnz .LBB7_4
; %bb.3:
	s_load_b32 s12, s[12:13], 0x0
.LBB7_4:
	s_wait_kmcnt 0x0
	s_cmp_eq_f32 s14, 0
	s_cselect_b32 s2, -1, 0
	s_cmp_eq_f32 s12, 1.0
	s_cselect_b32 s3, -1, 0
	s_delay_alu instid0(SALU_CYCLE_1) | instskip(NEXT) | instid1(SALU_CYCLE_1)
	s_and_b32 s2, s2, s3
	s_and_b32 vcc_lo, exec_lo, s2
	s_cbranch_vccnz .LBB7_23
; %bb.5:
	s_load_b64 s[2:3], s[0:1], 0x0
	s_bfe_u32 s4, ttmp6, 0x4000c
	s_and_b32 s5, ttmp6, 15
	s_add_co_i32 s4, s4, 1
	s_getreg_b32 s6, hwreg(HW_REG_IB_STS2, 6, 4)
	s_mul_i32 s4, ttmp9, s4
	v_lshrrev_b32_e32 v1, 4, v0
	s_add_co_i32 s5, s5, s4
	s_cmp_eq_u32 s6, 0
	s_cselect_b32 s4, ttmp9, s5
	s_delay_alu instid0(VALU_DEP_1) | instid1(SALU_CYCLE_1)
	v_lshl_or_b32 v2, s4, 3, v1
	s_wait_kmcnt 0x0
	s_delay_alu instid0(VALU_DEP_1)
	v_cmp_gt_i32_e32 vcc_lo, s2, v2
	s_and_saveexec_b32 s2, vcc_lo
	s_cbranch_execz .LBB7_23
; %bb.6:
	s_load_b256 s[4:11], s[0:1], 0x10
	v_ashrrev_i32_e32 v3, 31, v2
	s_cmp_lg_u32 s3, 0
	s_wait_kmcnt 0x0
	s_delay_alu instid0(VALU_DEP_1)
	v_lshl_add_u64 v[4:5], v[2:3], 2, s[4:5]
	v_and_b32_e32 v3, 15, v0
	global_load_b64 v[4:5], v[4:5], off
	s_wait_loadcnt 0x0
	v_subrev_nc_u32_e32 v0, s16, v4
	v_subrev_nc_u32_e32 v6, s16, v5
	s_delay_alu instid0(VALU_DEP_2) | instskip(NEXT) | instid1(VALU_DEP_1)
	v_add_nc_u32_e32 v7, v0, v3
	v_cmp_lt_i32_e64 s2, v7, v6
	s_cbranch_scc0 .LBB7_12
; %bb.7:
	v_mov_b32_e32 v1, 0
	s_delay_alu instid0(VALU_DEP_1)
	v_mov_b32_e32 v0, v1
	s_and_saveexec_b32 s3, s2
	s_cbranch_execz .LBB7_11
; %bb.8:
	v_mul_lo_u32 v4, v7, 6
	v_dual_mov_b32 v5, 0 :: v_dual_mov_b32 v8, v7
	s_mov_b32 s4, 0
	s_delay_alu instid0(VALU_DEP_1)
	v_dual_mov_b32 v0, v5 :: v_dual_mov_b32 v1, v5
.LBB7_9:                                ; =>This Inner Loop Header: Depth=1
	global_load_b32 v9, v8, s[6:7] scale_offset
	v_lshl_add_u64 v[10:11], v[4:5], 2, s[8:9]
	v_dual_mov_b32 v13, v5 :: v_dual_add_nc_u32 v12, 2, v4
	v_dual_mov_b32 v15, v5 :: v_dual_add_nc_u32 v14, 4, v4
	global_load_b64 v[10:11], v[10:11], off
	s_wait_xcnt 0x1
	v_add_nc_u32_e32 v8, 16, v8
	v_lshl_add_u64 v[12:13], v[12:13], 2, s[8:9]
	v_add_nc_u32_e32 v4, 0x60, v4
	v_lshl_add_u64 v[14:15], v[14:15], 2, s[8:9]
	s_delay_alu instid0(VALU_DEP_4) | instskip(SKIP_4) | instid1(VALU_DEP_1)
	v_cmp_ge_i32_e32 vcc_lo, v8, v6
	global_load_b64 v[12:13], v[12:13], off
	s_or_b32 s4, vcc_lo, s4
	s_wait_loadcnt 0x2
	v_subrev_nc_u32_e32 v9, s16, v9
	v_lshl_add_u32 v9, v9, 1, v9
	global_load_b32 v16, v9, s[10:11] scale_offset
	s_wait_xcnt 0x0
	v_dual_add_nc_u32 v17, 1, v9 :: v_dual_add_nc_u32 v9, 2, v9
	global_load_b32 v18, v17, s[10:11] scale_offset
	global_load_b64 v[20:21], v[14:15], off
	global_load_b32 v22, v9, s[10:11] scale_offset
	s_wait_loadcnt 0x3
	v_pk_fma_f32 v[0:1], v[10:11], v[16:17], v[0:1] op_sel_hi:[1,0,1]
	s_wait_loadcnt 0x2
	s_delay_alu instid0(VALU_DEP_1) | instskip(SKIP_1) | instid1(VALU_DEP_1)
	v_pk_fma_f32 v[0:1], v[12:13], v[18:19], v[0:1] op_sel_hi:[1,0,1]
	s_wait_loadcnt 0x0
	v_pk_fma_f32 v[0:1], v[20:21], v[22:23], v[0:1] op_sel_hi:[1,0,1]
	s_and_not1_b32 exec_lo, exec_lo, s4
	s_cbranch_execnz .LBB7_9
; %bb.10:
	s_or_b32 exec_lo, exec_lo, s4
.LBB7_11:
	s_delay_alu instid0(SALU_CYCLE_1)
	s_or_b32 exec_lo, exec_lo, s3
	s_cbranch_execz .LBB7_13
	s_branch .LBB7_18
.LBB7_12:
                                        ; implicit-def: $vgpr1
.LBB7_13:
	v_mov_b32_e32 v1, 0
	s_delay_alu instid0(VALU_DEP_1)
	v_mov_b32_e32 v0, v1
	s_and_saveexec_b32 s3, s2
	s_cbranch_execz .LBB7_17
; %bb.14:
	v_mad_u32 v8, v7, 6, 5
	v_mov_b32_e32 v5, 0
	s_mov_b32 s2, 0
	s_delay_alu instid0(VALU_DEP_1)
	v_dual_mov_b32 v0, v5 :: v_dual_mov_b32 v1, v5
.LBB7_15:                               ; =>This Inner Loop Header: Depth=1
	global_load_b32 v9, v7, s[6:7] scale_offset
	v_dual_add_nc_u32 v4, -5, v8 :: v_dual_add_nc_u32 v14, -1, v8
	s_wait_xcnt 0x0
	v_dual_add_nc_u32 v17, -3, v8 :: v_dual_add_nc_u32 v7, 16, v7
	s_delay_alu instid0(VALU_DEP_2) | instskip(NEXT) | instid1(VALU_DEP_2)
	v_lshl_add_u64 v[10:11], v[4:5], 2, s[8:9]
	v_cmp_ge_i32_e32 vcc_lo, v7, v6
	global_load_b64 v[10:11], v[10:11], off
	s_or_b32 s2, vcc_lo, s2
	s_wait_loadcnt 0x1
	v_subrev_nc_u32_e32 v4, s16, v9
	v_add_nc_u32_e32 v9, -2, v8
	s_delay_alu instid0(VALU_DEP_2)
	v_lshl_add_u32 v12, v4, 1, v4
	global_load_b32 v13, v9, s[8:9] scale_offset
	global_load_b32 v4, v12, s[10:11] scale_offset
	s_wait_xcnt 0x0
	v_dual_add_nc_u32 v9, 1, v12 :: v_dual_add_nc_u32 v12, 2, v12
	global_load_b32 v15, v14, s[8:9] scale_offset
	global_load_b32 v16, v9, s[10:11] scale_offset
	s_clause 0x1
	global_load_b32 v19, v8, s[8:9] scale_offset
	global_load_b32 v18, v17, s[8:9] scale_offset
	;; [unrolled: 1-line block ×3, first 2 shown]
	s_wait_loadcnt 0x7
	s_wait_xcnt 0x0
	v_dual_mov_b32 v12, v10 :: v_dual_mov_b32 v14, v11
	v_add_nc_u32_e32 v8, 0x60, v8
	s_wait_loadcnt 0x5
	s_delay_alu instid0(VALU_DEP_2) | instskip(SKIP_1) | instid1(VALU_DEP_1)
	v_pk_fma_f32 v[0:1], v[12:13], v[4:5], v[0:1] op_sel_hi:[1,0,1]
	s_wait_loadcnt 0x3
	v_pk_fma_f32 v[0:1], v[14:15], v[16:17], v[0:1] op_sel_hi:[1,0,1]
	s_wait_loadcnt 0x0
	s_delay_alu instid0(VALU_DEP_1)
	v_pk_fma_f32 v[0:1], v[18:19], v[20:21], v[0:1] op_sel_hi:[1,0,1]
	s_and_not1_b32 exec_lo, exec_lo, s2
	s_cbranch_execnz .LBB7_15
; %bb.16:
	s_or_b32 exec_lo, exec_lo, s2
.LBB7_17:
	s_delay_alu instid0(SALU_CYCLE_1)
	s_or_b32 exec_lo, exec_lo, s3
.LBB7_18:
	v_mbcnt_lo_u32_b32 v6, -1, 0
	s_mov_b32 s2, -1
	s_delay_alu instid0(VALU_DEP_1) | instskip(SKIP_1) | instid1(VALU_DEP_1)
	v_xor_b32_e32 v7, 4, v6
	v_xor_b32_e32 v4, 8, v6
	v_cmp_gt_i32_e32 vcc_lo, 32, v4
	v_cndmask_b32_e32 v4, v6, v4, vcc_lo
	s_delay_alu instid0(VALU_DEP_4) | instskip(SKIP_1) | instid1(VALU_DEP_1)
	v_cmp_gt_i32_e32 vcc_lo, 32, v7
	v_cndmask_b32_e32 v7, v6, v7, vcc_lo
	v_dual_lshlrev_b32 v7, 2, v7 :: v_dual_lshlrev_b32 v5, 2, v4
	ds_bpermute_b32 v4, v5, v0
	ds_bpermute_b32 v5, v5, v1
	s_wait_dscnt 0x0
	v_pk_add_f32 v[0:1], v[0:1], v[4:5]
	ds_bpermute_b32 v4, v7, v0
	ds_bpermute_b32 v5, v7, v1
	v_xor_b32_e32 v7, 2, v6
	s_delay_alu instid0(VALU_DEP_1) | instskip(SKIP_1) | instid1(VALU_DEP_1)
	v_cmp_gt_i32_e32 vcc_lo, 32, v7
	v_cndmask_b32_e32 v7, v6, v7, vcc_lo
	v_lshlrev_b32_e32 v7, 2, v7
	s_wait_dscnt 0x0
	v_pk_add_f32 v[0:1], v[0:1], v[4:5]
	ds_bpermute_b32 v4, v7, v0
	ds_bpermute_b32 v5, v7, v1
	v_xor_b32_e32 v7, 1, v6
	s_delay_alu instid0(VALU_DEP_1) | instskip(SKIP_2) | instid1(VALU_DEP_2)
	v_cmp_gt_i32_e32 vcc_lo, 32, v7
	v_cndmask_b32_e32 v6, v6, v7, vcc_lo
	v_cmp_eq_u32_e32 vcc_lo, 15, v3
	v_lshlrev_b32_e32 v6, 2, v6
	s_wait_dscnt 0x0
	v_pk_add_f32 v[0:1], v[0:1], v[4:5]
	ds_bpermute_b32 v4, v6, v0
	ds_bpermute_b32 v5, v6, v1
	s_and_b32 exec_lo, exec_lo, vcc_lo
	s_cbranch_execz .LBB7_23
; %bb.19:
	s_load_b64 s[0:1], s[0:1], 0x38
	s_wait_dscnt 0x0
	v_pk_add_f32 v[0:1], v[0:1], v[4:5]
	v_lshlrev_b32_e32 v2, 1, v2
	s_cmp_eq_f32 s12, 0
	s_cbranch_scc0 .LBB7_21
; %bb.20:
	s_delay_alu instid0(VALU_DEP_1) | instskip(SKIP_3) | instid1(VALU_DEP_2)
	v_ashrrev_i32_e32 v3, 31, v2
	v_pk_mul_f32 v[6:7], s[14:15], v[0:1] op_sel_hi:[0,1]
	s_mov_b32 s2, 0
	s_wait_kmcnt 0x0
	v_lshl_add_u64 v[4:5], v[2:3], 2, s[0:1]
	global_store_b64 v[4:5], v[6:7], off
.LBB7_21:
	s_and_not1_b32 vcc_lo, exec_lo, s2
	s_cbranch_vccnz .LBB7_23
; %bb.22:
	v_ashrrev_i32_e32 v3, 31, v2
	v_pk_mul_f32 v[0:1], s[14:15], v[0:1] op_sel_hi:[0,1]
	s_wait_kmcnt 0x0
	s_delay_alu instid0(VALU_DEP_2)
	v_lshl_add_u64 v[2:3], v[2:3], 2, s[0:1]
	global_load_b64 v[4:5], v[2:3], off
	s_wait_loadcnt 0x0
	v_pk_fma_f32 v[0:1], s[12:13], v[4:5], v[0:1] op_sel_hi:[0,1,1]
	global_store_b64 v[2:3], v[0:1], off
.LBB7_23:
	s_endpgm
	.section	.rodata,"a",@progbits
	.p2align	6, 0x0
	.amdhsa_kernel _ZN9rocsparseL19gebsrmvn_2xn_kernelILj128ELj3ELj16EfEEvi20rocsparse_direction_NS_24const_host_device_scalarIT2_EEPKiS6_PKS3_S8_S4_PS3_21rocsparse_index_base_b
		.amdhsa_group_segment_fixed_size 0
		.amdhsa_private_segment_fixed_size 0
		.amdhsa_kernarg_size 72
		.amdhsa_user_sgpr_count 2
		.amdhsa_user_sgpr_dispatch_ptr 0
		.amdhsa_user_sgpr_queue_ptr 0
		.amdhsa_user_sgpr_kernarg_segment_ptr 1
		.amdhsa_user_sgpr_dispatch_id 0
		.amdhsa_user_sgpr_kernarg_preload_length 0
		.amdhsa_user_sgpr_kernarg_preload_offset 0
		.amdhsa_user_sgpr_private_segment_size 0
		.amdhsa_wavefront_size32 1
		.amdhsa_uses_dynamic_stack 0
		.amdhsa_enable_private_segment 0
		.amdhsa_system_sgpr_workgroup_id_x 1
		.amdhsa_system_sgpr_workgroup_id_y 0
		.amdhsa_system_sgpr_workgroup_id_z 0
		.amdhsa_system_sgpr_workgroup_info 0
		.amdhsa_system_vgpr_workitem_id 0
		.amdhsa_next_free_vgpr 24
		.amdhsa_next_free_sgpr 18
		.amdhsa_named_barrier_count 0
		.amdhsa_reserve_vcc 1
		.amdhsa_float_round_mode_32 0
		.amdhsa_float_round_mode_16_64 0
		.amdhsa_float_denorm_mode_32 3
		.amdhsa_float_denorm_mode_16_64 3
		.amdhsa_fp16_overflow 0
		.amdhsa_memory_ordered 1
		.amdhsa_forward_progress 1
		.amdhsa_inst_pref_size 10
		.amdhsa_round_robin_scheduling 0
		.amdhsa_exception_fp_ieee_invalid_op 0
		.amdhsa_exception_fp_denorm_src 0
		.amdhsa_exception_fp_ieee_div_zero 0
		.amdhsa_exception_fp_ieee_overflow 0
		.amdhsa_exception_fp_ieee_underflow 0
		.amdhsa_exception_fp_ieee_inexact 0
		.amdhsa_exception_int_div_zero 0
	.end_amdhsa_kernel
	.section	.text._ZN9rocsparseL19gebsrmvn_2xn_kernelILj128ELj3ELj16EfEEvi20rocsparse_direction_NS_24const_host_device_scalarIT2_EEPKiS6_PKS3_S8_S4_PS3_21rocsparse_index_base_b,"axG",@progbits,_ZN9rocsparseL19gebsrmvn_2xn_kernelILj128ELj3ELj16EfEEvi20rocsparse_direction_NS_24const_host_device_scalarIT2_EEPKiS6_PKS3_S8_S4_PS3_21rocsparse_index_base_b,comdat
.Lfunc_end7:
	.size	_ZN9rocsparseL19gebsrmvn_2xn_kernelILj128ELj3ELj16EfEEvi20rocsparse_direction_NS_24const_host_device_scalarIT2_EEPKiS6_PKS3_S8_S4_PS3_21rocsparse_index_base_b, .Lfunc_end7-_ZN9rocsparseL19gebsrmvn_2xn_kernelILj128ELj3ELj16EfEEvi20rocsparse_direction_NS_24const_host_device_scalarIT2_EEPKiS6_PKS3_S8_S4_PS3_21rocsparse_index_base_b
                                        ; -- End function
	.set _ZN9rocsparseL19gebsrmvn_2xn_kernelILj128ELj3ELj16EfEEvi20rocsparse_direction_NS_24const_host_device_scalarIT2_EEPKiS6_PKS3_S8_S4_PS3_21rocsparse_index_base_b.num_vgpr, 24
	.set _ZN9rocsparseL19gebsrmvn_2xn_kernelILj128ELj3ELj16EfEEvi20rocsparse_direction_NS_24const_host_device_scalarIT2_EEPKiS6_PKS3_S8_S4_PS3_21rocsparse_index_base_b.num_agpr, 0
	.set _ZN9rocsparseL19gebsrmvn_2xn_kernelILj128ELj3ELj16EfEEvi20rocsparse_direction_NS_24const_host_device_scalarIT2_EEPKiS6_PKS3_S8_S4_PS3_21rocsparse_index_base_b.numbered_sgpr, 18
	.set _ZN9rocsparseL19gebsrmvn_2xn_kernelILj128ELj3ELj16EfEEvi20rocsparse_direction_NS_24const_host_device_scalarIT2_EEPKiS6_PKS3_S8_S4_PS3_21rocsparse_index_base_b.num_named_barrier, 0
	.set _ZN9rocsparseL19gebsrmvn_2xn_kernelILj128ELj3ELj16EfEEvi20rocsparse_direction_NS_24const_host_device_scalarIT2_EEPKiS6_PKS3_S8_S4_PS3_21rocsparse_index_base_b.private_seg_size, 0
	.set _ZN9rocsparseL19gebsrmvn_2xn_kernelILj128ELj3ELj16EfEEvi20rocsparse_direction_NS_24const_host_device_scalarIT2_EEPKiS6_PKS3_S8_S4_PS3_21rocsparse_index_base_b.uses_vcc, 1
	.set _ZN9rocsparseL19gebsrmvn_2xn_kernelILj128ELj3ELj16EfEEvi20rocsparse_direction_NS_24const_host_device_scalarIT2_EEPKiS6_PKS3_S8_S4_PS3_21rocsparse_index_base_b.uses_flat_scratch, 0
	.set _ZN9rocsparseL19gebsrmvn_2xn_kernelILj128ELj3ELj16EfEEvi20rocsparse_direction_NS_24const_host_device_scalarIT2_EEPKiS6_PKS3_S8_S4_PS3_21rocsparse_index_base_b.has_dyn_sized_stack, 0
	.set _ZN9rocsparseL19gebsrmvn_2xn_kernelILj128ELj3ELj16EfEEvi20rocsparse_direction_NS_24const_host_device_scalarIT2_EEPKiS6_PKS3_S8_S4_PS3_21rocsparse_index_base_b.has_recursion, 0
	.set _ZN9rocsparseL19gebsrmvn_2xn_kernelILj128ELj3ELj16EfEEvi20rocsparse_direction_NS_24const_host_device_scalarIT2_EEPKiS6_PKS3_S8_S4_PS3_21rocsparse_index_base_b.has_indirect_call, 0
	.section	.AMDGPU.csdata,"",@progbits
; Kernel info:
; codeLenInByte = 1280
; TotalNumSgprs: 20
; NumVgprs: 24
; ScratchSize: 0
; MemoryBound: 0
; FloatMode: 240
; IeeeMode: 1
; LDSByteSize: 0 bytes/workgroup (compile time only)
; SGPRBlocks: 0
; VGPRBlocks: 1
; NumSGPRsForWavesPerEU: 20
; NumVGPRsForWavesPerEU: 24
; NamedBarCnt: 0
; Occupancy: 16
; WaveLimiterHint : 1
; COMPUTE_PGM_RSRC2:SCRATCH_EN: 0
; COMPUTE_PGM_RSRC2:USER_SGPR: 2
; COMPUTE_PGM_RSRC2:TRAP_HANDLER: 0
; COMPUTE_PGM_RSRC2:TGID_X_EN: 1
; COMPUTE_PGM_RSRC2:TGID_Y_EN: 0
; COMPUTE_PGM_RSRC2:TGID_Z_EN: 0
; COMPUTE_PGM_RSRC2:TIDIG_COMP_CNT: 0
	.section	.text._ZN9rocsparseL19gebsrmvn_2xn_kernelILj128ELj3ELj32EfEEvi20rocsparse_direction_NS_24const_host_device_scalarIT2_EEPKiS6_PKS3_S8_S4_PS3_21rocsparse_index_base_b,"axG",@progbits,_ZN9rocsparseL19gebsrmvn_2xn_kernelILj128ELj3ELj32EfEEvi20rocsparse_direction_NS_24const_host_device_scalarIT2_EEPKiS6_PKS3_S8_S4_PS3_21rocsparse_index_base_b,comdat
	.globl	_ZN9rocsparseL19gebsrmvn_2xn_kernelILj128ELj3ELj32EfEEvi20rocsparse_direction_NS_24const_host_device_scalarIT2_EEPKiS6_PKS3_S8_S4_PS3_21rocsparse_index_base_b ; -- Begin function _ZN9rocsparseL19gebsrmvn_2xn_kernelILj128ELj3ELj32EfEEvi20rocsparse_direction_NS_24const_host_device_scalarIT2_EEPKiS6_PKS3_S8_S4_PS3_21rocsparse_index_base_b
	.p2align	8
	.type	_ZN9rocsparseL19gebsrmvn_2xn_kernelILj128ELj3ELj32EfEEvi20rocsparse_direction_NS_24const_host_device_scalarIT2_EEPKiS6_PKS3_S8_S4_PS3_21rocsparse_index_base_b,@function
_ZN9rocsparseL19gebsrmvn_2xn_kernelILj128ELj3ELj32EfEEvi20rocsparse_direction_NS_24const_host_device_scalarIT2_EEPKiS6_PKS3_S8_S4_PS3_21rocsparse_index_base_b: ; @_ZN9rocsparseL19gebsrmvn_2xn_kernelILj128ELj3ELj32EfEEvi20rocsparse_direction_NS_24const_host_device_scalarIT2_EEPKiS6_PKS3_S8_S4_PS3_21rocsparse_index_base_b
; %bb.0:
	s_clause 0x2
	s_load_b64 s[16:17], s[0:1], 0x40
	s_load_b64 s[14:15], s[0:1], 0x8
	;; [unrolled: 1-line block ×3, first 2 shown]
	s_wait_kmcnt 0x0
	s_bitcmp1_b32 s17, 0
	s_cselect_b32 s2, -1, 0
	s_delay_alu instid0(SALU_CYCLE_1)
	s_and_b32 vcc_lo, exec_lo, s2
	s_xor_b32 s2, s2, -1
	s_cbranch_vccnz .LBB8_2
; %bb.1:
	s_load_b32 s14, s[14:15], 0x0
.LBB8_2:
	s_and_not1_b32 vcc_lo, exec_lo, s2
	s_cbranch_vccnz .LBB8_4
; %bb.3:
	s_load_b32 s12, s[12:13], 0x0
.LBB8_4:
	s_wait_kmcnt 0x0
	s_cmp_eq_f32 s14, 0
	s_cselect_b32 s2, -1, 0
	s_cmp_eq_f32 s12, 1.0
	s_cselect_b32 s3, -1, 0
	s_delay_alu instid0(SALU_CYCLE_1) | instskip(NEXT) | instid1(SALU_CYCLE_1)
	s_and_b32 s2, s2, s3
	s_and_b32 vcc_lo, exec_lo, s2
	s_cbranch_vccnz .LBB8_23
; %bb.5:
	s_load_b64 s[2:3], s[0:1], 0x0
	s_bfe_u32 s4, ttmp6, 0x4000c
	s_and_b32 s5, ttmp6, 15
	s_add_co_i32 s4, s4, 1
	s_getreg_b32 s6, hwreg(HW_REG_IB_STS2, 6, 4)
	s_mul_i32 s4, ttmp9, s4
	v_lshrrev_b32_e32 v1, 5, v0
	s_add_co_i32 s5, s5, s4
	s_cmp_eq_u32 s6, 0
	s_cselect_b32 s4, ttmp9, s5
	s_delay_alu instid0(VALU_DEP_1) | instid1(SALU_CYCLE_1)
	v_lshl_or_b32 v2, s4, 2, v1
	s_wait_kmcnt 0x0
	s_delay_alu instid0(VALU_DEP_1)
	v_cmp_gt_i32_e32 vcc_lo, s2, v2
	s_and_saveexec_b32 s2, vcc_lo
	s_cbranch_execz .LBB8_23
; %bb.6:
	s_load_b256 s[4:11], s[0:1], 0x10
	v_ashrrev_i32_e32 v3, 31, v2
	s_cmp_lg_u32 s3, 0
	s_wait_kmcnt 0x0
	s_delay_alu instid0(VALU_DEP_1)
	v_lshl_add_u64 v[4:5], v[2:3], 2, s[4:5]
	v_and_b32_e32 v3, 31, v0
	global_load_b64 v[4:5], v[4:5], off
	s_wait_loadcnt 0x0
	v_subrev_nc_u32_e32 v0, s16, v4
	v_subrev_nc_u32_e32 v6, s16, v5
	s_delay_alu instid0(VALU_DEP_2) | instskip(NEXT) | instid1(VALU_DEP_1)
	v_add_nc_u32_e32 v7, v0, v3
	v_cmp_lt_i32_e64 s2, v7, v6
	s_cbranch_scc0 .LBB8_12
; %bb.7:
	v_mov_b32_e32 v1, 0
	s_delay_alu instid0(VALU_DEP_1)
	v_mov_b32_e32 v0, v1
	s_and_saveexec_b32 s3, s2
	s_cbranch_execz .LBB8_11
; %bb.8:
	v_mul_lo_u32 v4, v7, 6
	v_dual_mov_b32 v5, 0 :: v_dual_mov_b32 v8, v7
	s_mov_b32 s4, 0
	s_delay_alu instid0(VALU_DEP_1)
	v_dual_mov_b32 v0, v5 :: v_dual_mov_b32 v1, v5
.LBB8_9:                                ; =>This Inner Loop Header: Depth=1
	global_load_b32 v9, v8, s[6:7] scale_offset
	v_lshl_add_u64 v[10:11], v[4:5], 2, s[8:9]
	v_dual_mov_b32 v13, v5 :: v_dual_add_nc_u32 v12, 2, v4
	v_dual_mov_b32 v15, v5 :: v_dual_add_nc_u32 v14, 4, v4
	global_load_b64 v[10:11], v[10:11], off
	s_wait_xcnt 0x1
	v_add_nc_u32_e32 v8, 32, v8
	v_lshl_add_u64 v[12:13], v[12:13], 2, s[8:9]
	v_add_nc_u32_e32 v4, 0xc0, v4
	v_lshl_add_u64 v[14:15], v[14:15], 2, s[8:9]
	s_delay_alu instid0(VALU_DEP_4) | instskip(SKIP_4) | instid1(VALU_DEP_1)
	v_cmp_ge_i32_e32 vcc_lo, v8, v6
	global_load_b64 v[12:13], v[12:13], off
	s_or_b32 s4, vcc_lo, s4
	s_wait_loadcnt 0x2
	v_subrev_nc_u32_e32 v9, s16, v9
	v_lshl_add_u32 v9, v9, 1, v9
	global_load_b32 v16, v9, s[10:11] scale_offset
	s_wait_xcnt 0x0
	v_dual_add_nc_u32 v17, 1, v9 :: v_dual_add_nc_u32 v9, 2, v9
	global_load_b32 v18, v17, s[10:11] scale_offset
	global_load_b64 v[20:21], v[14:15], off
	global_load_b32 v22, v9, s[10:11] scale_offset
	s_wait_loadcnt 0x3
	v_pk_fma_f32 v[0:1], v[10:11], v[16:17], v[0:1] op_sel_hi:[1,0,1]
	s_wait_loadcnt 0x2
	s_delay_alu instid0(VALU_DEP_1) | instskip(SKIP_1) | instid1(VALU_DEP_1)
	v_pk_fma_f32 v[0:1], v[12:13], v[18:19], v[0:1] op_sel_hi:[1,0,1]
	s_wait_loadcnt 0x0
	v_pk_fma_f32 v[0:1], v[20:21], v[22:23], v[0:1] op_sel_hi:[1,0,1]
	s_and_not1_b32 exec_lo, exec_lo, s4
	s_cbranch_execnz .LBB8_9
; %bb.10:
	s_or_b32 exec_lo, exec_lo, s4
.LBB8_11:
	s_delay_alu instid0(SALU_CYCLE_1)
	s_or_b32 exec_lo, exec_lo, s3
	s_cbranch_execz .LBB8_13
	s_branch .LBB8_18
.LBB8_12:
                                        ; implicit-def: $vgpr1
.LBB8_13:
	v_mov_b32_e32 v1, 0
	s_delay_alu instid0(VALU_DEP_1)
	v_mov_b32_e32 v0, v1
	s_and_saveexec_b32 s3, s2
	s_cbranch_execz .LBB8_17
; %bb.14:
	v_mad_u32 v8, v7, 6, 5
	v_mov_b32_e32 v5, 0
	s_mov_b32 s2, 0
	s_delay_alu instid0(VALU_DEP_1)
	v_dual_mov_b32 v0, v5 :: v_dual_mov_b32 v1, v5
.LBB8_15:                               ; =>This Inner Loop Header: Depth=1
	global_load_b32 v9, v7, s[6:7] scale_offset
	v_dual_add_nc_u32 v4, -5, v8 :: v_dual_add_nc_u32 v14, -1, v8
	s_wait_xcnt 0x0
	v_dual_add_nc_u32 v17, -3, v8 :: v_dual_add_nc_u32 v7, 32, v7
	s_delay_alu instid0(VALU_DEP_2) | instskip(NEXT) | instid1(VALU_DEP_2)
	v_lshl_add_u64 v[10:11], v[4:5], 2, s[8:9]
	v_cmp_ge_i32_e32 vcc_lo, v7, v6
	global_load_b64 v[10:11], v[10:11], off
	s_or_b32 s2, vcc_lo, s2
	s_wait_loadcnt 0x1
	v_subrev_nc_u32_e32 v4, s16, v9
	v_add_nc_u32_e32 v9, -2, v8
	s_delay_alu instid0(VALU_DEP_2)
	v_lshl_add_u32 v12, v4, 1, v4
	global_load_b32 v13, v9, s[8:9] scale_offset
	global_load_b32 v4, v12, s[10:11] scale_offset
	s_wait_xcnt 0x0
	v_dual_add_nc_u32 v9, 1, v12 :: v_dual_add_nc_u32 v12, 2, v12
	global_load_b32 v15, v14, s[8:9] scale_offset
	global_load_b32 v16, v9, s[10:11] scale_offset
	s_clause 0x1
	global_load_b32 v19, v8, s[8:9] scale_offset
	global_load_b32 v18, v17, s[8:9] scale_offset
	global_load_b32 v20, v12, s[10:11] scale_offset
	s_wait_loadcnt 0x7
	s_wait_xcnt 0x0
	v_dual_mov_b32 v12, v10 :: v_dual_mov_b32 v14, v11
	v_add_nc_u32_e32 v8, 0xc0, v8
	s_wait_loadcnt 0x5
	s_delay_alu instid0(VALU_DEP_2) | instskip(SKIP_1) | instid1(VALU_DEP_1)
	v_pk_fma_f32 v[0:1], v[12:13], v[4:5], v[0:1] op_sel_hi:[1,0,1]
	s_wait_loadcnt 0x3
	v_pk_fma_f32 v[0:1], v[14:15], v[16:17], v[0:1] op_sel_hi:[1,0,1]
	s_wait_loadcnt 0x0
	s_delay_alu instid0(VALU_DEP_1)
	v_pk_fma_f32 v[0:1], v[18:19], v[20:21], v[0:1] op_sel_hi:[1,0,1]
	s_and_not1_b32 exec_lo, exec_lo, s2
	s_cbranch_execnz .LBB8_15
; %bb.16:
	s_or_b32 exec_lo, exec_lo, s2
.LBB8_17:
	s_delay_alu instid0(SALU_CYCLE_1)
	s_or_b32 exec_lo, exec_lo, s3
.LBB8_18:
	v_mbcnt_lo_u32_b32 v6, -1, 0
	s_mov_b32 s2, -1
	s_delay_alu instid0(VALU_DEP_1) | instskip(SKIP_1) | instid1(VALU_DEP_1)
	v_xor_b32_e32 v7, 8, v6
	v_xor_b32_e32 v4, 16, v6
	v_cmp_gt_i32_e32 vcc_lo, 32, v4
	v_cndmask_b32_e32 v4, v6, v4, vcc_lo
	s_delay_alu instid0(VALU_DEP_4) | instskip(SKIP_1) | instid1(VALU_DEP_1)
	v_cmp_gt_i32_e32 vcc_lo, 32, v7
	v_cndmask_b32_e32 v7, v6, v7, vcc_lo
	v_dual_lshlrev_b32 v7, 2, v7 :: v_dual_lshlrev_b32 v5, 2, v4
	ds_bpermute_b32 v4, v5, v0
	ds_bpermute_b32 v5, v5, v1
	s_wait_dscnt 0x0
	v_pk_add_f32 v[0:1], v[0:1], v[4:5]
	ds_bpermute_b32 v4, v7, v0
	ds_bpermute_b32 v5, v7, v1
	v_xor_b32_e32 v7, 4, v6
	s_delay_alu instid0(VALU_DEP_1) | instskip(SKIP_1) | instid1(VALU_DEP_1)
	v_cmp_gt_i32_e32 vcc_lo, 32, v7
	v_cndmask_b32_e32 v7, v6, v7, vcc_lo
	v_lshlrev_b32_e32 v7, 2, v7
	s_wait_dscnt 0x0
	v_pk_add_f32 v[0:1], v[0:1], v[4:5]
	ds_bpermute_b32 v4, v7, v0
	ds_bpermute_b32 v5, v7, v1
	v_xor_b32_e32 v7, 2, v6
	s_delay_alu instid0(VALU_DEP_1) | instskip(SKIP_1) | instid1(VALU_DEP_1)
	v_cmp_gt_i32_e32 vcc_lo, 32, v7
	v_cndmask_b32_e32 v7, v6, v7, vcc_lo
	v_lshlrev_b32_e32 v7, 2, v7
	s_wait_dscnt 0x0
	v_pk_add_f32 v[0:1], v[0:1], v[4:5]
	ds_bpermute_b32 v4, v7, v0
	ds_bpermute_b32 v5, v7, v1
	v_xor_b32_e32 v7, 1, v6
	s_delay_alu instid0(VALU_DEP_1) | instskip(SKIP_2) | instid1(VALU_DEP_2)
	v_cmp_gt_i32_e32 vcc_lo, 32, v7
	v_cndmask_b32_e32 v6, v6, v7, vcc_lo
	v_cmp_eq_u32_e32 vcc_lo, 31, v3
	v_lshlrev_b32_e32 v6, 2, v6
	s_wait_dscnt 0x0
	v_pk_add_f32 v[0:1], v[0:1], v[4:5]
	ds_bpermute_b32 v4, v6, v0
	ds_bpermute_b32 v5, v6, v1
	s_and_b32 exec_lo, exec_lo, vcc_lo
	s_cbranch_execz .LBB8_23
; %bb.19:
	s_load_b64 s[0:1], s[0:1], 0x38
	s_wait_dscnt 0x0
	v_pk_add_f32 v[0:1], v[0:1], v[4:5]
	v_lshlrev_b32_e32 v2, 1, v2
	s_cmp_eq_f32 s12, 0
	s_cbranch_scc0 .LBB8_21
; %bb.20:
	s_delay_alu instid0(VALU_DEP_1) | instskip(SKIP_3) | instid1(VALU_DEP_2)
	v_ashrrev_i32_e32 v3, 31, v2
	v_pk_mul_f32 v[6:7], s[14:15], v[0:1] op_sel_hi:[0,1]
	s_mov_b32 s2, 0
	s_wait_kmcnt 0x0
	v_lshl_add_u64 v[4:5], v[2:3], 2, s[0:1]
	global_store_b64 v[4:5], v[6:7], off
.LBB8_21:
	s_and_not1_b32 vcc_lo, exec_lo, s2
	s_cbranch_vccnz .LBB8_23
; %bb.22:
	v_ashrrev_i32_e32 v3, 31, v2
	v_pk_mul_f32 v[0:1], s[14:15], v[0:1] op_sel_hi:[0,1]
	s_wait_kmcnt 0x0
	s_delay_alu instid0(VALU_DEP_2)
	v_lshl_add_u64 v[2:3], v[2:3], 2, s[0:1]
	global_load_b64 v[4:5], v[2:3], off
	s_wait_loadcnt 0x0
	v_pk_fma_f32 v[0:1], s[12:13], v[4:5], v[0:1] op_sel_hi:[0,1,1]
	global_store_b64 v[2:3], v[0:1], off
.LBB8_23:
	s_endpgm
	.section	.rodata,"a",@progbits
	.p2align	6, 0x0
	.amdhsa_kernel _ZN9rocsparseL19gebsrmvn_2xn_kernelILj128ELj3ELj32EfEEvi20rocsparse_direction_NS_24const_host_device_scalarIT2_EEPKiS6_PKS3_S8_S4_PS3_21rocsparse_index_base_b
		.amdhsa_group_segment_fixed_size 0
		.amdhsa_private_segment_fixed_size 0
		.amdhsa_kernarg_size 72
		.amdhsa_user_sgpr_count 2
		.amdhsa_user_sgpr_dispatch_ptr 0
		.amdhsa_user_sgpr_queue_ptr 0
		.amdhsa_user_sgpr_kernarg_segment_ptr 1
		.amdhsa_user_sgpr_dispatch_id 0
		.amdhsa_user_sgpr_kernarg_preload_length 0
		.amdhsa_user_sgpr_kernarg_preload_offset 0
		.amdhsa_user_sgpr_private_segment_size 0
		.amdhsa_wavefront_size32 1
		.amdhsa_uses_dynamic_stack 0
		.amdhsa_enable_private_segment 0
		.amdhsa_system_sgpr_workgroup_id_x 1
		.amdhsa_system_sgpr_workgroup_id_y 0
		.amdhsa_system_sgpr_workgroup_id_z 0
		.amdhsa_system_sgpr_workgroup_info 0
		.amdhsa_system_vgpr_workitem_id 0
		.amdhsa_next_free_vgpr 24
		.amdhsa_next_free_sgpr 18
		.amdhsa_named_barrier_count 0
		.amdhsa_reserve_vcc 1
		.amdhsa_float_round_mode_32 0
		.amdhsa_float_round_mode_16_64 0
		.amdhsa_float_denorm_mode_32 3
		.amdhsa_float_denorm_mode_16_64 3
		.amdhsa_fp16_overflow 0
		.amdhsa_memory_ordered 1
		.amdhsa_forward_progress 1
		.amdhsa_inst_pref_size 11
		.amdhsa_round_robin_scheduling 0
		.amdhsa_exception_fp_ieee_invalid_op 0
		.amdhsa_exception_fp_denorm_src 0
		.amdhsa_exception_fp_ieee_div_zero 0
		.amdhsa_exception_fp_ieee_overflow 0
		.amdhsa_exception_fp_ieee_underflow 0
		.amdhsa_exception_fp_ieee_inexact 0
		.amdhsa_exception_int_div_zero 0
	.end_amdhsa_kernel
	.section	.text._ZN9rocsparseL19gebsrmvn_2xn_kernelILj128ELj3ELj32EfEEvi20rocsparse_direction_NS_24const_host_device_scalarIT2_EEPKiS6_PKS3_S8_S4_PS3_21rocsparse_index_base_b,"axG",@progbits,_ZN9rocsparseL19gebsrmvn_2xn_kernelILj128ELj3ELj32EfEEvi20rocsparse_direction_NS_24const_host_device_scalarIT2_EEPKiS6_PKS3_S8_S4_PS3_21rocsparse_index_base_b,comdat
.Lfunc_end8:
	.size	_ZN9rocsparseL19gebsrmvn_2xn_kernelILj128ELj3ELj32EfEEvi20rocsparse_direction_NS_24const_host_device_scalarIT2_EEPKiS6_PKS3_S8_S4_PS3_21rocsparse_index_base_b, .Lfunc_end8-_ZN9rocsparseL19gebsrmvn_2xn_kernelILj128ELj3ELj32EfEEvi20rocsparse_direction_NS_24const_host_device_scalarIT2_EEPKiS6_PKS3_S8_S4_PS3_21rocsparse_index_base_b
                                        ; -- End function
	.set _ZN9rocsparseL19gebsrmvn_2xn_kernelILj128ELj3ELj32EfEEvi20rocsparse_direction_NS_24const_host_device_scalarIT2_EEPKiS6_PKS3_S8_S4_PS3_21rocsparse_index_base_b.num_vgpr, 24
	.set _ZN9rocsparseL19gebsrmvn_2xn_kernelILj128ELj3ELj32EfEEvi20rocsparse_direction_NS_24const_host_device_scalarIT2_EEPKiS6_PKS3_S8_S4_PS3_21rocsparse_index_base_b.num_agpr, 0
	.set _ZN9rocsparseL19gebsrmvn_2xn_kernelILj128ELj3ELj32EfEEvi20rocsparse_direction_NS_24const_host_device_scalarIT2_EEPKiS6_PKS3_S8_S4_PS3_21rocsparse_index_base_b.numbered_sgpr, 18
	.set _ZN9rocsparseL19gebsrmvn_2xn_kernelILj128ELj3ELj32EfEEvi20rocsparse_direction_NS_24const_host_device_scalarIT2_EEPKiS6_PKS3_S8_S4_PS3_21rocsparse_index_base_b.num_named_barrier, 0
	.set _ZN9rocsparseL19gebsrmvn_2xn_kernelILj128ELj3ELj32EfEEvi20rocsparse_direction_NS_24const_host_device_scalarIT2_EEPKiS6_PKS3_S8_S4_PS3_21rocsparse_index_base_b.private_seg_size, 0
	.set _ZN9rocsparseL19gebsrmvn_2xn_kernelILj128ELj3ELj32EfEEvi20rocsparse_direction_NS_24const_host_device_scalarIT2_EEPKiS6_PKS3_S8_S4_PS3_21rocsparse_index_base_b.uses_vcc, 1
	.set _ZN9rocsparseL19gebsrmvn_2xn_kernelILj128ELj3ELj32EfEEvi20rocsparse_direction_NS_24const_host_device_scalarIT2_EEPKiS6_PKS3_S8_S4_PS3_21rocsparse_index_base_b.uses_flat_scratch, 0
	.set _ZN9rocsparseL19gebsrmvn_2xn_kernelILj128ELj3ELj32EfEEvi20rocsparse_direction_NS_24const_host_device_scalarIT2_EEPKiS6_PKS3_S8_S4_PS3_21rocsparse_index_base_b.has_dyn_sized_stack, 0
	.set _ZN9rocsparseL19gebsrmvn_2xn_kernelILj128ELj3ELj32EfEEvi20rocsparse_direction_NS_24const_host_device_scalarIT2_EEPKiS6_PKS3_S8_S4_PS3_21rocsparse_index_base_b.has_recursion, 0
	.set _ZN9rocsparseL19gebsrmvn_2xn_kernelILj128ELj3ELj32EfEEvi20rocsparse_direction_NS_24const_host_device_scalarIT2_EEPKiS6_PKS3_S8_S4_PS3_21rocsparse_index_base_b.has_indirect_call, 0
	.section	.AMDGPU.csdata,"",@progbits
; Kernel info:
; codeLenInByte = 1328
; TotalNumSgprs: 20
; NumVgprs: 24
; ScratchSize: 0
; MemoryBound: 0
; FloatMode: 240
; IeeeMode: 1
; LDSByteSize: 0 bytes/workgroup (compile time only)
; SGPRBlocks: 0
; VGPRBlocks: 1
; NumSGPRsForWavesPerEU: 20
; NumVGPRsForWavesPerEU: 24
; NamedBarCnt: 0
; Occupancy: 16
; WaveLimiterHint : 1
; COMPUTE_PGM_RSRC2:SCRATCH_EN: 0
; COMPUTE_PGM_RSRC2:USER_SGPR: 2
; COMPUTE_PGM_RSRC2:TRAP_HANDLER: 0
; COMPUTE_PGM_RSRC2:TGID_X_EN: 1
; COMPUTE_PGM_RSRC2:TGID_Y_EN: 0
; COMPUTE_PGM_RSRC2:TGID_Z_EN: 0
; COMPUTE_PGM_RSRC2:TIDIG_COMP_CNT: 0
	.section	.text._ZN9rocsparseL19gebsrmvn_2xn_kernelILj128ELj3ELj64EfEEvi20rocsparse_direction_NS_24const_host_device_scalarIT2_EEPKiS6_PKS3_S8_S4_PS3_21rocsparse_index_base_b,"axG",@progbits,_ZN9rocsparseL19gebsrmvn_2xn_kernelILj128ELj3ELj64EfEEvi20rocsparse_direction_NS_24const_host_device_scalarIT2_EEPKiS6_PKS3_S8_S4_PS3_21rocsparse_index_base_b,comdat
	.globl	_ZN9rocsparseL19gebsrmvn_2xn_kernelILj128ELj3ELj64EfEEvi20rocsparse_direction_NS_24const_host_device_scalarIT2_EEPKiS6_PKS3_S8_S4_PS3_21rocsparse_index_base_b ; -- Begin function _ZN9rocsparseL19gebsrmvn_2xn_kernelILj128ELj3ELj64EfEEvi20rocsparse_direction_NS_24const_host_device_scalarIT2_EEPKiS6_PKS3_S8_S4_PS3_21rocsparse_index_base_b
	.p2align	8
	.type	_ZN9rocsparseL19gebsrmvn_2xn_kernelILj128ELj3ELj64EfEEvi20rocsparse_direction_NS_24const_host_device_scalarIT2_EEPKiS6_PKS3_S8_S4_PS3_21rocsparse_index_base_b,@function
_ZN9rocsparseL19gebsrmvn_2xn_kernelILj128ELj3ELj64EfEEvi20rocsparse_direction_NS_24const_host_device_scalarIT2_EEPKiS6_PKS3_S8_S4_PS3_21rocsparse_index_base_b: ; @_ZN9rocsparseL19gebsrmvn_2xn_kernelILj128ELj3ELj64EfEEvi20rocsparse_direction_NS_24const_host_device_scalarIT2_EEPKiS6_PKS3_S8_S4_PS3_21rocsparse_index_base_b
; %bb.0:
	s_clause 0x2
	s_load_b64 s[16:17], s[0:1], 0x40
	s_load_b64 s[14:15], s[0:1], 0x8
	;; [unrolled: 1-line block ×3, first 2 shown]
	s_wait_kmcnt 0x0
	s_bitcmp1_b32 s17, 0
	s_cselect_b32 s2, -1, 0
	s_delay_alu instid0(SALU_CYCLE_1)
	s_and_b32 vcc_lo, exec_lo, s2
	s_xor_b32 s2, s2, -1
	s_cbranch_vccnz .LBB9_2
; %bb.1:
	s_load_b32 s14, s[14:15], 0x0
.LBB9_2:
	s_and_not1_b32 vcc_lo, exec_lo, s2
	s_cbranch_vccnz .LBB9_4
; %bb.3:
	s_load_b32 s12, s[12:13], 0x0
.LBB9_4:
	s_wait_kmcnt 0x0
	s_cmp_eq_f32 s14, 0
	s_cselect_b32 s2, -1, 0
	s_cmp_eq_f32 s12, 1.0
	s_cselect_b32 s3, -1, 0
	s_delay_alu instid0(SALU_CYCLE_1) | instskip(NEXT) | instid1(SALU_CYCLE_1)
	s_and_b32 s2, s2, s3
	s_and_b32 vcc_lo, exec_lo, s2
	s_cbranch_vccnz .LBB9_23
; %bb.5:
	s_load_b64 s[2:3], s[0:1], 0x0
	s_bfe_u32 s4, ttmp6, 0x4000c
	s_and_b32 s5, ttmp6, 15
	s_add_co_i32 s4, s4, 1
	s_getreg_b32 s6, hwreg(HW_REG_IB_STS2, 6, 4)
	s_mul_i32 s4, ttmp9, s4
	v_lshrrev_b32_e32 v1, 6, v0
	s_add_co_i32 s5, s5, s4
	s_cmp_eq_u32 s6, 0
	s_cselect_b32 s4, ttmp9, s5
	s_delay_alu instid0(VALU_DEP_1) | instid1(SALU_CYCLE_1)
	v_lshl_or_b32 v2, s4, 1, v1
	s_wait_kmcnt 0x0
	s_delay_alu instid0(VALU_DEP_1)
	v_cmp_gt_i32_e32 vcc_lo, s2, v2
	s_and_saveexec_b32 s2, vcc_lo
	s_cbranch_execz .LBB9_23
; %bb.6:
	s_load_b256 s[4:11], s[0:1], 0x10
	v_ashrrev_i32_e32 v3, 31, v2
	s_cmp_lg_u32 s3, 0
	s_wait_kmcnt 0x0
	s_delay_alu instid0(VALU_DEP_1)
	v_lshl_add_u64 v[4:5], v[2:3], 2, s[4:5]
	v_and_b32_e32 v3, 63, v0
	global_load_b64 v[4:5], v[4:5], off
	s_wait_loadcnt 0x0
	v_subrev_nc_u32_e32 v0, s16, v4
	v_subrev_nc_u32_e32 v6, s16, v5
	s_delay_alu instid0(VALU_DEP_2) | instskip(NEXT) | instid1(VALU_DEP_1)
	v_add_nc_u32_e32 v7, v0, v3
	v_cmp_lt_i32_e64 s2, v7, v6
	s_cbranch_scc0 .LBB9_12
; %bb.7:
	v_mov_b32_e32 v1, 0
	s_delay_alu instid0(VALU_DEP_1)
	v_mov_b32_e32 v0, v1
	s_and_saveexec_b32 s3, s2
	s_cbranch_execz .LBB9_11
; %bb.8:
	v_mul_lo_u32 v4, v7, 6
	v_dual_mov_b32 v5, 0 :: v_dual_mov_b32 v8, v7
	s_mov_b32 s4, 0
	s_delay_alu instid0(VALU_DEP_1)
	v_dual_mov_b32 v0, v5 :: v_dual_mov_b32 v1, v5
.LBB9_9:                                ; =>This Inner Loop Header: Depth=1
	global_load_b32 v9, v8, s[6:7] scale_offset
	v_lshl_add_u64 v[10:11], v[4:5], 2, s[8:9]
	v_dual_mov_b32 v13, v5 :: v_dual_add_nc_u32 v12, 2, v4
	v_dual_mov_b32 v15, v5 :: v_dual_add_nc_u32 v14, 4, v4
	global_load_b64 v[10:11], v[10:11], off
	s_wait_xcnt 0x1
	v_add_nc_u32_e32 v8, 64, v8
	v_lshl_add_u64 v[12:13], v[12:13], 2, s[8:9]
	v_add_nc_u32_e32 v4, 0x180, v4
	v_lshl_add_u64 v[14:15], v[14:15], 2, s[8:9]
	s_delay_alu instid0(VALU_DEP_4) | instskip(SKIP_4) | instid1(VALU_DEP_1)
	v_cmp_ge_i32_e32 vcc_lo, v8, v6
	global_load_b64 v[12:13], v[12:13], off
	s_or_b32 s4, vcc_lo, s4
	s_wait_loadcnt 0x2
	v_subrev_nc_u32_e32 v9, s16, v9
	v_lshl_add_u32 v9, v9, 1, v9
	global_load_b32 v16, v9, s[10:11] scale_offset
	s_wait_xcnt 0x0
	v_dual_add_nc_u32 v17, 1, v9 :: v_dual_add_nc_u32 v9, 2, v9
	global_load_b32 v18, v17, s[10:11] scale_offset
	global_load_b64 v[20:21], v[14:15], off
	global_load_b32 v22, v9, s[10:11] scale_offset
	s_wait_loadcnt 0x3
	v_pk_fma_f32 v[0:1], v[10:11], v[16:17], v[0:1] op_sel_hi:[1,0,1]
	s_wait_loadcnt 0x2
	s_delay_alu instid0(VALU_DEP_1) | instskip(SKIP_1) | instid1(VALU_DEP_1)
	v_pk_fma_f32 v[0:1], v[12:13], v[18:19], v[0:1] op_sel_hi:[1,0,1]
	s_wait_loadcnt 0x0
	v_pk_fma_f32 v[0:1], v[20:21], v[22:23], v[0:1] op_sel_hi:[1,0,1]
	s_and_not1_b32 exec_lo, exec_lo, s4
	s_cbranch_execnz .LBB9_9
; %bb.10:
	s_or_b32 exec_lo, exec_lo, s4
.LBB9_11:
	s_delay_alu instid0(SALU_CYCLE_1)
	s_or_b32 exec_lo, exec_lo, s3
	s_cbranch_execz .LBB9_13
	s_branch .LBB9_18
.LBB9_12:
                                        ; implicit-def: $vgpr1
.LBB9_13:
	v_mov_b32_e32 v1, 0
	s_delay_alu instid0(VALU_DEP_1)
	v_mov_b32_e32 v0, v1
	s_and_saveexec_b32 s3, s2
	s_cbranch_execz .LBB9_17
; %bb.14:
	v_mad_u32 v8, v7, 6, 5
	v_mov_b32_e32 v5, 0
	s_mov_b32 s2, 0
	s_delay_alu instid0(VALU_DEP_1)
	v_dual_mov_b32 v0, v5 :: v_dual_mov_b32 v1, v5
.LBB9_15:                               ; =>This Inner Loop Header: Depth=1
	global_load_b32 v9, v7, s[6:7] scale_offset
	v_dual_add_nc_u32 v4, -5, v8 :: v_dual_add_nc_u32 v14, -1, v8
	s_wait_xcnt 0x0
	v_dual_add_nc_u32 v17, -3, v8 :: v_dual_add_nc_u32 v7, 64, v7
	s_delay_alu instid0(VALU_DEP_2) | instskip(NEXT) | instid1(VALU_DEP_2)
	v_lshl_add_u64 v[10:11], v[4:5], 2, s[8:9]
	v_cmp_ge_i32_e32 vcc_lo, v7, v6
	global_load_b64 v[10:11], v[10:11], off
	s_or_b32 s2, vcc_lo, s2
	s_wait_loadcnt 0x1
	v_subrev_nc_u32_e32 v4, s16, v9
	v_add_nc_u32_e32 v9, -2, v8
	s_delay_alu instid0(VALU_DEP_2)
	v_lshl_add_u32 v12, v4, 1, v4
	global_load_b32 v13, v9, s[8:9] scale_offset
	global_load_b32 v4, v12, s[10:11] scale_offset
	s_wait_xcnt 0x0
	v_dual_add_nc_u32 v9, 1, v12 :: v_dual_add_nc_u32 v12, 2, v12
	global_load_b32 v15, v14, s[8:9] scale_offset
	global_load_b32 v16, v9, s[10:11] scale_offset
	s_clause 0x1
	global_load_b32 v19, v8, s[8:9] scale_offset
	global_load_b32 v18, v17, s[8:9] scale_offset
	;; [unrolled: 1-line block ×3, first 2 shown]
	s_wait_loadcnt 0x7
	s_wait_xcnt 0x0
	v_dual_mov_b32 v12, v10 :: v_dual_mov_b32 v14, v11
	v_add_nc_u32_e32 v8, 0x180, v8
	s_wait_loadcnt 0x5
	s_delay_alu instid0(VALU_DEP_2) | instskip(SKIP_1) | instid1(VALU_DEP_1)
	v_pk_fma_f32 v[0:1], v[12:13], v[4:5], v[0:1] op_sel_hi:[1,0,1]
	s_wait_loadcnt 0x3
	v_pk_fma_f32 v[0:1], v[14:15], v[16:17], v[0:1] op_sel_hi:[1,0,1]
	s_wait_loadcnt 0x0
	s_delay_alu instid0(VALU_DEP_1)
	v_pk_fma_f32 v[0:1], v[18:19], v[20:21], v[0:1] op_sel_hi:[1,0,1]
	s_and_not1_b32 exec_lo, exec_lo, s2
	s_cbranch_execnz .LBB9_15
; %bb.16:
	s_or_b32 exec_lo, exec_lo, s2
.LBB9_17:
	s_delay_alu instid0(SALU_CYCLE_1)
	s_or_b32 exec_lo, exec_lo, s3
.LBB9_18:
	v_mbcnt_lo_u32_b32 v6, -1, 0
	s_mov_b32 s2, -1
	s_delay_alu instid0(VALU_DEP_1) | instskip(SKIP_1) | instid1(VALU_DEP_1)
	v_xor_b32_e32 v7, 16, v6
	v_or_b32_e32 v4, 32, v6
	v_cmp_gt_i32_e32 vcc_lo, 32, v4
	v_cndmask_b32_e32 v4, v6, v4, vcc_lo
	s_delay_alu instid0(VALU_DEP_4) | instskip(SKIP_1) | instid1(VALU_DEP_1)
	v_cmp_gt_i32_e32 vcc_lo, 32, v7
	v_cndmask_b32_e32 v7, v6, v7, vcc_lo
	v_dual_lshlrev_b32 v7, 2, v7 :: v_dual_lshlrev_b32 v5, 2, v4
	ds_bpermute_b32 v4, v5, v0
	ds_bpermute_b32 v5, v5, v1
	s_wait_dscnt 0x0
	v_pk_add_f32 v[0:1], v[0:1], v[4:5]
	ds_bpermute_b32 v4, v7, v0
	ds_bpermute_b32 v5, v7, v1
	v_xor_b32_e32 v7, 8, v6
	s_delay_alu instid0(VALU_DEP_1) | instskip(SKIP_1) | instid1(VALU_DEP_1)
	v_cmp_gt_i32_e32 vcc_lo, 32, v7
	v_cndmask_b32_e32 v7, v6, v7, vcc_lo
	v_lshlrev_b32_e32 v7, 2, v7
	s_wait_dscnt 0x0
	v_pk_add_f32 v[0:1], v[0:1], v[4:5]
	ds_bpermute_b32 v4, v7, v0
	ds_bpermute_b32 v5, v7, v1
	v_xor_b32_e32 v7, 4, v6
	s_delay_alu instid0(VALU_DEP_1) | instskip(SKIP_1) | instid1(VALU_DEP_1)
	v_cmp_gt_i32_e32 vcc_lo, 32, v7
	v_cndmask_b32_e32 v7, v6, v7, vcc_lo
	v_lshlrev_b32_e32 v7, 2, v7
	;; [unrolled: 9-line block ×3, first 2 shown]
	s_wait_dscnt 0x0
	v_pk_add_f32 v[0:1], v[0:1], v[4:5]
	ds_bpermute_b32 v4, v7, v0
	ds_bpermute_b32 v5, v7, v1
	v_xor_b32_e32 v7, 1, v6
	s_delay_alu instid0(VALU_DEP_1) | instskip(SKIP_2) | instid1(VALU_DEP_2)
	v_cmp_gt_i32_e32 vcc_lo, 32, v7
	v_cndmask_b32_e32 v6, v6, v7, vcc_lo
	v_cmp_eq_u32_e32 vcc_lo, 63, v3
	v_lshlrev_b32_e32 v6, 2, v6
	s_wait_dscnt 0x0
	v_pk_add_f32 v[0:1], v[0:1], v[4:5]
	ds_bpermute_b32 v4, v6, v0
	ds_bpermute_b32 v5, v6, v1
	s_and_b32 exec_lo, exec_lo, vcc_lo
	s_cbranch_execz .LBB9_23
; %bb.19:
	s_load_b64 s[0:1], s[0:1], 0x38
	s_wait_dscnt 0x0
	v_pk_add_f32 v[0:1], v[0:1], v[4:5]
	v_lshlrev_b32_e32 v2, 1, v2
	s_cmp_eq_f32 s12, 0
	s_cbranch_scc0 .LBB9_21
; %bb.20:
	s_delay_alu instid0(VALU_DEP_1) | instskip(SKIP_3) | instid1(VALU_DEP_2)
	v_ashrrev_i32_e32 v3, 31, v2
	v_pk_mul_f32 v[6:7], s[14:15], v[0:1] op_sel_hi:[0,1]
	s_mov_b32 s2, 0
	s_wait_kmcnt 0x0
	v_lshl_add_u64 v[4:5], v[2:3], 2, s[0:1]
	global_store_b64 v[4:5], v[6:7], off
.LBB9_21:
	s_and_not1_b32 vcc_lo, exec_lo, s2
	s_cbranch_vccnz .LBB9_23
; %bb.22:
	v_ashrrev_i32_e32 v3, 31, v2
	v_pk_mul_f32 v[0:1], s[14:15], v[0:1] op_sel_hi:[0,1]
	s_wait_kmcnt 0x0
	s_delay_alu instid0(VALU_DEP_2)
	v_lshl_add_u64 v[2:3], v[2:3], 2, s[0:1]
	global_load_b64 v[4:5], v[2:3], off
	s_wait_loadcnt 0x0
	v_pk_fma_f32 v[0:1], s[12:13], v[4:5], v[0:1] op_sel_hi:[0,1,1]
	global_store_b64 v[2:3], v[0:1], off
.LBB9_23:
	s_endpgm
	.section	.rodata,"a",@progbits
	.p2align	6, 0x0
	.amdhsa_kernel _ZN9rocsparseL19gebsrmvn_2xn_kernelILj128ELj3ELj64EfEEvi20rocsparse_direction_NS_24const_host_device_scalarIT2_EEPKiS6_PKS3_S8_S4_PS3_21rocsparse_index_base_b
		.amdhsa_group_segment_fixed_size 0
		.amdhsa_private_segment_fixed_size 0
		.amdhsa_kernarg_size 72
		.amdhsa_user_sgpr_count 2
		.amdhsa_user_sgpr_dispatch_ptr 0
		.amdhsa_user_sgpr_queue_ptr 0
		.amdhsa_user_sgpr_kernarg_segment_ptr 1
		.amdhsa_user_sgpr_dispatch_id 0
		.amdhsa_user_sgpr_kernarg_preload_length 0
		.amdhsa_user_sgpr_kernarg_preload_offset 0
		.amdhsa_user_sgpr_private_segment_size 0
		.amdhsa_wavefront_size32 1
		.amdhsa_uses_dynamic_stack 0
		.amdhsa_enable_private_segment 0
		.amdhsa_system_sgpr_workgroup_id_x 1
		.amdhsa_system_sgpr_workgroup_id_y 0
		.amdhsa_system_sgpr_workgroup_id_z 0
		.amdhsa_system_sgpr_workgroup_info 0
		.amdhsa_system_vgpr_workitem_id 0
		.amdhsa_next_free_vgpr 24
		.amdhsa_next_free_sgpr 18
		.amdhsa_named_barrier_count 0
		.amdhsa_reserve_vcc 1
		.amdhsa_float_round_mode_32 0
		.amdhsa_float_round_mode_16_64 0
		.amdhsa_float_denorm_mode_32 3
		.amdhsa_float_denorm_mode_16_64 3
		.amdhsa_fp16_overflow 0
		.amdhsa_memory_ordered 1
		.amdhsa_forward_progress 1
		.amdhsa_inst_pref_size 11
		.amdhsa_round_robin_scheduling 0
		.amdhsa_exception_fp_ieee_invalid_op 0
		.amdhsa_exception_fp_denorm_src 0
		.amdhsa_exception_fp_ieee_div_zero 0
		.amdhsa_exception_fp_ieee_overflow 0
		.amdhsa_exception_fp_ieee_underflow 0
		.amdhsa_exception_fp_ieee_inexact 0
		.amdhsa_exception_int_div_zero 0
	.end_amdhsa_kernel
	.section	.text._ZN9rocsparseL19gebsrmvn_2xn_kernelILj128ELj3ELj64EfEEvi20rocsparse_direction_NS_24const_host_device_scalarIT2_EEPKiS6_PKS3_S8_S4_PS3_21rocsparse_index_base_b,"axG",@progbits,_ZN9rocsparseL19gebsrmvn_2xn_kernelILj128ELj3ELj64EfEEvi20rocsparse_direction_NS_24const_host_device_scalarIT2_EEPKiS6_PKS3_S8_S4_PS3_21rocsparse_index_base_b,comdat
.Lfunc_end9:
	.size	_ZN9rocsparseL19gebsrmvn_2xn_kernelILj128ELj3ELj64EfEEvi20rocsparse_direction_NS_24const_host_device_scalarIT2_EEPKiS6_PKS3_S8_S4_PS3_21rocsparse_index_base_b, .Lfunc_end9-_ZN9rocsparseL19gebsrmvn_2xn_kernelILj128ELj3ELj64EfEEvi20rocsparse_direction_NS_24const_host_device_scalarIT2_EEPKiS6_PKS3_S8_S4_PS3_21rocsparse_index_base_b
                                        ; -- End function
	.set _ZN9rocsparseL19gebsrmvn_2xn_kernelILj128ELj3ELj64EfEEvi20rocsparse_direction_NS_24const_host_device_scalarIT2_EEPKiS6_PKS3_S8_S4_PS3_21rocsparse_index_base_b.num_vgpr, 24
	.set _ZN9rocsparseL19gebsrmvn_2xn_kernelILj128ELj3ELj64EfEEvi20rocsparse_direction_NS_24const_host_device_scalarIT2_EEPKiS6_PKS3_S8_S4_PS3_21rocsparse_index_base_b.num_agpr, 0
	.set _ZN9rocsparseL19gebsrmvn_2xn_kernelILj128ELj3ELj64EfEEvi20rocsparse_direction_NS_24const_host_device_scalarIT2_EEPKiS6_PKS3_S8_S4_PS3_21rocsparse_index_base_b.numbered_sgpr, 18
	.set _ZN9rocsparseL19gebsrmvn_2xn_kernelILj128ELj3ELj64EfEEvi20rocsparse_direction_NS_24const_host_device_scalarIT2_EEPKiS6_PKS3_S8_S4_PS3_21rocsparse_index_base_b.num_named_barrier, 0
	.set _ZN9rocsparseL19gebsrmvn_2xn_kernelILj128ELj3ELj64EfEEvi20rocsparse_direction_NS_24const_host_device_scalarIT2_EEPKiS6_PKS3_S8_S4_PS3_21rocsparse_index_base_b.private_seg_size, 0
	.set _ZN9rocsparseL19gebsrmvn_2xn_kernelILj128ELj3ELj64EfEEvi20rocsparse_direction_NS_24const_host_device_scalarIT2_EEPKiS6_PKS3_S8_S4_PS3_21rocsparse_index_base_b.uses_vcc, 1
	.set _ZN9rocsparseL19gebsrmvn_2xn_kernelILj128ELj3ELj64EfEEvi20rocsparse_direction_NS_24const_host_device_scalarIT2_EEPKiS6_PKS3_S8_S4_PS3_21rocsparse_index_base_b.uses_flat_scratch, 0
	.set _ZN9rocsparseL19gebsrmvn_2xn_kernelILj128ELj3ELj64EfEEvi20rocsparse_direction_NS_24const_host_device_scalarIT2_EEPKiS6_PKS3_S8_S4_PS3_21rocsparse_index_base_b.has_dyn_sized_stack, 0
	.set _ZN9rocsparseL19gebsrmvn_2xn_kernelILj128ELj3ELj64EfEEvi20rocsparse_direction_NS_24const_host_device_scalarIT2_EEPKiS6_PKS3_S8_S4_PS3_21rocsparse_index_base_b.has_recursion, 0
	.set _ZN9rocsparseL19gebsrmvn_2xn_kernelILj128ELj3ELj64EfEEvi20rocsparse_direction_NS_24const_host_device_scalarIT2_EEPKiS6_PKS3_S8_S4_PS3_21rocsparse_index_base_b.has_indirect_call, 0
	.section	.AMDGPU.csdata,"",@progbits
; Kernel info:
; codeLenInByte = 1376
; TotalNumSgprs: 20
; NumVgprs: 24
; ScratchSize: 0
; MemoryBound: 0
; FloatMode: 240
; IeeeMode: 1
; LDSByteSize: 0 bytes/workgroup (compile time only)
; SGPRBlocks: 0
; VGPRBlocks: 1
; NumSGPRsForWavesPerEU: 20
; NumVGPRsForWavesPerEU: 24
; NamedBarCnt: 0
; Occupancy: 16
; WaveLimiterHint : 1
; COMPUTE_PGM_RSRC2:SCRATCH_EN: 0
; COMPUTE_PGM_RSRC2:USER_SGPR: 2
; COMPUTE_PGM_RSRC2:TRAP_HANDLER: 0
; COMPUTE_PGM_RSRC2:TGID_X_EN: 1
; COMPUTE_PGM_RSRC2:TGID_Y_EN: 0
; COMPUTE_PGM_RSRC2:TGID_Z_EN: 0
; COMPUTE_PGM_RSRC2:TIDIG_COMP_CNT: 0
	.section	.text._ZN9rocsparseL19gebsrmvn_2xn_kernelILj128ELj4ELj4EfEEvi20rocsparse_direction_NS_24const_host_device_scalarIT2_EEPKiS6_PKS3_S8_S4_PS3_21rocsparse_index_base_b,"axG",@progbits,_ZN9rocsparseL19gebsrmvn_2xn_kernelILj128ELj4ELj4EfEEvi20rocsparse_direction_NS_24const_host_device_scalarIT2_EEPKiS6_PKS3_S8_S4_PS3_21rocsparse_index_base_b,comdat
	.globl	_ZN9rocsparseL19gebsrmvn_2xn_kernelILj128ELj4ELj4EfEEvi20rocsparse_direction_NS_24const_host_device_scalarIT2_EEPKiS6_PKS3_S8_S4_PS3_21rocsparse_index_base_b ; -- Begin function _ZN9rocsparseL19gebsrmvn_2xn_kernelILj128ELj4ELj4EfEEvi20rocsparse_direction_NS_24const_host_device_scalarIT2_EEPKiS6_PKS3_S8_S4_PS3_21rocsparse_index_base_b
	.p2align	8
	.type	_ZN9rocsparseL19gebsrmvn_2xn_kernelILj128ELj4ELj4EfEEvi20rocsparse_direction_NS_24const_host_device_scalarIT2_EEPKiS6_PKS3_S8_S4_PS3_21rocsparse_index_base_b,@function
_ZN9rocsparseL19gebsrmvn_2xn_kernelILj128ELj4ELj4EfEEvi20rocsparse_direction_NS_24const_host_device_scalarIT2_EEPKiS6_PKS3_S8_S4_PS3_21rocsparse_index_base_b: ; @_ZN9rocsparseL19gebsrmvn_2xn_kernelILj128ELj4ELj4EfEEvi20rocsparse_direction_NS_24const_host_device_scalarIT2_EEPKiS6_PKS3_S8_S4_PS3_21rocsparse_index_base_b
; %bb.0:
	s_clause 0x2
	s_load_b64 s[16:17], s[0:1], 0x40
	s_load_b64 s[14:15], s[0:1], 0x8
	;; [unrolled: 1-line block ×3, first 2 shown]
	s_wait_kmcnt 0x0
	s_bitcmp1_b32 s17, 0
	s_cselect_b32 s2, -1, 0
	s_delay_alu instid0(SALU_CYCLE_1)
	s_and_b32 vcc_lo, exec_lo, s2
	s_xor_b32 s2, s2, -1
	s_cbranch_vccnz .LBB10_2
; %bb.1:
	s_load_b32 s14, s[14:15], 0x0
.LBB10_2:
	s_and_not1_b32 vcc_lo, exec_lo, s2
	s_cbranch_vccnz .LBB10_4
; %bb.3:
	s_load_b32 s12, s[12:13], 0x0
.LBB10_4:
	s_wait_kmcnt 0x0
	s_cmp_eq_f32 s14, 0
	s_cselect_b32 s2, -1, 0
	s_cmp_eq_f32 s12, 1.0
	s_cselect_b32 s3, -1, 0
	s_delay_alu instid0(SALU_CYCLE_1) | instskip(NEXT) | instid1(SALU_CYCLE_1)
	s_and_b32 s2, s2, s3
	s_and_b32 vcc_lo, exec_lo, s2
	s_cbranch_vccnz .LBB10_23
; %bb.5:
	s_load_b64 s[2:3], s[0:1], 0x0
	s_bfe_u32 s4, ttmp6, 0x4000c
	s_and_b32 s5, ttmp6, 15
	s_add_co_i32 s4, s4, 1
	s_getreg_b32 s6, hwreg(HW_REG_IB_STS2, 6, 4)
	s_mul_i32 s4, ttmp9, s4
	v_lshrrev_b32_e32 v1, 2, v0
	s_add_co_i32 s5, s5, s4
	s_cmp_eq_u32 s6, 0
	s_cselect_b32 s4, ttmp9, s5
	s_delay_alu instid0(VALU_DEP_1) | instid1(SALU_CYCLE_1)
	v_lshl_or_b32 v2, s4, 5, v1
	s_wait_kmcnt 0x0
	s_delay_alu instid0(VALU_DEP_1)
	v_cmp_gt_i32_e32 vcc_lo, s2, v2
	s_and_saveexec_b32 s2, vcc_lo
	s_cbranch_execz .LBB10_23
; %bb.6:
	s_load_b256 s[4:11], s[0:1], 0x10
	v_ashrrev_i32_e32 v3, 31, v2
	s_cmp_lg_u32 s3, 0
	s_wait_kmcnt 0x0
	s_delay_alu instid0(VALU_DEP_1)
	v_lshl_add_u64 v[4:5], v[2:3], 2, s[4:5]
	v_and_b32_e32 v3, 3, v0
	global_load_b64 v[4:5], v[4:5], off
	s_wait_loadcnt 0x0
	v_subrev_nc_u32_e32 v0, s16, v4
	v_subrev_nc_u32_e32 v6, s16, v5
	s_delay_alu instid0(VALU_DEP_2) | instskip(NEXT) | instid1(VALU_DEP_1)
	v_add_nc_u32_e32 v7, v0, v3
	v_cmp_lt_i32_e64 s2, v7, v6
	s_cbranch_scc0 .LBB10_12
; %bb.7:
	v_mov_b32_e32 v1, 0
	s_delay_alu instid0(VALU_DEP_1)
	v_mov_b32_e32 v0, v1
	s_and_saveexec_b32 s3, s2
	s_cbranch_execz .LBB10_11
; %bb.8:
	v_dual_mov_b32 v5, 0 :: v_dual_lshlrev_b32 v4, 3, v7
	v_mov_b32_e32 v8, v7
	s_mov_b32 s4, 0
	s_delay_alu instid0(VALU_DEP_2)
	v_dual_mov_b32 v0, v5 :: v_dual_mov_b32 v1, v5
.LBB10_9:                               ; =>This Inner Loop Header: Depth=1
	global_load_b32 v9, v8, s[6:7] scale_offset
	v_lshl_add_u64 v[22:23], v[4:5], 2, s[8:9]
	v_add_nc_u32_e32 v4, 32, v4
	s_wait_loadcnt 0x0
	v_subrev_nc_u32_e32 v9, s16, v9
	s_delay_alu instid0(VALU_DEP_1) | instskip(NEXT) | instid1(VALU_DEP_1)
	v_dual_mov_b32 v11, v5 :: v_dual_lshlrev_b32 v10, 2, v9
	v_lshl_add_u64 v[24:25], v[10:11], 2, s[10:11]
	s_clause 0x1
	global_load_b128 v[10:13], v[22:23], off offset:16
	global_load_b128 v[14:17], v[22:23], off
	global_load_b128 v[18:21], v[24:25], off
	v_add_nc_u32_e32 v8, 4, v8
	s_wait_loadcnt 0x0
	v_pk_fma_f32 v[0:1], v[14:15], v[18:19], v[0:1] op_sel_hi:[1,0,1]
	v_mov_b32_e32 v14, v21
	s_delay_alu instid0(VALU_DEP_3) | instskip(NEXT) | instid1(VALU_DEP_3)
	v_cmp_ge_i32_e32 vcc_lo, v8, v6
	v_pk_fma_f32 v[0:1], v[16:17], v[18:19], v[0:1] op_sel:[0,1,0]
	s_or_b32 s4, vcc_lo, s4
	s_delay_alu instid0(VALU_DEP_1) | instskip(NEXT) | instid1(VALU_DEP_1)
	v_pk_fma_f32 v[0:1], v[10:11], v[20:21], v[0:1] op_sel_hi:[1,0,1]
	v_pk_fma_f32 v[0:1], v[12:13], v[14:15], v[0:1] op_sel_hi:[1,0,1]
	s_and_not1_b32 exec_lo, exec_lo, s4
	s_cbranch_execnz .LBB10_9
; %bb.10:
	s_or_b32 exec_lo, exec_lo, s4
.LBB10_11:
	s_delay_alu instid0(SALU_CYCLE_1)
	s_or_b32 exec_lo, exec_lo, s3
	s_cbranch_execz .LBB10_13
	s_branch .LBB10_18
.LBB10_12:
                                        ; implicit-def: $vgpr1
.LBB10_13:
	v_mov_b32_e32 v1, 0
	s_delay_alu instid0(VALU_DEP_1)
	v_mov_b32_e32 v0, v1
	s_and_saveexec_b32 s3, s2
	s_cbranch_execz .LBB10_17
; %bb.14:
	v_dual_mov_b32 v5, 0 :: v_dual_lshlrev_b32 v4, 3, v7
	s_mov_b32 s2, 0
	s_delay_alu instid0(VALU_DEP_1)
	v_dual_mov_b32 v0, v5 :: v_dual_mov_b32 v1, v5
.LBB10_15:                              ; =>This Inner Loop Header: Depth=1
	global_load_b32 v8, v7, s[6:7] scale_offset
	v_lshl_add_u64 v[16:17], v[4:5], 2, s[8:9]
	s_wait_xcnt 0x0
	v_dual_add_nc_u32 v4, 32, v4 :: v_dual_add_nc_u32 v7, 4, v7
	s_delay_alu instid0(VALU_DEP_1) | instskip(SKIP_3) | instid1(VALU_DEP_1)
	v_cmp_ge_i32_e32 vcc_lo, v7, v6
	s_or_b32 s2, vcc_lo, s2
	s_wait_loadcnt 0x0
	v_subrev_nc_u32_e32 v8, s16, v8
	v_dual_mov_b32 v19, v5 :: v_dual_lshlrev_b32 v18, 2, v8
	s_clause 0x1
	global_load_b128 v[8:11], v[16:17], off offset:16
	global_load_b128 v[12:15], v[16:17], off
	s_wait_xcnt 0x0
	v_lshl_add_u64 v[16:17], v[18:19], 2, s[10:11]
	global_load_b128 v[16:19], v[16:17], off
	s_wait_loadcnt 0x1
	v_dual_mov_b32 v21, v8 :: v_dual_mov_b32 v20, v12
	v_dual_mov_b32 v8, v13 :: v_dual_mov_b32 v12, v14
	;; [unrolled: 1-line block ×3, first 2 shown]
	s_wait_loadcnt 0x0
	s_delay_alu instid0(VALU_DEP_3) | instskip(NEXT) | instid1(VALU_DEP_1)
	v_pk_fma_f32 v[0:1], v[20:21], v[16:17], v[0:1] op_sel_hi:[1,0,1]
	v_pk_fma_f32 v[0:1], v[8:9], v[16:17], v[0:1] op_sel:[0,1,0]
	v_mov_b32_e32 v8, v19
	s_delay_alu instid0(VALU_DEP_2) | instskip(NEXT) | instid1(VALU_DEP_1)
	v_pk_fma_f32 v[0:1], v[12:13], v[18:19], v[0:1] op_sel_hi:[1,0,1]
	v_pk_fma_f32 v[0:1], v[10:11], v[8:9], v[0:1] op_sel_hi:[1,0,1]
	s_and_not1_b32 exec_lo, exec_lo, s2
	s_cbranch_execnz .LBB10_15
; %bb.16:
	s_or_b32 exec_lo, exec_lo, s2
.LBB10_17:
	s_delay_alu instid0(SALU_CYCLE_1)
	s_or_b32 exec_lo, exec_lo, s3
.LBB10_18:
	v_mbcnt_lo_u32_b32 v6, -1, 0
	s_mov_b32 s2, -1
	s_delay_alu instid0(VALU_DEP_1) | instskip(SKIP_1) | instid1(VALU_DEP_1)
	v_xor_b32_e32 v7, 1, v6
	v_xor_b32_e32 v4, 2, v6
	v_cmp_gt_i32_e32 vcc_lo, 32, v4
	v_cndmask_b32_e32 v4, v6, v4, vcc_lo
	s_delay_alu instid0(VALU_DEP_4) | instskip(SKIP_2) | instid1(VALU_DEP_2)
	v_cmp_gt_i32_e32 vcc_lo, 32, v7
	v_cndmask_b32_e32 v6, v6, v7, vcc_lo
	v_cmp_eq_u32_e32 vcc_lo, 3, v3
	v_dual_lshlrev_b32 v6, 2, v6 :: v_dual_lshlrev_b32 v5, 2, v4
	ds_bpermute_b32 v4, v5, v0
	ds_bpermute_b32 v5, v5, v1
	s_wait_dscnt 0x0
	v_pk_add_f32 v[0:1], v[0:1], v[4:5]
	ds_bpermute_b32 v4, v6, v0
	ds_bpermute_b32 v5, v6, v1
	s_and_b32 exec_lo, exec_lo, vcc_lo
	s_cbranch_execz .LBB10_23
; %bb.19:
	s_load_b64 s[0:1], s[0:1], 0x38
	s_wait_dscnt 0x0
	v_pk_add_f32 v[0:1], v[0:1], v[4:5]
	v_lshlrev_b32_e32 v2, 1, v2
	s_cmp_eq_f32 s12, 0
	s_cbranch_scc0 .LBB10_21
; %bb.20:
	s_delay_alu instid0(VALU_DEP_1) | instskip(SKIP_3) | instid1(VALU_DEP_2)
	v_ashrrev_i32_e32 v3, 31, v2
	v_pk_mul_f32 v[6:7], s[14:15], v[0:1] op_sel_hi:[0,1]
	s_mov_b32 s2, 0
	s_wait_kmcnt 0x0
	v_lshl_add_u64 v[4:5], v[2:3], 2, s[0:1]
	global_store_b64 v[4:5], v[6:7], off
.LBB10_21:
	s_and_not1_b32 vcc_lo, exec_lo, s2
	s_cbranch_vccnz .LBB10_23
; %bb.22:
	v_ashrrev_i32_e32 v3, 31, v2
	v_pk_mul_f32 v[0:1], s[14:15], v[0:1] op_sel_hi:[0,1]
	s_wait_kmcnt 0x0
	s_delay_alu instid0(VALU_DEP_2)
	v_lshl_add_u64 v[2:3], v[2:3], 2, s[0:1]
	global_load_b64 v[4:5], v[2:3], off
	s_wait_loadcnt 0x0
	v_pk_fma_f32 v[0:1], s[12:13], v[4:5], v[0:1] op_sel_hi:[0,1,1]
	global_store_b64 v[2:3], v[0:1], off
.LBB10_23:
	s_endpgm
	.section	.rodata,"a",@progbits
	.p2align	6, 0x0
	.amdhsa_kernel _ZN9rocsparseL19gebsrmvn_2xn_kernelILj128ELj4ELj4EfEEvi20rocsparse_direction_NS_24const_host_device_scalarIT2_EEPKiS6_PKS3_S8_S4_PS3_21rocsparse_index_base_b
		.amdhsa_group_segment_fixed_size 0
		.amdhsa_private_segment_fixed_size 0
		.amdhsa_kernarg_size 72
		.amdhsa_user_sgpr_count 2
		.amdhsa_user_sgpr_dispatch_ptr 0
		.amdhsa_user_sgpr_queue_ptr 0
		.amdhsa_user_sgpr_kernarg_segment_ptr 1
		.amdhsa_user_sgpr_dispatch_id 0
		.amdhsa_user_sgpr_kernarg_preload_length 0
		.amdhsa_user_sgpr_kernarg_preload_offset 0
		.amdhsa_user_sgpr_private_segment_size 0
		.amdhsa_wavefront_size32 1
		.amdhsa_uses_dynamic_stack 0
		.amdhsa_enable_private_segment 0
		.amdhsa_system_sgpr_workgroup_id_x 1
		.amdhsa_system_sgpr_workgroup_id_y 0
		.amdhsa_system_sgpr_workgroup_id_z 0
		.amdhsa_system_sgpr_workgroup_info 0
		.amdhsa_system_vgpr_workitem_id 0
		.amdhsa_next_free_vgpr 26
		.amdhsa_next_free_sgpr 18
		.amdhsa_named_barrier_count 0
		.amdhsa_reserve_vcc 1
		.amdhsa_float_round_mode_32 0
		.amdhsa_float_round_mode_16_64 0
		.amdhsa_float_denorm_mode_32 3
		.amdhsa_float_denorm_mode_16_64 3
		.amdhsa_fp16_overflow 0
		.amdhsa_memory_ordered 1
		.amdhsa_forward_progress 1
		.amdhsa_inst_pref_size 9
		.amdhsa_round_robin_scheduling 0
		.amdhsa_exception_fp_ieee_invalid_op 0
		.amdhsa_exception_fp_denorm_src 0
		.amdhsa_exception_fp_ieee_div_zero 0
		.amdhsa_exception_fp_ieee_overflow 0
		.amdhsa_exception_fp_ieee_underflow 0
		.amdhsa_exception_fp_ieee_inexact 0
		.amdhsa_exception_int_div_zero 0
	.end_amdhsa_kernel
	.section	.text._ZN9rocsparseL19gebsrmvn_2xn_kernelILj128ELj4ELj4EfEEvi20rocsparse_direction_NS_24const_host_device_scalarIT2_EEPKiS6_PKS3_S8_S4_PS3_21rocsparse_index_base_b,"axG",@progbits,_ZN9rocsparseL19gebsrmvn_2xn_kernelILj128ELj4ELj4EfEEvi20rocsparse_direction_NS_24const_host_device_scalarIT2_EEPKiS6_PKS3_S8_S4_PS3_21rocsparse_index_base_b,comdat
.Lfunc_end10:
	.size	_ZN9rocsparseL19gebsrmvn_2xn_kernelILj128ELj4ELj4EfEEvi20rocsparse_direction_NS_24const_host_device_scalarIT2_EEPKiS6_PKS3_S8_S4_PS3_21rocsparse_index_base_b, .Lfunc_end10-_ZN9rocsparseL19gebsrmvn_2xn_kernelILj128ELj4ELj4EfEEvi20rocsparse_direction_NS_24const_host_device_scalarIT2_EEPKiS6_PKS3_S8_S4_PS3_21rocsparse_index_base_b
                                        ; -- End function
	.set _ZN9rocsparseL19gebsrmvn_2xn_kernelILj128ELj4ELj4EfEEvi20rocsparse_direction_NS_24const_host_device_scalarIT2_EEPKiS6_PKS3_S8_S4_PS3_21rocsparse_index_base_b.num_vgpr, 26
	.set _ZN9rocsparseL19gebsrmvn_2xn_kernelILj128ELj4ELj4EfEEvi20rocsparse_direction_NS_24const_host_device_scalarIT2_EEPKiS6_PKS3_S8_S4_PS3_21rocsparse_index_base_b.num_agpr, 0
	.set _ZN9rocsparseL19gebsrmvn_2xn_kernelILj128ELj4ELj4EfEEvi20rocsparse_direction_NS_24const_host_device_scalarIT2_EEPKiS6_PKS3_S8_S4_PS3_21rocsparse_index_base_b.numbered_sgpr, 18
	.set _ZN9rocsparseL19gebsrmvn_2xn_kernelILj128ELj4ELj4EfEEvi20rocsparse_direction_NS_24const_host_device_scalarIT2_EEPKiS6_PKS3_S8_S4_PS3_21rocsparse_index_base_b.num_named_barrier, 0
	.set _ZN9rocsparseL19gebsrmvn_2xn_kernelILj128ELj4ELj4EfEEvi20rocsparse_direction_NS_24const_host_device_scalarIT2_EEPKiS6_PKS3_S8_S4_PS3_21rocsparse_index_base_b.private_seg_size, 0
	.set _ZN9rocsparseL19gebsrmvn_2xn_kernelILj128ELj4ELj4EfEEvi20rocsparse_direction_NS_24const_host_device_scalarIT2_EEPKiS6_PKS3_S8_S4_PS3_21rocsparse_index_base_b.uses_vcc, 1
	.set _ZN9rocsparseL19gebsrmvn_2xn_kernelILj128ELj4ELj4EfEEvi20rocsparse_direction_NS_24const_host_device_scalarIT2_EEPKiS6_PKS3_S8_S4_PS3_21rocsparse_index_base_b.uses_flat_scratch, 0
	.set _ZN9rocsparseL19gebsrmvn_2xn_kernelILj128ELj4ELj4EfEEvi20rocsparse_direction_NS_24const_host_device_scalarIT2_EEPKiS6_PKS3_S8_S4_PS3_21rocsparse_index_base_b.has_dyn_sized_stack, 0
	.set _ZN9rocsparseL19gebsrmvn_2xn_kernelILj128ELj4ELj4EfEEvi20rocsparse_direction_NS_24const_host_device_scalarIT2_EEPKiS6_PKS3_S8_S4_PS3_21rocsparse_index_base_b.has_recursion, 0
	.set _ZN9rocsparseL19gebsrmvn_2xn_kernelILj128ELj4ELj4EfEEvi20rocsparse_direction_NS_24const_host_device_scalarIT2_EEPKiS6_PKS3_S8_S4_PS3_21rocsparse_index_base_b.has_indirect_call, 0
	.section	.AMDGPU.csdata,"",@progbits
; Kernel info:
; codeLenInByte = 1028
; TotalNumSgprs: 20
; NumVgprs: 26
; ScratchSize: 0
; MemoryBound: 0
; FloatMode: 240
; IeeeMode: 1
; LDSByteSize: 0 bytes/workgroup (compile time only)
; SGPRBlocks: 0
; VGPRBlocks: 1
; NumSGPRsForWavesPerEU: 20
; NumVGPRsForWavesPerEU: 26
; NamedBarCnt: 0
; Occupancy: 16
; WaveLimiterHint : 1
; COMPUTE_PGM_RSRC2:SCRATCH_EN: 0
; COMPUTE_PGM_RSRC2:USER_SGPR: 2
; COMPUTE_PGM_RSRC2:TRAP_HANDLER: 0
; COMPUTE_PGM_RSRC2:TGID_X_EN: 1
; COMPUTE_PGM_RSRC2:TGID_Y_EN: 0
; COMPUTE_PGM_RSRC2:TGID_Z_EN: 0
; COMPUTE_PGM_RSRC2:TIDIG_COMP_CNT: 0
	.section	.text._ZN9rocsparseL19gebsrmvn_2xn_kernelILj128ELj4ELj8EfEEvi20rocsparse_direction_NS_24const_host_device_scalarIT2_EEPKiS6_PKS3_S8_S4_PS3_21rocsparse_index_base_b,"axG",@progbits,_ZN9rocsparseL19gebsrmvn_2xn_kernelILj128ELj4ELj8EfEEvi20rocsparse_direction_NS_24const_host_device_scalarIT2_EEPKiS6_PKS3_S8_S4_PS3_21rocsparse_index_base_b,comdat
	.globl	_ZN9rocsparseL19gebsrmvn_2xn_kernelILj128ELj4ELj8EfEEvi20rocsparse_direction_NS_24const_host_device_scalarIT2_EEPKiS6_PKS3_S8_S4_PS3_21rocsparse_index_base_b ; -- Begin function _ZN9rocsparseL19gebsrmvn_2xn_kernelILj128ELj4ELj8EfEEvi20rocsparse_direction_NS_24const_host_device_scalarIT2_EEPKiS6_PKS3_S8_S4_PS3_21rocsparse_index_base_b
	.p2align	8
	.type	_ZN9rocsparseL19gebsrmvn_2xn_kernelILj128ELj4ELj8EfEEvi20rocsparse_direction_NS_24const_host_device_scalarIT2_EEPKiS6_PKS3_S8_S4_PS3_21rocsparse_index_base_b,@function
_ZN9rocsparseL19gebsrmvn_2xn_kernelILj128ELj4ELj8EfEEvi20rocsparse_direction_NS_24const_host_device_scalarIT2_EEPKiS6_PKS3_S8_S4_PS3_21rocsparse_index_base_b: ; @_ZN9rocsparseL19gebsrmvn_2xn_kernelILj128ELj4ELj8EfEEvi20rocsparse_direction_NS_24const_host_device_scalarIT2_EEPKiS6_PKS3_S8_S4_PS3_21rocsparse_index_base_b
; %bb.0:
	s_clause 0x2
	s_load_b64 s[16:17], s[0:1], 0x40
	s_load_b64 s[14:15], s[0:1], 0x8
	;; [unrolled: 1-line block ×3, first 2 shown]
	s_wait_kmcnt 0x0
	s_bitcmp1_b32 s17, 0
	s_cselect_b32 s2, -1, 0
	s_delay_alu instid0(SALU_CYCLE_1)
	s_and_b32 vcc_lo, exec_lo, s2
	s_xor_b32 s2, s2, -1
	s_cbranch_vccnz .LBB11_2
; %bb.1:
	s_load_b32 s14, s[14:15], 0x0
.LBB11_2:
	s_and_not1_b32 vcc_lo, exec_lo, s2
	s_cbranch_vccnz .LBB11_4
; %bb.3:
	s_load_b32 s12, s[12:13], 0x0
.LBB11_4:
	s_wait_kmcnt 0x0
	s_cmp_eq_f32 s14, 0
	s_cselect_b32 s2, -1, 0
	s_cmp_eq_f32 s12, 1.0
	s_cselect_b32 s3, -1, 0
	s_delay_alu instid0(SALU_CYCLE_1) | instskip(NEXT) | instid1(SALU_CYCLE_1)
	s_and_b32 s2, s2, s3
	s_and_b32 vcc_lo, exec_lo, s2
	s_cbranch_vccnz .LBB11_23
; %bb.5:
	s_load_b64 s[2:3], s[0:1], 0x0
	s_bfe_u32 s4, ttmp6, 0x4000c
	s_and_b32 s5, ttmp6, 15
	s_add_co_i32 s4, s4, 1
	s_getreg_b32 s6, hwreg(HW_REG_IB_STS2, 6, 4)
	s_mul_i32 s4, ttmp9, s4
	v_lshrrev_b32_e32 v1, 3, v0
	s_add_co_i32 s5, s5, s4
	s_cmp_eq_u32 s6, 0
	s_cselect_b32 s4, ttmp9, s5
	s_delay_alu instid0(VALU_DEP_1) | instid1(SALU_CYCLE_1)
	v_lshl_or_b32 v2, s4, 4, v1
	s_wait_kmcnt 0x0
	s_delay_alu instid0(VALU_DEP_1)
	v_cmp_gt_i32_e32 vcc_lo, s2, v2
	s_and_saveexec_b32 s2, vcc_lo
	s_cbranch_execz .LBB11_23
; %bb.6:
	s_load_b256 s[4:11], s[0:1], 0x10
	v_ashrrev_i32_e32 v3, 31, v2
	s_cmp_lg_u32 s3, 0
	s_wait_kmcnt 0x0
	s_delay_alu instid0(VALU_DEP_1)
	v_lshl_add_u64 v[4:5], v[2:3], 2, s[4:5]
	v_and_b32_e32 v3, 7, v0
	global_load_b64 v[4:5], v[4:5], off
	s_wait_loadcnt 0x0
	v_subrev_nc_u32_e32 v0, s16, v4
	v_subrev_nc_u32_e32 v6, s16, v5
	s_delay_alu instid0(VALU_DEP_2) | instskip(NEXT) | instid1(VALU_DEP_1)
	v_add_nc_u32_e32 v7, v0, v3
	v_cmp_lt_i32_e64 s2, v7, v6
	s_cbranch_scc0 .LBB11_12
; %bb.7:
	v_mov_b32_e32 v1, 0
	s_delay_alu instid0(VALU_DEP_1)
	v_mov_b32_e32 v0, v1
	s_and_saveexec_b32 s3, s2
	s_cbranch_execz .LBB11_11
; %bb.8:
	v_dual_mov_b32 v5, 0 :: v_dual_lshlrev_b32 v4, 3, v7
	v_mov_b32_e32 v8, v7
	s_mov_b32 s4, 0
	s_delay_alu instid0(VALU_DEP_2)
	v_dual_mov_b32 v0, v5 :: v_dual_mov_b32 v1, v5
.LBB11_9:                               ; =>This Inner Loop Header: Depth=1
	global_load_b32 v9, v8, s[6:7] scale_offset
	v_lshl_add_u64 v[22:23], v[4:5], 2, s[8:9]
	v_add_nc_u32_e32 v4, 64, v4
	s_wait_loadcnt 0x0
	v_subrev_nc_u32_e32 v9, s16, v9
	s_delay_alu instid0(VALU_DEP_1) | instskip(NEXT) | instid1(VALU_DEP_1)
	v_dual_mov_b32 v11, v5 :: v_dual_lshlrev_b32 v10, 2, v9
	v_lshl_add_u64 v[24:25], v[10:11], 2, s[10:11]
	s_clause 0x1
	global_load_b128 v[10:13], v[22:23], off offset:16
	global_load_b128 v[14:17], v[22:23], off
	global_load_b128 v[18:21], v[24:25], off
	v_add_nc_u32_e32 v8, 8, v8
	s_wait_loadcnt 0x0
	v_pk_fma_f32 v[0:1], v[14:15], v[18:19], v[0:1] op_sel_hi:[1,0,1]
	v_mov_b32_e32 v14, v21
	s_delay_alu instid0(VALU_DEP_3) | instskip(NEXT) | instid1(VALU_DEP_3)
	v_cmp_ge_i32_e32 vcc_lo, v8, v6
	v_pk_fma_f32 v[0:1], v[16:17], v[18:19], v[0:1] op_sel:[0,1,0]
	s_or_b32 s4, vcc_lo, s4
	s_delay_alu instid0(VALU_DEP_1) | instskip(NEXT) | instid1(VALU_DEP_1)
	v_pk_fma_f32 v[0:1], v[10:11], v[20:21], v[0:1] op_sel_hi:[1,0,1]
	v_pk_fma_f32 v[0:1], v[12:13], v[14:15], v[0:1] op_sel_hi:[1,0,1]
	s_and_not1_b32 exec_lo, exec_lo, s4
	s_cbranch_execnz .LBB11_9
; %bb.10:
	s_or_b32 exec_lo, exec_lo, s4
.LBB11_11:
	s_delay_alu instid0(SALU_CYCLE_1)
	s_or_b32 exec_lo, exec_lo, s3
	s_cbranch_execz .LBB11_13
	s_branch .LBB11_18
.LBB11_12:
                                        ; implicit-def: $vgpr1
.LBB11_13:
	v_mov_b32_e32 v1, 0
	s_delay_alu instid0(VALU_DEP_1)
	v_mov_b32_e32 v0, v1
	s_and_saveexec_b32 s3, s2
	s_cbranch_execz .LBB11_17
; %bb.14:
	v_dual_mov_b32 v5, 0 :: v_dual_lshlrev_b32 v4, 3, v7
	s_mov_b32 s2, 0
	s_delay_alu instid0(VALU_DEP_1)
	v_dual_mov_b32 v0, v5 :: v_dual_mov_b32 v1, v5
.LBB11_15:                              ; =>This Inner Loop Header: Depth=1
	global_load_b32 v8, v7, s[6:7] scale_offset
	v_lshl_add_u64 v[16:17], v[4:5], 2, s[8:9]
	s_wait_xcnt 0x0
	v_dual_add_nc_u32 v4, 64, v4 :: v_dual_add_nc_u32 v7, 8, v7
	s_delay_alu instid0(VALU_DEP_1) | instskip(SKIP_3) | instid1(VALU_DEP_1)
	v_cmp_ge_i32_e32 vcc_lo, v7, v6
	s_or_b32 s2, vcc_lo, s2
	s_wait_loadcnt 0x0
	v_subrev_nc_u32_e32 v8, s16, v8
	v_dual_mov_b32 v19, v5 :: v_dual_lshlrev_b32 v18, 2, v8
	s_clause 0x1
	global_load_b128 v[8:11], v[16:17], off offset:16
	global_load_b128 v[12:15], v[16:17], off
	s_wait_xcnt 0x0
	v_lshl_add_u64 v[16:17], v[18:19], 2, s[10:11]
	global_load_b128 v[16:19], v[16:17], off
	s_wait_loadcnt 0x1
	v_dual_mov_b32 v21, v8 :: v_dual_mov_b32 v20, v12
	v_dual_mov_b32 v8, v13 :: v_dual_mov_b32 v12, v14
	;; [unrolled: 1-line block ×3, first 2 shown]
	s_wait_loadcnt 0x0
	s_delay_alu instid0(VALU_DEP_3) | instskip(NEXT) | instid1(VALU_DEP_1)
	v_pk_fma_f32 v[0:1], v[20:21], v[16:17], v[0:1] op_sel_hi:[1,0,1]
	v_pk_fma_f32 v[0:1], v[8:9], v[16:17], v[0:1] op_sel:[0,1,0]
	v_mov_b32_e32 v8, v19
	s_delay_alu instid0(VALU_DEP_2) | instskip(NEXT) | instid1(VALU_DEP_1)
	v_pk_fma_f32 v[0:1], v[12:13], v[18:19], v[0:1] op_sel_hi:[1,0,1]
	v_pk_fma_f32 v[0:1], v[10:11], v[8:9], v[0:1] op_sel_hi:[1,0,1]
	s_and_not1_b32 exec_lo, exec_lo, s2
	s_cbranch_execnz .LBB11_15
; %bb.16:
	s_or_b32 exec_lo, exec_lo, s2
.LBB11_17:
	s_delay_alu instid0(SALU_CYCLE_1)
	s_or_b32 exec_lo, exec_lo, s3
.LBB11_18:
	v_mbcnt_lo_u32_b32 v6, -1, 0
	s_mov_b32 s2, -1
	s_delay_alu instid0(VALU_DEP_1) | instskip(SKIP_1) | instid1(VALU_DEP_1)
	v_xor_b32_e32 v7, 2, v6
	v_xor_b32_e32 v4, 4, v6
	v_cmp_gt_i32_e32 vcc_lo, 32, v4
	v_cndmask_b32_e32 v4, v6, v4, vcc_lo
	s_delay_alu instid0(VALU_DEP_4) | instskip(SKIP_1) | instid1(VALU_DEP_1)
	v_cmp_gt_i32_e32 vcc_lo, 32, v7
	v_cndmask_b32_e32 v7, v6, v7, vcc_lo
	v_dual_lshlrev_b32 v7, 2, v7 :: v_dual_lshlrev_b32 v5, 2, v4
	ds_bpermute_b32 v4, v5, v0
	ds_bpermute_b32 v5, v5, v1
	s_wait_dscnt 0x0
	v_pk_add_f32 v[0:1], v[0:1], v[4:5]
	ds_bpermute_b32 v4, v7, v0
	ds_bpermute_b32 v5, v7, v1
	v_xor_b32_e32 v7, 1, v6
	s_delay_alu instid0(VALU_DEP_1) | instskip(SKIP_2) | instid1(VALU_DEP_2)
	v_cmp_gt_i32_e32 vcc_lo, 32, v7
	v_cndmask_b32_e32 v6, v6, v7, vcc_lo
	v_cmp_eq_u32_e32 vcc_lo, 7, v3
	v_lshlrev_b32_e32 v6, 2, v6
	s_wait_dscnt 0x0
	v_pk_add_f32 v[0:1], v[0:1], v[4:5]
	ds_bpermute_b32 v4, v6, v0
	ds_bpermute_b32 v5, v6, v1
	s_and_b32 exec_lo, exec_lo, vcc_lo
	s_cbranch_execz .LBB11_23
; %bb.19:
	s_load_b64 s[0:1], s[0:1], 0x38
	s_wait_dscnt 0x0
	v_pk_add_f32 v[0:1], v[0:1], v[4:5]
	v_lshlrev_b32_e32 v2, 1, v2
	s_cmp_eq_f32 s12, 0
	s_cbranch_scc0 .LBB11_21
; %bb.20:
	s_delay_alu instid0(VALU_DEP_1) | instskip(SKIP_3) | instid1(VALU_DEP_2)
	v_ashrrev_i32_e32 v3, 31, v2
	v_pk_mul_f32 v[6:7], s[14:15], v[0:1] op_sel_hi:[0,1]
	s_mov_b32 s2, 0
	s_wait_kmcnt 0x0
	v_lshl_add_u64 v[4:5], v[2:3], 2, s[0:1]
	global_store_b64 v[4:5], v[6:7], off
.LBB11_21:
	s_and_not1_b32 vcc_lo, exec_lo, s2
	s_cbranch_vccnz .LBB11_23
; %bb.22:
	v_ashrrev_i32_e32 v3, 31, v2
	v_pk_mul_f32 v[0:1], s[14:15], v[0:1] op_sel_hi:[0,1]
	s_wait_kmcnt 0x0
	s_delay_alu instid0(VALU_DEP_2)
	v_lshl_add_u64 v[2:3], v[2:3], 2, s[0:1]
	global_load_b64 v[4:5], v[2:3], off
	s_wait_loadcnt 0x0
	v_pk_fma_f32 v[0:1], s[12:13], v[4:5], v[0:1] op_sel_hi:[0,1,1]
	global_store_b64 v[2:3], v[0:1], off
.LBB11_23:
	s_endpgm
	.section	.rodata,"a",@progbits
	.p2align	6, 0x0
	.amdhsa_kernel _ZN9rocsparseL19gebsrmvn_2xn_kernelILj128ELj4ELj8EfEEvi20rocsparse_direction_NS_24const_host_device_scalarIT2_EEPKiS6_PKS3_S8_S4_PS3_21rocsparse_index_base_b
		.amdhsa_group_segment_fixed_size 0
		.amdhsa_private_segment_fixed_size 0
		.amdhsa_kernarg_size 72
		.amdhsa_user_sgpr_count 2
		.amdhsa_user_sgpr_dispatch_ptr 0
		.amdhsa_user_sgpr_queue_ptr 0
		.amdhsa_user_sgpr_kernarg_segment_ptr 1
		.amdhsa_user_sgpr_dispatch_id 0
		.amdhsa_user_sgpr_kernarg_preload_length 0
		.amdhsa_user_sgpr_kernarg_preload_offset 0
		.amdhsa_user_sgpr_private_segment_size 0
		.amdhsa_wavefront_size32 1
		.amdhsa_uses_dynamic_stack 0
		.amdhsa_enable_private_segment 0
		.amdhsa_system_sgpr_workgroup_id_x 1
		.amdhsa_system_sgpr_workgroup_id_y 0
		.amdhsa_system_sgpr_workgroup_id_z 0
		.amdhsa_system_sgpr_workgroup_info 0
		.amdhsa_system_vgpr_workitem_id 0
		.amdhsa_next_free_vgpr 26
		.amdhsa_next_free_sgpr 18
		.amdhsa_named_barrier_count 0
		.amdhsa_reserve_vcc 1
		.amdhsa_float_round_mode_32 0
		.amdhsa_float_round_mode_16_64 0
		.amdhsa_float_denorm_mode_32 3
		.amdhsa_float_denorm_mode_16_64 3
		.amdhsa_fp16_overflow 0
		.amdhsa_memory_ordered 1
		.amdhsa_forward_progress 1
		.amdhsa_inst_pref_size 9
		.amdhsa_round_robin_scheduling 0
		.amdhsa_exception_fp_ieee_invalid_op 0
		.amdhsa_exception_fp_denorm_src 0
		.amdhsa_exception_fp_ieee_div_zero 0
		.amdhsa_exception_fp_ieee_overflow 0
		.amdhsa_exception_fp_ieee_underflow 0
		.amdhsa_exception_fp_ieee_inexact 0
		.amdhsa_exception_int_div_zero 0
	.end_amdhsa_kernel
	.section	.text._ZN9rocsparseL19gebsrmvn_2xn_kernelILj128ELj4ELj8EfEEvi20rocsparse_direction_NS_24const_host_device_scalarIT2_EEPKiS6_PKS3_S8_S4_PS3_21rocsparse_index_base_b,"axG",@progbits,_ZN9rocsparseL19gebsrmvn_2xn_kernelILj128ELj4ELj8EfEEvi20rocsparse_direction_NS_24const_host_device_scalarIT2_EEPKiS6_PKS3_S8_S4_PS3_21rocsparse_index_base_b,comdat
.Lfunc_end11:
	.size	_ZN9rocsparseL19gebsrmvn_2xn_kernelILj128ELj4ELj8EfEEvi20rocsparse_direction_NS_24const_host_device_scalarIT2_EEPKiS6_PKS3_S8_S4_PS3_21rocsparse_index_base_b, .Lfunc_end11-_ZN9rocsparseL19gebsrmvn_2xn_kernelILj128ELj4ELj8EfEEvi20rocsparse_direction_NS_24const_host_device_scalarIT2_EEPKiS6_PKS3_S8_S4_PS3_21rocsparse_index_base_b
                                        ; -- End function
	.set _ZN9rocsparseL19gebsrmvn_2xn_kernelILj128ELj4ELj8EfEEvi20rocsparse_direction_NS_24const_host_device_scalarIT2_EEPKiS6_PKS3_S8_S4_PS3_21rocsparse_index_base_b.num_vgpr, 26
	.set _ZN9rocsparseL19gebsrmvn_2xn_kernelILj128ELj4ELj8EfEEvi20rocsparse_direction_NS_24const_host_device_scalarIT2_EEPKiS6_PKS3_S8_S4_PS3_21rocsparse_index_base_b.num_agpr, 0
	.set _ZN9rocsparseL19gebsrmvn_2xn_kernelILj128ELj4ELj8EfEEvi20rocsparse_direction_NS_24const_host_device_scalarIT2_EEPKiS6_PKS3_S8_S4_PS3_21rocsparse_index_base_b.numbered_sgpr, 18
	.set _ZN9rocsparseL19gebsrmvn_2xn_kernelILj128ELj4ELj8EfEEvi20rocsparse_direction_NS_24const_host_device_scalarIT2_EEPKiS6_PKS3_S8_S4_PS3_21rocsparse_index_base_b.num_named_barrier, 0
	.set _ZN9rocsparseL19gebsrmvn_2xn_kernelILj128ELj4ELj8EfEEvi20rocsparse_direction_NS_24const_host_device_scalarIT2_EEPKiS6_PKS3_S8_S4_PS3_21rocsparse_index_base_b.private_seg_size, 0
	.set _ZN9rocsparseL19gebsrmvn_2xn_kernelILj128ELj4ELj8EfEEvi20rocsparse_direction_NS_24const_host_device_scalarIT2_EEPKiS6_PKS3_S8_S4_PS3_21rocsparse_index_base_b.uses_vcc, 1
	.set _ZN9rocsparseL19gebsrmvn_2xn_kernelILj128ELj4ELj8EfEEvi20rocsparse_direction_NS_24const_host_device_scalarIT2_EEPKiS6_PKS3_S8_S4_PS3_21rocsparse_index_base_b.uses_flat_scratch, 0
	.set _ZN9rocsparseL19gebsrmvn_2xn_kernelILj128ELj4ELj8EfEEvi20rocsparse_direction_NS_24const_host_device_scalarIT2_EEPKiS6_PKS3_S8_S4_PS3_21rocsparse_index_base_b.has_dyn_sized_stack, 0
	.set _ZN9rocsparseL19gebsrmvn_2xn_kernelILj128ELj4ELj8EfEEvi20rocsparse_direction_NS_24const_host_device_scalarIT2_EEPKiS6_PKS3_S8_S4_PS3_21rocsparse_index_base_b.has_recursion, 0
	.set _ZN9rocsparseL19gebsrmvn_2xn_kernelILj128ELj4ELj8EfEEvi20rocsparse_direction_NS_24const_host_device_scalarIT2_EEPKiS6_PKS3_S8_S4_PS3_21rocsparse_index_base_b.has_indirect_call, 0
	.section	.AMDGPU.csdata,"",@progbits
; Kernel info:
; codeLenInByte = 1076
; TotalNumSgprs: 20
; NumVgprs: 26
; ScratchSize: 0
; MemoryBound: 0
; FloatMode: 240
; IeeeMode: 1
; LDSByteSize: 0 bytes/workgroup (compile time only)
; SGPRBlocks: 0
; VGPRBlocks: 1
; NumSGPRsForWavesPerEU: 20
; NumVGPRsForWavesPerEU: 26
; NamedBarCnt: 0
; Occupancy: 16
; WaveLimiterHint : 1
; COMPUTE_PGM_RSRC2:SCRATCH_EN: 0
; COMPUTE_PGM_RSRC2:USER_SGPR: 2
; COMPUTE_PGM_RSRC2:TRAP_HANDLER: 0
; COMPUTE_PGM_RSRC2:TGID_X_EN: 1
; COMPUTE_PGM_RSRC2:TGID_Y_EN: 0
; COMPUTE_PGM_RSRC2:TGID_Z_EN: 0
; COMPUTE_PGM_RSRC2:TIDIG_COMP_CNT: 0
	.section	.text._ZN9rocsparseL19gebsrmvn_2xn_kernelILj128ELj4ELj16EfEEvi20rocsparse_direction_NS_24const_host_device_scalarIT2_EEPKiS6_PKS3_S8_S4_PS3_21rocsparse_index_base_b,"axG",@progbits,_ZN9rocsparseL19gebsrmvn_2xn_kernelILj128ELj4ELj16EfEEvi20rocsparse_direction_NS_24const_host_device_scalarIT2_EEPKiS6_PKS3_S8_S4_PS3_21rocsparse_index_base_b,comdat
	.globl	_ZN9rocsparseL19gebsrmvn_2xn_kernelILj128ELj4ELj16EfEEvi20rocsparse_direction_NS_24const_host_device_scalarIT2_EEPKiS6_PKS3_S8_S4_PS3_21rocsparse_index_base_b ; -- Begin function _ZN9rocsparseL19gebsrmvn_2xn_kernelILj128ELj4ELj16EfEEvi20rocsparse_direction_NS_24const_host_device_scalarIT2_EEPKiS6_PKS3_S8_S4_PS3_21rocsparse_index_base_b
	.p2align	8
	.type	_ZN9rocsparseL19gebsrmvn_2xn_kernelILj128ELj4ELj16EfEEvi20rocsparse_direction_NS_24const_host_device_scalarIT2_EEPKiS6_PKS3_S8_S4_PS3_21rocsparse_index_base_b,@function
_ZN9rocsparseL19gebsrmvn_2xn_kernelILj128ELj4ELj16EfEEvi20rocsparse_direction_NS_24const_host_device_scalarIT2_EEPKiS6_PKS3_S8_S4_PS3_21rocsparse_index_base_b: ; @_ZN9rocsparseL19gebsrmvn_2xn_kernelILj128ELj4ELj16EfEEvi20rocsparse_direction_NS_24const_host_device_scalarIT2_EEPKiS6_PKS3_S8_S4_PS3_21rocsparse_index_base_b
; %bb.0:
	s_clause 0x2
	s_load_b64 s[16:17], s[0:1], 0x40
	s_load_b64 s[14:15], s[0:1], 0x8
	;; [unrolled: 1-line block ×3, first 2 shown]
	s_wait_kmcnt 0x0
	s_bitcmp1_b32 s17, 0
	s_cselect_b32 s2, -1, 0
	s_delay_alu instid0(SALU_CYCLE_1)
	s_and_b32 vcc_lo, exec_lo, s2
	s_xor_b32 s2, s2, -1
	s_cbranch_vccnz .LBB12_2
; %bb.1:
	s_load_b32 s14, s[14:15], 0x0
.LBB12_2:
	s_and_not1_b32 vcc_lo, exec_lo, s2
	s_cbranch_vccnz .LBB12_4
; %bb.3:
	s_load_b32 s12, s[12:13], 0x0
.LBB12_4:
	s_wait_kmcnt 0x0
	s_cmp_eq_f32 s14, 0
	s_cselect_b32 s2, -1, 0
	s_cmp_eq_f32 s12, 1.0
	s_cselect_b32 s3, -1, 0
	s_delay_alu instid0(SALU_CYCLE_1) | instskip(NEXT) | instid1(SALU_CYCLE_1)
	s_and_b32 s2, s2, s3
	s_and_b32 vcc_lo, exec_lo, s2
	s_cbranch_vccnz .LBB12_23
; %bb.5:
	s_load_b64 s[2:3], s[0:1], 0x0
	s_bfe_u32 s4, ttmp6, 0x4000c
	s_and_b32 s5, ttmp6, 15
	s_add_co_i32 s4, s4, 1
	s_getreg_b32 s6, hwreg(HW_REG_IB_STS2, 6, 4)
	s_mul_i32 s4, ttmp9, s4
	v_lshrrev_b32_e32 v1, 4, v0
	s_add_co_i32 s5, s5, s4
	s_cmp_eq_u32 s6, 0
	s_cselect_b32 s4, ttmp9, s5
	s_delay_alu instid0(VALU_DEP_1) | instid1(SALU_CYCLE_1)
	v_lshl_or_b32 v2, s4, 3, v1
	s_wait_kmcnt 0x0
	s_delay_alu instid0(VALU_DEP_1)
	v_cmp_gt_i32_e32 vcc_lo, s2, v2
	s_and_saveexec_b32 s2, vcc_lo
	s_cbranch_execz .LBB12_23
; %bb.6:
	s_load_b256 s[4:11], s[0:1], 0x10
	v_ashrrev_i32_e32 v3, 31, v2
	s_cmp_lg_u32 s3, 0
	s_wait_kmcnt 0x0
	s_delay_alu instid0(VALU_DEP_1)
	v_lshl_add_u64 v[4:5], v[2:3], 2, s[4:5]
	v_and_b32_e32 v3, 15, v0
	global_load_b64 v[4:5], v[4:5], off
	s_wait_loadcnt 0x0
	v_subrev_nc_u32_e32 v0, s16, v4
	v_subrev_nc_u32_e32 v6, s16, v5
	s_delay_alu instid0(VALU_DEP_2) | instskip(NEXT) | instid1(VALU_DEP_1)
	v_add_nc_u32_e32 v7, v0, v3
	v_cmp_lt_i32_e64 s2, v7, v6
	s_cbranch_scc0 .LBB12_12
; %bb.7:
	v_mov_b32_e32 v1, 0
	s_delay_alu instid0(VALU_DEP_1)
	v_mov_b32_e32 v0, v1
	s_and_saveexec_b32 s3, s2
	s_cbranch_execz .LBB12_11
; %bb.8:
	v_dual_mov_b32 v5, 0 :: v_dual_lshlrev_b32 v4, 3, v7
	v_mov_b32_e32 v8, v7
	s_mov_b32 s4, 0
	s_delay_alu instid0(VALU_DEP_2)
	v_dual_mov_b32 v0, v5 :: v_dual_mov_b32 v1, v5
.LBB12_9:                               ; =>This Inner Loop Header: Depth=1
	global_load_b32 v9, v8, s[6:7] scale_offset
	v_lshl_add_u64 v[22:23], v[4:5], 2, s[8:9]
	v_add_nc_u32_e32 v4, 0x80, v4
	s_wait_loadcnt 0x0
	v_subrev_nc_u32_e32 v9, s16, v9
	s_delay_alu instid0(VALU_DEP_1) | instskip(NEXT) | instid1(VALU_DEP_1)
	v_dual_mov_b32 v11, v5 :: v_dual_lshlrev_b32 v10, 2, v9
	v_lshl_add_u64 v[24:25], v[10:11], 2, s[10:11]
	s_clause 0x1
	global_load_b128 v[10:13], v[22:23], off offset:16
	global_load_b128 v[14:17], v[22:23], off
	global_load_b128 v[18:21], v[24:25], off
	v_add_nc_u32_e32 v8, 16, v8
	s_wait_loadcnt 0x0
	v_pk_fma_f32 v[0:1], v[14:15], v[18:19], v[0:1] op_sel_hi:[1,0,1]
	v_mov_b32_e32 v14, v21
	s_delay_alu instid0(VALU_DEP_3) | instskip(NEXT) | instid1(VALU_DEP_3)
	v_cmp_ge_i32_e32 vcc_lo, v8, v6
	v_pk_fma_f32 v[0:1], v[16:17], v[18:19], v[0:1] op_sel:[0,1,0]
	s_or_b32 s4, vcc_lo, s4
	s_delay_alu instid0(VALU_DEP_1) | instskip(NEXT) | instid1(VALU_DEP_1)
	v_pk_fma_f32 v[0:1], v[10:11], v[20:21], v[0:1] op_sel_hi:[1,0,1]
	v_pk_fma_f32 v[0:1], v[12:13], v[14:15], v[0:1] op_sel_hi:[1,0,1]
	s_and_not1_b32 exec_lo, exec_lo, s4
	s_cbranch_execnz .LBB12_9
; %bb.10:
	s_or_b32 exec_lo, exec_lo, s4
.LBB12_11:
	s_delay_alu instid0(SALU_CYCLE_1)
	s_or_b32 exec_lo, exec_lo, s3
	s_cbranch_execz .LBB12_13
	s_branch .LBB12_18
.LBB12_12:
                                        ; implicit-def: $vgpr1
.LBB12_13:
	v_mov_b32_e32 v1, 0
	s_delay_alu instid0(VALU_DEP_1)
	v_mov_b32_e32 v0, v1
	s_and_saveexec_b32 s3, s2
	s_cbranch_execz .LBB12_17
; %bb.14:
	v_dual_mov_b32 v5, 0 :: v_dual_lshlrev_b32 v4, 3, v7
	s_mov_b32 s2, 0
	s_delay_alu instid0(VALU_DEP_1)
	v_dual_mov_b32 v0, v5 :: v_dual_mov_b32 v1, v5
.LBB12_15:                              ; =>This Inner Loop Header: Depth=1
	global_load_b32 v8, v7, s[6:7] scale_offset
	v_lshl_add_u64 v[16:17], v[4:5], 2, s[8:9]
	v_add_nc_u32_e32 v4, 0x80, v4
	s_wait_xcnt 0x0
	v_add_nc_u32_e32 v7, 16, v7
	s_delay_alu instid0(VALU_DEP_1) | instskip(SKIP_3) | instid1(VALU_DEP_1)
	v_cmp_ge_i32_e32 vcc_lo, v7, v6
	s_or_b32 s2, vcc_lo, s2
	s_wait_loadcnt 0x0
	v_subrev_nc_u32_e32 v8, s16, v8
	v_dual_mov_b32 v19, v5 :: v_dual_lshlrev_b32 v18, 2, v8
	s_clause 0x1
	global_load_b128 v[8:11], v[16:17], off offset:16
	global_load_b128 v[12:15], v[16:17], off
	s_wait_xcnt 0x0
	v_lshl_add_u64 v[16:17], v[18:19], 2, s[10:11]
	global_load_b128 v[16:19], v[16:17], off
	s_wait_loadcnt 0x1
	v_dual_mov_b32 v21, v8 :: v_dual_mov_b32 v20, v12
	v_dual_mov_b32 v8, v13 :: v_dual_mov_b32 v12, v14
	;; [unrolled: 1-line block ×3, first 2 shown]
	s_wait_loadcnt 0x0
	s_delay_alu instid0(VALU_DEP_3) | instskip(NEXT) | instid1(VALU_DEP_1)
	v_pk_fma_f32 v[0:1], v[20:21], v[16:17], v[0:1] op_sel_hi:[1,0,1]
	v_pk_fma_f32 v[0:1], v[8:9], v[16:17], v[0:1] op_sel:[0,1,0]
	v_mov_b32_e32 v8, v19
	s_delay_alu instid0(VALU_DEP_2) | instskip(NEXT) | instid1(VALU_DEP_1)
	v_pk_fma_f32 v[0:1], v[12:13], v[18:19], v[0:1] op_sel_hi:[1,0,1]
	v_pk_fma_f32 v[0:1], v[10:11], v[8:9], v[0:1] op_sel_hi:[1,0,1]
	s_and_not1_b32 exec_lo, exec_lo, s2
	s_cbranch_execnz .LBB12_15
; %bb.16:
	s_or_b32 exec_lo, exec_lo, s2
.LBB12_17:
	s_delay_alu instid0(SALU_CYCLE_1)
	s_or_b32 exec_lo, exec_lo, s3
.LBB12_18:
	v_mbcnt_lo_u32_b32 v6, -1, 0
	s_mov_b32 s2, -1
	s_delay_alu instid0(VALU_DEP_1) | instskip(SKIP_1) | instid1(VALU_DEP_1)
	v_xor_b32_e32 v7, 4, v6
	v_xor_b32_e32 v4, 8, v6
	v_cmp_gt_i32_e32 vcc_lo, 32, v4
	v_cndmask_b32_e32 v4, v6, v4, vcc_lo
	s_delay_alu instid0(VALU_DEP_4) | instskip(SKIP_1) | instid1(VALU_DEP_1)
	v_cmp_gt_i32_e32 vcc_lo, 32, v7
	v_cndmask_b32_e32 v7, v6, v7, vcc_lo
	v_dual_lshlrev_b32 v7, 2, v7 :: v_dual_lshlrev_b32 v5, 2, v4
	ds_bpermute_b32 v4, v5, v0
	ds_bpermute_b32 v5, v5, v1
	s_wait_dscnt 0x0
	v_pk_add_f32 v[0:1], v[0:1], v[4:5]
	ds_bpermute_b32 v4, v7, v0
	ds_bpermute_b32 v5, v7, v1
	v_xor_b32_e32 v7, 2, v6
	s_delay_alu instid0(VALU_DEP_1) | instskip(SKIP_1) | instid1(VALU_DEP_1)
	v_cmp_gt_i32_e32 vcc_lo, 32, v7
	v_cndmask_b32_e32 v7, v6, v7, vcc_lo
	v_lshlrev_b32_e32 v7, 2, v7
	s_wait_dscnt 0x0
	v_pk_add_f32 v[0:1], v[0:1], v[4:5]
	ds_bpermute_b32 v4, v7, v0
	ds_bpermute_b32 v5, v7, v1
	v_xor_b32_e32 v7, 1, v6
	s_delay_alu instid0(VALU_DEP_1) | instskip(SKIP_2) | instid1(VALU_DEP_2)
	v_cmp_gt_i32_e32 vcc_lo, 32, v7
	v_cndmask_b32_e32 v6, v6, v7, vcc_lo
	v_cmp_eq_u32_e32 vcc_lo, 15, v3
	v_lshlrev_b32_e32 v6, 2, v6
	s_wait_dscnt 0x0
	v_pk_add_f32 v[0:1], v[0:1], v[4:5]
	ds_bpermute_b32 v4, v6, v0
	ds_bpermute_b32 v5, v6, v1
	s_and_b32 exec_lo, exec_lo, vcc_lo
	s_cbranch_execz .LBB12_23
; %bb.19:
	s_load_b64 s[0:1], s[0:1], 0x38
	s_wait_dscnt 0x0
	v_pk_add_f32 v[0:1], v[0:1], v[4:5]
	v_lshlrev_b32_e32 v2, 1, v2
	s_cmp_eq_f32 s12, 0
	s_cbranch_scc0 .LBB12_21
; %bb.20:
	s_delay_alu instid0(VALU_DEP_1) | instskip(SKIP_3) | instid1(VALU_DEP_2)
	v_ashrrev_i32_e32 v3, 31, v2
	v_pk_mul_f32 v[6:7], s[14:15], v[0:1] op_sel_hi:[0,1]
	s_mov_b32 s2, 0
	s_wait_kmcnt 0x0
	v_lshl_add_u64 v[4:5], v[2:3], 2, s[0:1]
	global_store_b64 v[4:5], v[6:7], off
.LBB12_21:
	s_and_not1_b32 vcc_lo, exec_lo, s2
	s_cbranch_vccnz .LBB12_23
; %bb.22:
	v_ashrrev_i32_e32 v3, 31, v2
	v_pk_mul_f32 v[0:1], s[14:15], v[0:1] op_sel_hi:[0,1]
	s_wait_kmcnt 0x0
	s_delay_alu instid0(VALU_DEP_2)
	v_lshl_add_u64 v[2:3], v[2:3], 2, s[0:1]
	global_load_b64 v[4:5], v[2:3], off
	s_wait_loadcnt 0x0
	v_pk_fma_f32 v[0:1], s[12:13], v[4:5], v[0:1] op_sel_hi:[0,1,1]
	global_store_b64 v[2:3], v[0:1], off
.LBB12_23:
	s_endpgm
	.section	.rodata,"a",@progbits
	.p2align	6, 0x0
	.amdhsa_kernel _ZN9rocsparseL19gebsrmvn_2xn_kernelILj128ELj4ELj16EfEEvi20rocsparse_direction_NS_24const_host_device_scalarIT2_EEPKiS6_PKS3_S8_S4_PS3_21rocsparse_index_base_b
		.amdhsa_group_segment_fixed_size 0
		.amdhsa_private_segment_fixed_size 0
		.amdhsa_kernarg_size 72
		.amdhsa_user_sgpr_count 2
		.amdhsa_user_sgpr_dispatch_ptr 0
		.amdhsa_user_sgpr_queue_ptr 0
		.amdhsa_user_sgpr_kernarg_segment_ptr 1
		.amdhsa_user_sgpr_dispatch_id 0
		.amdhsa_user_sgpr_kernarg_preload_length 0
		.amdhsa_user_sgpr_kernarg_preload_offset 0
		.amdhsa_user_sgpr_private_segment_size 0
		.amdhsa_wavefront_size32 1
		.amdhsa_uses_dynamic_stack 0
		.amdhsa_enable_private_segment 0
		.amdhsa_system_sgpr_workgroup_id_x 1
		.amdhsa_system_sgpr_workgroup_id_y 0
		.amdhsa_system_sgpr_workgroup_id_z 0
		.amdhsa_system_sgpr_workgroup_info 0
		.amdhsa_system_vgpr_workitem_id 0
		.amdhsa_next_free_vgpr 26
		.amdhsa_next_free_sgpr 18
		.amdhsa_named_barrier_count 0
		.amdhsa_reserve_vcc 1
		.amdhsa_float_round_mode_32 0
		.amdhsa_float_round_mode_16_64 0
		.amdhsa_float_denorm_mode_32 3
		.amdhsa_float_denorm_mode_16_64 3
		.amdhsa_fp16_overflow 0
		.amdhsa_memory_ordered 1
		.amdhsa_forward_progress 1
		.amdhsa_inst_pref_size 9
		.amdhsa_round_robin_scheduling 0
		.amdhsa_exception_fp_ieee_invalid_op 0
		.amdhsa_exception_fp_denorm_src 0
		.amdhsa_exception_fp_ieee_div_zero 0
		.amdhsa_exception_fp_ieee_overflow 0
		.amdhsa_exception_fp_ieee_underflow 0
		.amdhsa_exception_fp_ieee_inexact 0
		.amdhsa_exception_int_div_zero 0
	.end_amdhsa_kernel
	.section	.text._ZN9rocsparseL19gebsrmvn_2xn_kernelILj128ELj4ELj16EfEEvi20rocsparse_direction_NS_24const_host_device_scalarIT2_EEPKiS6_PKS3_S8_S4_PS3_21rocsparse_index_base_b,"axG",@progbits,_ZN9rocsparseL19gebsrmvn_2xn_kernelILj128ELj4ELj16EfEEvi20rocsparse_direction_NS_24const_host_device_scalarIT2_EEPKiS6_PKS3_S8_S4_PS3_21rocsparse_index_base_b,comdat
.Lfunc_end12:
	.size	_ZN9rocsparseL19gebsrmvn_2xn_kernelILj128ELj4ELj16EfEEvi20rocsparse_direction_NS_24const_host_device_scalarIT2_EEPKiS6_PKS3_S8_S4_PS3_21rocsparse_index_base_b, .Lfunc_end12-_ZN9rocsparseL19gebsrmvn_2xn_kernelILj128ELj4ELj16EfEEvi20rocsparse_direction_NS_24const_host_device_scalarIT2_EEPKiS6_PKS3_S8_S4_PS3_21rocsparse_index_base_b
                                        ; -- End function
	.set _ZN9rocsparseL19gebsrmvn_2xn_kernelILj128ELj4ELj16EfEEvi20rocsparse_direction_NS_24const_host_device_scalarIT2_EEPKiS6_PKS3_S8_S4_PS3_21rocsparse_index_base_b.num_vgpr, 26
	.set _ZN9rocsparseL19gebsrmvn_2xn_kernelILj128ELj4ELj16EfEEvi20rocsparse_direction_NS_24const_host_device_scalarIT2_EEPKiS6_PKS3_S8_S4_PS3_21rocsparse_index_base_b.num_agpr, 0
	.set _ZN9rocsparseL19gebsrmvn_2xn_kernelILj128ELj4ELj16EfEEvi20rocsparse_direction_NS_24const_host_device_scalarIT2_EEPKiS6_PKS3_S8_S4_PS3_21rocsparse_index_base_b.numbered_sgpr, 18
	.set _ZN9rocsparseL19gebsrmvn_2xn_kernelILj128ELj4ELj16EfEEvi20rocsparse_direction_NS_24const_host_device_scalarIT2_EEPKiS6_PKS3_S8_S4_PS3_21rocsparse_index_base_b.num_named_barrier, 0
	.set _ZN9rocsparseL19gebsrmvn_2xn_kernelILj128ELj4ELj16EfEEvi20rocsparse_direction_NS_24const_host_device_scalarIT2_EEPKiS6_PKS3_S8_S4_PS3_21rocsparse_index_base_b.private_seg_size, 0
	.set _ZN9rocsparseL19gebsrmvn_2xn_kernelILj128ELj4ELj16EfEEvi20rocsparse_direction_NS_24const_host_device_scalarIT2_EEPKiS6_PKS3_S8_S4_PS3_21rocsparse_index_base_b.uses_vcc, 1
	.set _ZN9rocsparseL19gebsrmvn_2xn_kernelILj128ELj4ELj16EfEEvi20rocsparse_direction_NS_24const_host_device_scalarIT2_EEPKiS6_PKS3_S8_S4_PS3_21rocsparse_index_base_b.uses_flat_scratch, 0
	.set _ZN9rocsparseL19gebsrmvn_2xn_kernelILj128ELj4ELj16EfEEvi20rocsparse_direction_NS_24const_host_device_scalarIT2_EEPKiS6_PKS3_S8_S4_PS3_21rocsparse_index_base_b.has_dyn_sized_stack, 0
	.set _ZN9rocsparseL19gebsrmvn_2xn_kernelILj128ELj4ELj16EfEEvi20rocsparse_direction_NS_24const_host_device_scalarIT2_EEPKiS6_PKS3_S8_S4_PS3_21rocsparse_index_base_b.has_recursion, 0
	.set _ZN9rocsparseL19gebsrmvn_2xn_kernelILj128ELj4ELj16EfEEvi20rocsparse_direction_NS_24const_host_device_scalarIT2_EEPKiS6_PKS3_S8_S4_PS3_21rocsparse_index_base_b.has_indirect_call, 0
	.section	.AMDGPU.csdata,"",@progbits
; Kernel info:
; codeLenInByte = 1128
; TotalNumSgprs: 20
; NumVgprs: 26
; ScratchSize: 0
; MemoryBound: 0
; FloatMode: 240
; IeeeMode: 1
; LDSByteSize: 0 bytes/workgroup (compile time only)
; SGPRBlocks: 0
; VGPRBlocks: 1
; NumSGPRsForWavesPerEU: 20
; NumVGPRsForWavesPerEU: 26
; NamedBarCnt: 0
; Occupancy: 16
; WaveLimiterHint : 1
; COMPUTE_PGM_RSRC2:SCRATCH_EN: 0
; COMPUTE_PGM_RSRC2:USER_SGPR: 2
; COMPUTE_PGM_RSRC2:TRAP_HANDLER: 0
; COMPUTE_PGM_RSRC2:TGID_X_EN: 1
; COMPUTE_PGM_RSRC2:TGID_Y_EN: 0
; COMPUTE_PGM_RSRC2:TGID_Z_EN: 0
; COMPUTE_PGM_RSRC2:TIDIG_COMP_CNT: 0
	.section	.text._ZN9rocsparseL19gebsrmvn_2xn_kernelILj128ELj4ELj32EfEEvi20rocsparse_direction_NS_24const_host_device_scalarIT2_EEPKiS6_PKS3_S8_S4_PS3_21rocsparse_index_base_b,"axG",@progbits,_ZN9rocsparseL19gebsrmvn_2xn_kernelILj128ELj4ELj32EfEEvi20rocsparse_direction_NS_24const_host_device_scalarIT2_EEPKiS6_PKS3_S8_S4_PS3_21rocsparse_index_base_b,comdat
	.globl	_ZN9rocsparseL19gebsrmvn_2xn_kernelILj128ELj4ELj32EfEEvi20rocsparse_direction_NS_24const_host_device_scalarIT2_EEPKiS6_PKS3_S8_S4_PS3_21rocsparse_index_base_b ; -- Begin function _ZN9rocsparseL19gebsrmvn_2xn_kernelILj128ELj4ELj32EfEEvi20rocsparse_direction_NS_24const_host_device_scalarIT2_EEPKiS6_PKS3_S8_S4_PS3_21rocsparse_index_base_b
	.p2align	8
	.type	_ZN9rocsparseL19gebsrmvn_2xn_kernelILj128ELj4ELj32EfEEvi20rocsparse_direction_NS_24const_host_device_scalarIT2_EEPKiS6_PKS3_S8_S4_PS3_21rocsparse_index_base_b,@function
_ZN9rocsparseL19gebsrmvn_2xn_kernelILj128ELj4ELj32EfEEvi20rocsparse_direction_NS_24const_host_device_scalarIT2_EEPKiS6_PKS3_S8_S4_PS3_21rocsparse_index_base_b: ; @_ZN9rocsparseL19gebsrmvn_2xn_kernelILj128ELj4ELj32EfEEvi20rocsparse_direction_NS_24const_host_device_scalarIT2_EEPKiS6_PKS3_S8_S4_PS3_21rocsparse_index_base_b
; %bb.0:
	s_clause 0x2
	s_load_b64 s[16:17], s[0:1], 0x40
	s_load_b64 s[14:15], s[0:1], 0x8
	;; [unrolled: 1-line block ×3, first 2 shown]
	s_wait_kmcnt 0x0
	s_bitcmp1_b32 s17, 0
	s_cselect_b32 s2, -1, 0
	s_delay_alu instid0(SALU_CYCLE_1)
	s_and_b32 vcc_lo, exec_lo, s2
	s_xor_b32 s2, s2, -1
	s_cbranch_vccnz .LBB13_2
; %bb.1:
	s_load_b32 s14, s[14:15], 0x0
.LBB13_2:
	s_and_not1_b32 vcc_lo, exec_lo, s2
	s_cbranch_vccnz .LBB13_4
; %bb.3:
	s_load_b32 s12, s[12:13], 0x0
.LBB13_4:
	s_wait_kmcnt 0x0
	s_cmp_eq_f32 s14, 0
	s_cselect_b32 s2, -1, 0
	s_cmp_eq_f32 s12, 1.0
	s_cselect_b32 s3, -1, 0
	s_delay_alu instid0(SALU_CYCLE_1) | instskip(NEXT) | instid1(SALU_CYCLE_1)
	s_and_b32 s2, s2, s3
	s_and_b32 vcc_lo, exec_lo, s2
	s_cbranch_vccnz .LBB13_23
; %bb.5:
	s_load_b64 s[2:3], s[0:1], 0x0
	s_bfe_u32 s4, ttmp6, 0x4000c
	s_and_b32 s5, ttmp6, 15
	s_add_co_i32 s4, s4, 1
	s_getreg_b32 s6, hwreg(HW_REG_IB_STS2, 6, 4)
	s_mul_i32 s4, ttmp9, s4
	v_lshrrev_b32_e32 v1, 5, v0
	s_add_co_i32 s5, s5, s4
	s_cmp_eq_u32 s6, 0
	s_cselect_b32 s4, ttmp9, s5
	s_delay_alu instid0(VALU_DEP_1) | instid1(SALU_CYCLE_1)
	v_lshl_or_b32 v2, s4, 2, v1
	s_wait_kmcnt 0x0
	s_delay_alu instid0(VALU_DEP_1)
	v_cmp_gt_i32_e32 vcc_lo, s2, v2
	s_and_saveexec_b32 s2, vcc_lo
	s_cbranch_execz .LBB13_23
; %bb.6:
	s_load_b256 s[4:11], s[0:1], 0x10
	v_ashrrev_i32_e32 v3, 31, v2
	s_cmp_lg_u32 s3, 0
	s_wait_kmcnt 0x0
	s_delay_alu instid0(VALU_DEP_1)
	v_lshl_add_u64 v[4:5], v[2:3], 2, s[4:5]
	v_and_b32_e32 v3, 31, v0
	global_load_b64 v[4:5], v[4:5], off
	s_wait_loadcnt 0x0
	v_subrev_nc_u32_e32 v0, s16, v4
	v_subrev_nc_u32_e32 v6, s16, v5
	s_delay_alu instid0(VALU_DEP_2) | instskip(NEXT) | instid1(VALU_DEP_1)
	v_add_nc_u32_e32 v7, v0, v3
	v_cmp_lt_i32_e64 s2, v7, v6
	s_cbranch_scc0 .LBB13_12
; %bb.7:
	v_mov_b32_e32 v1, 0
	s_delay_alu instid0(VALU_DEP_1)
	v_mov_b32_e32 v0, v1
	s_and_saveexec_b32 s3, s2
	s_cbranch_execz .LBB13_11
; %bb.8:
	v_dual_mov_b32 v5, 0 :: v_dual_lshlrev_b32 v4, 3, v7
	v_mov_b32_e32 v8, v7
	s_mov_b32 s4, 0
	s_delay_alu instid0(VALU_DEP_2)
	v_dual_mov_b32 v0, v5 :: v_dual_mov_b32 v1, v5
.LBB13_9:                               ; =>This Inner Loop Header: Depth=1
	global_load_b32 v9, v8, s[6:7] scale_offset
	v_lshl_add_u64 v[22:23], v[4:5], 2, s[8:9]
	v_add_nc_u32_e32 v4, 0x100, v4
	s_wait_loadcnt 0x0
	v_subrev_nc_u32_e32 v9, s16, v9
	s_delay_alu instid0(VALU_DEP_1) | instskip(NEXT) | instid1(VALU_DEP_1)
	v_dual_mov_b32 v11, v5 :: v_dual_lshlrev_b32 v10, 2, v9
	v_lshl_add_u64 v[24:25], v[10:11], 2, s[10:11]
	s_clause 0x1
	global_load_b128 v[10:13], v[22:23], off offset:16
	global_load_b128 v[14:17], v[22:23], off
	global_load_b128 v[18:21], v[24:25], off
	v_add_nc_u32_e32 v8, 32, v8
	s_wait_loadcnt 0x0
	v_pk_fma_f32 v[0:1], v[14:15], v[18:19], v[0:1] op_sel_hi:[1,0,1]
	v_mov_b32_e32 v14, v21
	s_delay_alu instid0(VALU_DEP_3) | instskip(NEXT) | instid1(VALU_DEP_3)
	v_cmp_ge_i32_e32 vcc_lo, v8, v6
	v_pk_fma_f32 v[0:1], v[16:17], v[18:19], v[0:1] op_sel:[0,1,0]
	s_or_b32 s4, vcc_lo, s4
	s_delay_alu instid0(VALU_DEP_1) | instskip(NEXT) | instid1(VALU_DEP_1)
	v_pk_fma_f32 v[0:1], v[10:11], v[20:21], v[0:1] op_sel_hi:[1,0,1]
	v_pk_fma_f32 v[0:1], v[12:13], v[14:15], v[0:1] op_sel_hi:[1,0,1]
	s_and_not1_b32 exec_lo, exec_lo, s4
	s_cbranch_execnz .LBB13_9
; %bb.10:
	s_or_b32 exec_lo, exec_lo, s4
.LBB13_11:
	s_delay_alu instid0(SALU_CYCLE_1)
	s_or_b32 exec_lo, exec_lo, s3
	s_cbranch_execz .LBB13_13
	s_branch .LBB13_18
.LBB13_12:
                                        ; implicit-def: $vgpr1
.LBB13_13:
	v_mov_b32_e32 v1, 0
	s_delay_alu instid0(VALU_DEP_1)
	v_mov_b32_e32 v0, v1
	s_and_saveexec_b32 s3, s2
	s_cbranch_execz .LBB13_17
; %bb.14:
	v_dual_mov_b32 v5, 0 :: v_dual_lshlrev_b32 v4, 3, v7
	s_mov_b32 s2, 0
	s_delay_alu instid0(VALU_DEP_1)
	v_dual_mov_b32 v0, v5 :: v_dual_mov_b32 v1, v5
.LBB13_15:                              ; =>This Inner Loop Header: Depth=1
	global_load_b32 v8, v7, s[6:7] scale_offset
	v_lshl_add_u64 v[16:17], v[4:5], 2, s[8:9]
	v_add_nc_u32_e32 v4, 0x100, v4
	s_wait_xcnt 0x0
	v_add_nc_u32_e32 v7, 32, v7
	s_delay_alu instid0(VALU_DEP_1) | instskip(SKIP_3) | instid1(VALU_DEP_1)
	v_cmp_ge_i32_e32 vcc_lo, v7, v6
	s_or_b32 s2, vcc_lo, s2
	s_wait_loadcnt 0x0
	v_subrev_nc_u32_e32 v8, s16, v8
	v_dual_mov_b32 v19, v5 :: v_dual_lshlrev_b32 v18, 2, v8
	s_clause 0x1
	global_load_b128 v[8:11], v[16:17], off offset:16
	global_load_b128 v[12:15], v[16:17], off
	s_wait_xcnt 0x0
	v_lshl_add_u64 v[16:17], v[18:19], 2, s[10:11]
	global_load_b128 v[16:19], v[16:17], off
	s_wait_loadcnt 0x1
	v_dual_mov_b32 v21, v8 :: v_dual_mov_b32 v20, v12
	v_dual_mov_b32 v8, v13 :: v_dual_mov_b32 v12, v14
	;; [unrolled: 1-line block ×3, first 2 shown]
	s_wait_loadcnt 0x0
	s_delay_alu instid0(VALU_DEP_3) | instskip(NEXT) | instid1(VALU_DEP_1)
	v_pk_fma_f32 v[0:1], v[20:21], v[16:17], v[0:1] op_sel_hi:[1,0,1]
	v_pk_fma_f32 v[0:1], v[8:9], v[16:17], v[0:1] op_sel:[0,1,0]
	v_mov_b32_e32 v8, v19
	s_delay_alu instid0(VALU_DEP_2) | instskip(NEXT) | instid1(VALU_DEP_1)
	v_pk_fma_f32 v[0:1], v[12:13], v[18:19], v[0:1] op_sel_hi:[1,0,1]
	v_pk_fma_f32 v[0:1], v[10:11], v[8:9], v[0:1] op_sel_hi:[1,0,1]
	s_and_not1_b32 exec_lo, exec_lo, s2
	s_cbranch_execnz .LBB13_15
; %bb.16:
	s_or_b32 exec_lo, exec_lo, s2
.LBB13_17:
	s_delay_alu instid0(SALU_CYCLE_1)
	s_or_b32 exec_lo, exec_lo, s3
.LBB13_18:
	v_mbcnt_lo_u32_b32 v6, -1, 0
	s_mov_b32 s2, -1
	s_delay_alu instid0(VALU_DEP_1) | instskip(SKIP_1) | instid1(VALU_DEP_1)
	v_xor_b32_e32 v7, 8, v6
	v_xor_b32_e32 v4, 16, v6
	v_cmp_gt_i32_e32 vcc_lo, 32, v4
	v_cndmask_b32_e32 v4, v6, v4, vcc_lo
	s_delay_alu instid0(VALU_DEP_4) | instskip(SKIP_1) | instid1(VALU_DEP_1)
	v_cmp_gt_i32_e32 vcc_lo, 32, v7
	v_cndmask_b32_e32 v7, v6, v7, vcc_lo
	v_dual_lshlrev_b32 v7, 2, v7 :: v_dual_lshlrev_b32 v5, 2, v4
	ds_bpermute_b32 v4, v5, v0
	ds_bpermute_b32 v5, v5, v1
	s_wait_dscnt 0x0
	v_pk_add_f32 v[0:1], v[0:1], v[4:5]
	ds_bpermute_b32 v4, v7, v0
	ds_bpermute_b32 v5, v7, v1
	v_xor_b32_e32 v7, 4, v6
	s_delay_alu instid0(VALU_DEP_1) | instskip(SKIP_1) | instid1(VALU_DEP_1)
	v_cmp_gt_i32_e32 vcc_lo, 32, v7
	v_cndmask_b32_e32 v7, v6, v7, vcc_lo
	v_lshlrev_b32_e32 v7, 2, v7
	s_wait_dscnt 0x0
	v_pk_add_f32 v[0:1], v[0:1], v[4:5]
	ds_bpermute_b32 v4, v7, v0
	ds_bpermute_b32 v5, v7, v1
	v_xor_b32_e32 v7, 2, v6
	s_delay_alu instid0(VALU_DEP_1) | instskip(SKIP_1) | instid1(VALU_DEP_1)
	v_cmp_gt_i32_e32 vcc_lo, 32, v7
	v_cndmask_b32_e32 v7, v6, v7, vcc_lo
	v_lshlrev_b32_e32 v7, 2, v7
	s_wait_dscnt 0x0
	v_pk_add_f32 v[0:1], v[0:1], v[4:5]
	ds_bpermute_b32 v4, v7, v0
	ds_bpermute_b32 v5, v7, v1
	v_xor_b32_e32 v7, 1, v6
	s_delay_alu instid0(VALU_DEP_1) | instskip(SKIP_2) | instid1(VALU_DEP_2)
	v_cmp_gt_i32_e32 vcc_lo, 32, v7
	v_cndmask_b32_e32 v6, v6, v7, vcc_lo
	v_cmp_eq_u32_e32 vcc_lo, 31, v3
	v_lshlrev_b32_e32 v6, 2, v6
	s_wait_dscnt 0x0
	v_pk_add_f32 v[0:1], v[0:1], v[4:5]
	ds_bpermute_b32 v4, v6, v0
	ds_bpermute_b32 v5, v6, v1
	s_and_b32 exec_lo, exec_lo, vcc_lo
	s_cbranch_execz .LBB13_23
; %bb.19:
	s_load_b64 s[0:1], s[0:1], 0x38
	s_wait_dscnt 0x0
	v_pk_add_f32 v[0:1], v[0:1], v[4:5]
	v_lshlrev_b32_e32 v2, 1, v2
	s_cmp_eq_f32 s12, 0
	s_cbranch_scc0 .LBB13_21
; %bb.20:
	s_delay_alu instid0(VALU_DEP_1) | instskip(SKIP_3) | instid1(VALU_DEP_2)
	v_ashrrev_i32_e32 v3, 31, v2
	v_pk_mul_f32 v[6:7], s[14:15], v[0:1] op_sel_hi:[0,1]
	s_mov_b32 s2, 0
	s_wait_kmcnt 0x0
	v_lshl_add_u64 v[4:5], v[2:3], 2, s[0:1]
	global_store_b64 v[4:5], v[6:7], off
.LBB13_21:
	s_and_not1_b32 vcc_lo, exec_lo, s2
	s_cbranch_vccnz .LBB13_23
; %bb.22:
	v_ashrrev_i32_e32 v3, 31, v2
	v_pk_mul_f32 v[0:1], s[14:15], v[0:1] op_sel_hi:[0,1]
	s_wait_kmcnt 0x0
	s_delay_alu instid0(VALU_DEP_2)
	v_lshl_add_u64 v[2:3], v[2:3], 2, s[0:1]
	global_load_b64 v[4:5], v[2:3], off
	s_wait_loadcnt 0x0
	v_pk_fma_f32 v[0:1], s[12:13], v[4:5], v[0:1] op_sel_hi:[0,1,1]
	global_store_b64 v[2:3], v[0:1], off
.LBB13_23:
	s_endpgm
	.section	.rodata,"a",@progbits
	.p2align	6, 0x0
	.amdhsa_kernel _ZN9rocsparseL19gebsrmvn_2xn_kernelILj128ELj4ELj32EfEEvi20rocsparse_direction_NS_24const_host_device_scalarIT2_EEPKiS6_PKS3_S8_S4_PS3_21rocsparse_index_base_b
		.amdhsa_group_segment_fixed_size 0
		.amdhsa_private_segment_fixed_size 0
		.amdhsa_kernarg_size 72
		.amdhsa_user_sgpr_count 2
		.amdhsa_user_sgpr_dispatch_ptr 0
		.amdhsa_user_sgpr_queue_ptr 0
		.amdhsa_user_sgpr_kernarg_segment_ptr 1
		.amdhsa_user_sgpr_dispatch_id 0
		.amdhsa_user_sgpr_kernarg_preload_length 0
		.amdhsa_user_sgpr_kernarg_preload_offset 0
		.amdhsa_user_sgpr_private_segment_size 0
		.amdhsa_wavefront_size32 1
		.amdhsa_uses_dynamic_stack 0
		.amdhsa_enable_private_segment 0
		.amdhsa_system_sgpr_workgroup_id_x 1
		.amdhsa_system_sgpr_workgroup_id_y 0
		.amdhsa_system_sgpr_workgroup_id_z 0
		.amdhsa_system_sgpr_workgroup_info 0
		.amdhsa_system_vgpr_workitem_id 0
		.amdhsa_next_free_vgpr 26
		.amdhsa_next_free_sgpr 18
		.amdhsa_named_barrier_count 0
		.amdhsa_reserve_vcc 1
		.amdhsa_float_round_mode_32 0
		.amdhsa_float_round_mode_16_64 0
		.amdhsa_float_denorm_mode_32 3
		.amdhsa_float_denorm_mode_16_64 3
		.amdhsa_fp16_overflow 0
		.amdhsa_memory_ordered 1
		.amdhsa_forward_progress 1
		.amdhsa_inst_pref_size 10
		.amdhsa_round_robin_scheduling 0
		.amdhsa_exception_fp_ieee_invalid_op 0
		.amdhsa_exception_fp_denorm_src 0
		.amdhsa_exception_fp_ieee_div_zero 0
		.amdhsa_exception_fp_ieee_overflow 0
		.amdhsa_exception_fp_ieee_underflow 0
		.amdhsa_exception_fp_ieee_inexact 0
		.amdhsa_exception_int_div_zero 0
	.end_amdhsa_kernel
	.section	.text._ZN9rocsparseL19gebsrmvn_2xn_kernelILj128ELj4ELj32EfEEvi20rocsparse_direction_NS_24const_host_device_scalarIT2_EEPKiS6_PKS3_S8_S4_PS3_21rocsparse_index_base_b,"axG",@progbits,_ZN9rocsparseL19gebsrmvn_2xn_kernelILj128ELj4ELj32EfEEvi20rocsparse_direction_NS_24const_host_device_scalarIT2_EEPKiS6_PKS3_S8_S4_PS3_21rocsparse_index_base_b,comdat
.Lfunc_end13:
	.size	_ZN9rocsparseL19gebsrmvn_2xn_kernelILj128ELj4ELj32EfEEvi20rocsparse_direction_NS_24const_host_device_scalarIT2_EEPKiS6_PKS3_S8_S4_PS3_21rocsparse_index_base_b, .Lfunc_end13-_ZN9rocsparseL19gebsrmvn_2xn_kernelILj128ELj4ELj32EfEEvi20rocsparse_direction_NS_24const_host_device_scalarIT2_EEPKiS6_PKS3_S8_S4_PS3_21rocsparse_index_base_b
                                        ; -- End function
	.set _ZN9rocsparseL19gebsrmvn_2xn_kernelILj128ELj4ELj32EfEEvi20rocsparse_direction_NS_24const_host_device_scalarIT2_EEPKiS6_PKS3_S8_S4_PS3_21rocsparse_index_base_b.num_vgpr, 26
	.set _ZN9rocsparseL19gebsrmvn_2xn_kernelILj128ELj4ELj32EfEEvi20rocsparse_direction_NS_24const_host_device_scalarIT2_EEPKiS6_PKS3_S8_S4_PS3_21rocsparse_index_base_b.num_agpr, 0
	.set _ZN9rocsparseL19gebsrmvn_2xn_kernelILj128ELj4ELj32EfEEvi20rocsparse_direction_NS_24const_host_device_scalarIT2_EEPKiS6_PKS3_S8_S4_PS3_21rocsparse_index_base_b.numbered_sgpr, 18
	.set _ZN9rocsparseL19gebsrmvn_2xn_kernelILj128ELj4ELj32EfEEvi20rocsparse_direction_NS_24const_host_device_scalarIT2_EEPKiS6_PKS3_S8_S4_PS3_21rocsparse_index_base_b.num_named_barrier, 0
	.set _ZN9rocsparseL19gebsrmvn_2xn_kernelILj128ELj4ELj32EfEEvi20rocsparse_direction_NS_24const_host_device_scalarIT2_EEPKiS6_PKS3_S8_S4_PS3_21rocsparse_index_base_b.private_seg_size, 0
	.set _ZN9rocsparseL19gebsrmvn_2xn_kernelILj128ELj4ELj32EfEEvi20rocsparse_direction_NS_24const_host_device_scalarIT2_EEPKiS6_PKS3_S8_S4_PS3_21rocsparse_index_base_b.uses_vcc, 1
	.set _ZN9rocsparseL19gebsrmvn_2xn_kernelILj128ELj4ELj32EfEEvi20rocsparse_direction_NS_24const_host_device_scalarIT2_EEPKiS6_PKS3_S8_S4_PS3_21rocsparse_index_base_b.uses_flat_scratch, 0
	.set _ZN9rocsparseL19gebsrmvn_2xn_kernelILj128ELj4ELj32EfEEvi20rocsparse_direction_NS_24const_host_device_scalarIT2_EEPKiS6_PKS3_S8_S4_PS3_21rocsparse_index_base_b.has_dyn_sized_stack, 0
	.set _ZN9rocsparseL19gebsrmvn_2xn_kernelILj128ELj4ELj32EfEEvi20rocsparse_direction_NS_24const_host_device_scalarIT2_EEPKiS6_PKS3_S8_S4_PS3_21rocsparse_index_base_b.has_recursion, 0
	.set _ZN9rocsparseL19gebsrmvn_2xn_kernelILj128ELj4ELj32EfEEvi20rocsparse_direction_NS_24const_host_device_scalarIT2_EEPKiS6_PKS3_S8_S4_PS3_21rocsparse_index_base_b.has_indirect_call, 0
	.section	.AMDGPU.csdata,"",@progbits
; Kernel info:
; codeLenInByte = 1176
; TotalNumSgprs: 20
; NumVgprs: 26
; ScratchSize: 0
; MemoryBound: 0
; FloatMode: 240
; IeeeMode: 1
; LDSByteSize: 0 bytes/workgroup (compile time only)
; SGPRBlocks: 0
; VGPRBlocks: 1
; NumSGPRsForWavesPerEU: 20
; NumVGPRsForWavesPerEU: 26
; NamedBarCnt: 0
; Occupancy: 16
; WaveLimiterHint : 1
; COMPUTE_PGM_RSRC2:SCRATCH_EN: 0
; COMPUTE_PGM_RSRC2:USER_SGPR: 2
; COMPUTE_PGM_RSRC2:TRAP_HANDLER: 0
; COMPUTE_PGM_RSRC2:TGID_X_EN: 1
; COMPUTE_PGM_RSRC2:TGID_Y_EN: 0
; COMPUTE_PGM_RSRC2:TGID_Z_EN: 0
; COMPUTE_PGM_RSRC2:TIDIG_COMP_CNT: 0
	.section	.text._ZN9rocsparseL19gebsrmvn_2xn_kernelILj128ELj4ELj64EfEEvi20rocsparse_direction_NS_24const_host_device_scalarIT2_EEPKiS6_PKS3_S8_S4_PS3_21rocsparse_index_base_b,"axG",@progbits,_ZN9rocsparseL19gebsrmvn_2xn_kernelILj128ELj4ELj64EfEEvi20rocsparse_direction_NS_24const_host_device_scalarIT2_EEPKiS6_PKS3_S8_S4_PS3_21rocsparse_index_base_b,comdat
	.globl	_ZN9rocsparseL19gebsrmvn_2xn_kernelILj128ELj4ELj64EfEEvi20rocsparse_direction_NS_24const_host_device_scalarIT2_EEPKiS6_PKS3_S8_S4_PS3_21rocsparse_index_base_b ; -- Begin function _ZN9rocsparseL19gebsrmvn_2xn_kernelILj128ELj4ELj64EfEEvi20rocsparse_direction_NS_24const_host_device_scalarIT2_EEPKiS6_PKS3_S8_S4_PS3_21rocsparse_index_base_b
	.p2align	8
	.type	_ZN9rocsparseL19gebsrmvn_2xn_kernelILj128ELj4ELj64EfEEvi20rocsparse_direction_NS_24const_host_device_scalarIT2_EEPKiS6_PKS3_S8_S4_PS3_21rocsparse_index_base_b,@function
_ZN9rocsparseL19gebsrmvn_2xn_kernelILj128ELj4ELj64EfEEvi20rocsparse_direction_NS_24const_host_device_scalarIT2_EEPKiS6_PKS3_S8_S4_PS3_21rocsparse_index_base_b: ; @_ZN9rocsparseL19gebsrmvn_2xn_kernelILj128ELj4ELj64EfEEvi20rocsparse_direction_NS_24const_host_device_scalarIT2_EEPKiS6_PKS3_S8_S4_PS3_21rocsparse_index_base_b
; %bb.0:
	s_clause 0x2
	s_load_b64 s[16:17], s[0:1], 0x40
	s_load_b64 s[14:15], s[0:1], 0x8
	;; [unrolled: 1-line block ×3, first 2 shown]
	s_wait_kmcnt 0x0
	s_bitcmp1_b32 s17, 0
	s_cselect_b32 s2, -1, 0
	s_delay_alu instid0(SALU_CYCLE_1)
	s_and_b32 vcc_lo, exec_lo, s2
	s_xor_b32 s2, s2, -1
	s_cbranch_vccnz .LBB14_2
; %bb.1:
	s_load_b32 s14, s[14:15], 0x0
.LBB14_2:
	s_and_not1_b32 vcc_lo, exec_lo, s2
	s_cbranch_vccnz .LBB14_4
; %bb.3:
	s_load_b32 s12, s[12:13], 0x0
.LBB14_4:
	s_wait_kmcnt 0x0
	s_cmp_eq_f32 s14, 0
	s_cselect_b32 s2, -1, 0
	s_cmp_eq_f32 s12, 1.0
	s_cselect_b32 s3, -1, 0
	s_delay_alu instid0(SALU_CYCLE_1) | instskip(NEXT) | instid1(SALU_CYCLE_1)
	s_and_b32 s2, s2, s3
	s_and_b32 vcc_lo, exec_lo, s2
	s_cbranch_vccnz .LBB14_23
; %bb.5:
	s_load_b64 s[2:3], s[0:1], 0x0
	s_bfe_u32 s4, ttmp6, 0x4000c
	s_and_b32 s5, ttmp6, 15
	s_add_co_i32 s4, s4, 1
	s_getreg_b32 s6, hwreg(HW_REG_IB_STS2, 6, 4)
	s_mul_i32 s4, ttmp9, s4
	v_lshrrev_b32_e32 v1, 6, v0
	s_add_co_i32 s5, s5, s4
	s_cmp_eq_u32 s6, 0
	s_cselect_b32 s4, ttmp9, s5
	s_delay_alu instid0(VALU_DEP_1) | instid1(SALU_CYCLE_1)
	v_lshl_or_b32 v2, s4, 1, v1
	s_wait_kmcnt 0x0
	s_delay_alu instid0(VALU_DEP_1)
	v_cmp_gt_i32_e32 vcc_lo, s2, v2
	s_and_saveexec_b32 s2, vcc_lo
	s_cbranch_execz .LBB14_23
; %bb.6:
	s_load_b256 s[4:11], s[0:1], 0x10
	v_ashrrev_i32_e32 v3, 31, v2
	s_cmp_lg_u32 s3, 0
	s_wait_kmcnt 0x0
	s_delay_alu instid0(VALU_DEP_1)
	v_lshl_add_u64 v[4:5], v[2:3], 2, s[4:5]
	v_and_b32_e32 v3, 63, v0
	global_load_b64 v[4:5], v[4:5], off
	s_wait_loadcnt 0x0
	v_subrev_nc_u32_e32 v0, s16, v4
	v_subrev_nc_u32_e32 v6, s16, v5
	s_delay_alu instid0(VALU_DEP_2) | instskip(NEXT) | instid1(VALU_DEP_1)
	v_add_nc_u32_e32 v7, v0, v3
	v_cmp_lt_i32_e64 s2, v7, v6
	s_cbranch_scc0 .LBB14_12
; %bb.7:
	v_mov_b32_e32 v1, 0
	s_delay_alu instid0(VALU_DEP_1)
	v_mov_b32_e32 v0, v1
	s_and_saveexec_b32 s3, s2
	s_cbranch_execz .LBB14_11
; %bb.8:
	v_dual_mov_b32 v5, 0 :: v_dual_lshlrev_b32 v4, 3, v7
	v_mov_b32_e32 v8, v7
	s_mov_b32 s4, 0
	s_delay_alu instid0(VALU_DEP_2)
	v_dual_mov_b32 v0, v5 :: v_dual_mov_b32 v1, v5
.LBB14_9:                               ; =>This Inner Loop Header: Depth=1
	global_load_b32 v9, v8, s[6:7] scale_offset
	v_lshl_add_u64 v[22:23], v[4:5], 2, s[8:9]
	v_add_nc_u32_e32 v4, 0x200, v4
	s_wait_loadcnt 0x0
	v_subrev_nc_u32_e32 v9, s16, v9
	s_delay_alu instid0(VALU_DEP_1) | instskip(NEXT) | instid1(VALU_DEP_1)
	v_dual_mov_b32 v11, v5 :: v_dual_lshlrev_b32 v10, 2, v9
	v_lshl_add_u64 v[24:25], v[10:11], 2, s[10:11]
	s_clause 0x1
	global_load_b128 v[10:13], v[22:23], off offset:16
	global_load_b128 v[14:17], v[22:23], off
	global_load_b128 v[18:21], v[24:25], off
	v_add_nc_u32_e32 v8, 64, v8
	s_wait_loadcnt 0x0
	v_pk_fma_f32 v[0:1], v[14:15], v[18:19], v[0:1] op_sel_hi:[1,0,1]
	v_mov_b32_e32 v14, v21
	s_delay_alu instid0(VALU_DEP_3) | instskip(NEXT) | instid1(VALU_DEP_3)
	v_cmp_ge_i32_e32 vcc_lo, v8, v6
	v_pk_fma_f32 v[0:1], v[16:17], v[18:19], v[0:1] op_sel:[0,1,0]
	s_or_b32 s4, vcc_lo, s4
	s_delay_alu instid0(VALU_DEP_1) | instskip(NEXT) | instid1(VALU_DEP_1)
	v_pk_fma_f32 v[0:1], v[10:11], v[20:21], v[0:1] op_sel_hi:[1,0,1]
	v_pk_fma_f32 v[0:1], v[12:13], v[14:15], v[0:1] op_sel_hi:[1,0,1]
	s_and_not1_b32 exec_lo, exec_lo, s4
	s_cbranch_execnz .LBB14_9
; %bb.10:
	s_or_b32 exec_lo, exec_lo, s4
.LBB14_11:
	s_delay_alu instid0(SALU_CYCLE_1)
	s_or_b32 exec_lo, exec_lo, s3
	s_cbranch_execz .LBB14_13
	s_branch .LBB14_18
.LBB14_12:
                                        ; implicit-def: $vgpr1
.LBB14_13:
	v_mov_b32_e32 v1, 0
	s_delay_alu instid0(VALU_DEP_1)
	v_mov_b32_e32 v0, v1
	s_and_saveexec_b32 s3, s2
	s_cbranch_execz .LBB14_17
; %bb.14:
	v_dual_mov_b32 v5, 0 :: v_dual_lshlrev_b32 v4, 3, v7
	s_mov_b32 s2, 0
	s_delay_alu instid0(VALU_DEP_1)
	v_dual_mov_b32 v0, v5 :: v_dual_mov_b32 v1, v5
.LBB14_15:                              ; =>This Inner Loop Header: Depth=1
	global_load_b32 v8, v7, s[6:7] scale_offset
	v_lshl_add_u64 v[16:17], v[4:5], 2, s[8:9]
	v_add_nc_u32_e32 v4, 0x200, v4
	s_wait_xcnt 0x0
	v_add_nc_u32_e32 v7, 64, v7
	s_delay_alu instid0(VALU_DEP_1) | instskip(SKIP_3) | instid1(VALU_DEP_1)
	v_cmp_ge_i32_e32 vcc_lo, v7, v6
	s_or_b32 s2, vcc_lo, s2
	s_wait_loadcnt 0x0
	v_subrev_nc_u32_e32 v8, s16, v8
	v_dual_mov_b32 v19, v5 :: v_dual_lshlrev_b32 v18, 2, v8
	s_clause 0x1
	global_load_b128 v[8:11], v[16:17], off offset:16
	global_load_b128 v[12:15], v[16:17], off
	s_wait_xcnt 0x0
	v_lshl_add_u64 v[16:17], v[18:19], 2, s[10:11]
	global_load_b128 v[16:19], v[16:17], off
	s_wait_loadcnt 0x1
	v_dual_mov_b32 v21, v8 :: v_dual_mov_b32 v20, v12
	v_dual_mov_b32 v8, v13 :: v_dual_mov_b32 v12, v14
	v_dual_mov_b32 v13, v10 :: v_dual_mov_b32 v10, v15
	s_wait_loadcnt 0x0
	s_delay_alu instid0(VALU_DEP_3) | instskip(NEXT) | instid1(VALU_DEP_1)
	v_pk_fma_f32 v[0:1], v[20:21], v[16:17], v[0:1] op_sel_hi:[1,0,1]
	v_pk_fma_f32 v[0:1], v[8:9], v[16:17], v[0:1] op_sel:[0,1,0]
	v_mov_b32_e32 v8, v19
	s_delay_alu instid0(VALU_DEP_2) | instskip(NEXT) | instid1(VALU_DEP_1)
	v_pk_fma_f32 v[0:1], v[12:13], v[18:19], v[0:1] op_sel_hi:[1,0,1]
	v_pk_fma_f32 v[0:1], v[10:11], v[8:9], v[0:1] op_sel_hi:[1,0,1]
	s_and_not1_b32 exec_lo, exec_lo, s2
	s_cbranch_execnz .LBB14_15
; %bb.16:
	s_or_b32 exec_lo, exec_lo, s2
.LBB14_17:
	s_delay_alu instid0(SALU_CYCLE_1)
	s_or_b32 exec_lo, exec_lo, s3
.LBB14_18:
	v_mbcnt_lo_u32_b32 v6, -1, 0
	s_mov_b32 s2, -1
	s_delay_alu instid0(VALU_DEP_1) | instskip(SKIP_1) | instid1(VALU_DEP_1)
	v_xor_b32_e32 v7, 16, v6
	v_or_b32_e32 v4, 32, v6
	v_cmp_gt_i32_e32 vcc_lo, 32, v4
	v_cndmask_b32_e32 v4, v6, v4, vcc_lo
	s_delay_alu instid0(VALU_DEP_4) | instskip(SKIP_1) | instid1(VALU_DEP_1)
	v_cmp_gt_i32_e32 vcc_lo, 32, v7
	v_cndmask_b32_e32 v7, v6, v7, vcc_lo
	v_dual_lshlrev_b32 v7, 2, v7 :: v_dual_lshlrev_b32 v5, 2, v4
	ds_bpermute_b32 v4, v5, v0
	ds_bpermute_b32 v5, v5, v1
	s_wait_dscnt 0x0
	v_pk_add_f32 v[0:1], v[0:1], v[4:5]
	ds_bpermute_b32 v4, v7, v0
	ds_bpermute_b32 v5, v7, v1
	v_xor_b32_e32 v7, 8, v6
	s_delay_alu instid0(VALU_DEP_1) | instskip(SKIP_1) | instid1(VALU_DEP_1)
	v_cmp_gt_i32_e32 vcc_lo, 32, v7
	v_cndmask_b32_e32 v7, v6, v7, vcc_lo
	v_lshlrev_b32_e32 v7, 2, v7
	s_wait_dscnt 0x0
	v_pk_add_f32 v[0:1], v[0:1], v[4:5]
	ds_bpermute_b32 v4, v7, v0
	ds_bpermute_b32 v5, v7, v1
	v_xor_b32_e32 v7, 4, v6
	s_delay_alu instid0(VALU_DEP_1) | instskip(SKIP_1) | instid1(VALU_DEP_1)
	v_cmp_gt_i32_e32 vcc_lo, 32, v7
	v_cndmask_b32_e32 v7, v6, v7, vcc_lo
	v_lshlrev_b32_e32 v7, 2, v7
	s_wait_dscnt 0x0
	v_pk_add_f32 v[0:1], v[0:1], v[4:5]
	ds_bpermute_b32 v4, v7, v0
	ds_bpermute_b32 v5, v7, v1
	v_xor_b32_e32 v7, 2, v6
	s_delay_alu instid0(VALU_DEP_1) | instskip(SKIP_1) | instid1(VALU_DEP_1)
	v_cmp_gt_i32_e32 vcc_lo, 32, v7
	v_cndmask_b32_e32 v7, v6, v7, vcc_lo
	v_lshlrev_b32_e32 v7, 2, v7
	s_wait_dscnt 0x0
	v_pk_add_f32 v[0:1], v[0:1], v[4:5]
	ds_bpermute_b32 v4, v7, v0
	ds_bpermute_b32 v5, v7, v1
	v_xor_b32_e32 v7, 1, v6
	s_delay_alu instid0(VALU_DEP_1) | instskip(SKIP_2) | instid1(VALU_DEP_2)
	v_cmp_gt_i32_e32 vcc_lo, 32, v7
	v_cndmask_b32_e32 v6, v6, v7, vcc_lo
	v_cmp_eq_u32_e32 vcc_lo, 63, v3
	v_lshlrev_b32_e32 v6, 2, v6
	s_wait_dscnt 0x0
	v_pk_add_f32 v[0:1], v[0:1], v[4:5]
	ds_bpermute_b32 v4, v6, v0
	ds_bpermute_b32 v5, v6, v1
	s_and_b32 exec_lo, exec_lo, vcc_lo
	s_cbranch_execz .LBB14_23
; %bb.19:
	s_load_b64 s[0:1], s[0:1], 0x38
	s_wait_dscnt 0x0
	v_pk_add_f32 v[0:1], v[0:1], v[4:5]
	v_lshlrev_b32_e32 v2, 1, v2
	s_cmp_eq_f32 s12, 0
	s_cbranch_scc0 .LBB14_21
; %bb.20:
	s_delay_alu instid0(VALU_DEP_1) | instskip(SKIP_3) | instid1(VALU_DEP_2)
	v_ashrrev_i32_e32 v3, 31, v2
	v_pk_mul_f32 v[6:7], s[14:15], v[0:1] op_sel_hi:[0,1]
	s_mov_b32 s2, 0
	s_wait_kmcnt 0x0
	v_lshl_add_u64 v[4:5], v[2:3], 2, s[0:1]
	global_store_b64 v[4:5], v[6:7], off
.LBB14_21:
	s_and_not1_b32 vcc_lo, exec_lo, s2
	s_cbranch_vccnz .LBB14_23
; %bb.22:
	v_ashrrev_i32_e32 v3, 31, v2
	v_pk_mul_f32 v[0:1], s[14:15], v[0:1] op_sel_hi:[0,1]
	s_wait_kmcnt 0x0
	s_delay_alu instid0(VALU_DEP_2)
	v_lshl_add_u64 v[2:3], v[2:3], 2, s[0:1]
	global_load_b64 v[4:5], v[2:3], off
	s_wait_loadcnt 0x0
	v_pk_fma_f32 v[0:1], s[12:13], v[4:5], v[0:1] op_sel_hi:[0,1,1]
	global_store_b64 v[2:3], v[0:1], off
.LBB14_23:
	s_endpgm
	.section	.rodata,"a",@progbits
	.p2align	6, 0x0
	.amdhsa_kernel _ZN9rocsparseL19gebsrmvn_2xn_kernelILj128ELj4ELj64EfEEvi20rocsparse_direction_NS_24const_host_device_scalarIT2_EEPKiS6_PKS3_S8_S4_PS3_21rocsparse_index_base_b
		.amdhsa_group_segment_fixed_size 0
		.amdhsa_private_segment_fixed_size 0
		.amdhsa_kernarg_size 72
		.amdhsa_user_sgpr_count 2
		.amdhsa_user_sgpr_dispatch_ptr 0
		.amdhsa_user_sgpr_queue_ptr 0
		.amdhsa_user_sgpr_kernarg_segment_ptr 1
		.amdhsa_user_sgpr_dispatch_id 0
		.amdhsa_user_sgpr_kernarg_preload_length 0
		.amdhsa_user_sgpr_kernarg_preload_offset 0
		.amdhsa_user_sgpr_private_segment_size 0
		.amdhsa_wavefront_size32 1
		.amdhsa_uses_dynamic_stack 0
		.amdhsa_enable_private_segment 0
		.amdhsa_system_sgpr_workgroup_id_x 1
		.amdhsa_system_sgpr_workgroup_id_y 0
		.amdhsa_system_sgpr_workgroup_id_z 0
		.amdhsa_system_sgpr_workgroup_info 0
		.amdhsa_system_vgpr_workitem_id 0
		.amdhsa_next_free_vgpr 26
		.amdhsa_next_free_sgpr 18
		.amdhsa_named_barrier_count 0
		.amdhsa_reserve_vcc 1
		.amdhsa_float_round_mode_32 0
		.amdhsa_float_round_mode_16_64 0
		.amdhsa_float_denorm_mode_32 3
		.amdhsa_float_denorm_mode_16_64 3
		.amdhsa_fp16_overflow 0
		.amdhsa_memory_ordered 1
		.amdhsa_forward_progress 1
		.amdhsa_inst_pref_size 10
		.amdhsa_round_robin_scheduling 0
		.amdhsa_exception_fp_ieee_invalid_op 0
		.amdhsa_exception_fp_denorm_src 0
		.amdhsa_exception_fp_ieee_div_zero 0
		.amdhsa_exception_fp_ieee_overflow 0
		.amdhsa_exception_fp_ieee_underflow 0
		.amdhsa_exception_fp_ieee_inexact 0
		.amdhsa_exception_int_div_zero 0
	.end_amdhsa_kernel
	.section	.text._ZN9rocsparseL19gebsrmvn_2xn_kernelILj128ELj4ELj64EfEEvi20rocsparse_direction_NS_24const_host_device_scalarIT2_EEPKiS6_PKS3_S8_S4_PS3_21rocsparse_index_base_b,"axG",@progbits,_ZN9rocsparseL19gebsrmvn_2xn_kernelILj128ELj4ELj64EfEEvi20rocsparse_direction_NS_24const_host_device_scalarIT2_EEPKiS6_PKS3_S8_S4_PS3_21rocsparse_index_base_b,comdat
.Lfunc_end14:
	.size	_ZN9rocsparseL19gebsrmvn_2xn_kernelILj128ELj4ELj64EfEEvi20rocsparse_direction_NS_24const_host_device_scalarIT2_EEPKiS6_PKS3_S8_S4_PS3_21rocsparse_index_base_b, .Lfunc_end14-_ZN9rocsparseL19gebsrmvn_2xn_kernelILj128ELj4ELj64EfEEvi20rocsparse_direction_NS_24const_host_device_scalarIT2_EEPKiS6_PKS3_S8_S4_PS3_21rocsparse_index_base_b
                                        ; -- End function
	.set _ZN9rocsparseL19gebsrmvn_2xn_kernelILj128ELj4ELj64EfEEvi20rocsparse_direction_NS_24const_host_device_scalarIT2_EEPKiS6_PKS3_S8_S4_PS3_21rocsparse_index_base_b.num_vgpr, 26
	.set _ZN9rocsparseL19gebsrmvn_2xn_kernelILj128ELj4ELj64EfEEvi20rocsparse_direction_NS_24const_host_device_scalarIT2_EEPKiS6_PKS3_S8_S4_PS3_21rocsparse_index_base_b.num_agpr, 0
	.set _ZN9rocsparseL19gebsrmvn_2xn_kernelILj128ELj4ELj64EfEEvi20rocsparse_direction_NS_24const_host_device_scalarIT2_EEPKiS6_PKS3_S8_S4_PS3_21rocsparse_index_base_b.numbered_sgpr, 18
	.set _ZN9rocsparseL19gebsrmvn_2xn_kernelILj128ELj4ELj64EfEEvi20rocsparse_direction_NS_24const_host_device_scalarIT2_EEPKiS6_PKS3_S8_S4_PS3_21rocsparse_index_base_b.num_named_barrier, 0
	.set _ZN9rocsparseL19gebsrmvn_2xn_kernelILj128ELj4ELj64EfEEvi20rocsparse_direction_NS_24const_host_device_scalarIT2_EEPKiS6_PKS3_S8_S4_PS3_21rocsparse_index_base_b.private_seg_size, 0
	.set _ZN9rocsparseL19gebsrmvn_2xn_kernelILj128ELj4ELj64EfEEvi20rocsparse_direction_NS_24const_host_device_scalarIT2_EEPKiS6_PKS3_S8_S4_PS3_21rocsparse_index_base_b.uses_vcc, 1
	.set _ZN9rocsparseL19gebsrmvn_2xn_kernelILj128ELj4ELj64EfEEvi20rocsparse_direction_NS_24const_host_device_scalarIT2_EEPKiS6_PKS3_S8_S4_PS3_21rocsparse_index_base_b.uses_flat_scratch, 0
	.set _ZN9rocsparseL19gebsrmvn_2xn_kernelILj128ELj4ELj64EfEEvi20rocsparse_direction_NS_24const_host_device_scalarIT2_EEPKiS6_PKS3_S8_S4_PS3_21rocsparse_index_base_b.has_dyn_sized_stack, 0
	.set _ZN9rocsparseL19gebsrmvn_2xn_kernelILj128ELj4ELj64EfEEvi20rocsparse_direction_NS_24const_host_device_scalarIT2_EEPKiS6_PKS3_S8_S4_PS3_21rocsparse_index_base_b.has_recursion, 0
	.set _ZN9rocsparseL19gebsrmvn_2xn_kernelILj128ELj4ELj64EfEEvi20rocsparse_direction_NS_24const_host_device_scalarIT2_EEPKiS6_PKS3_S8_S4_PS3_21rocsparse_index_base_b.has_indirect_call, 0
	.section	.AMDGPU.csdata,"",@progbits
; Kernel info:
; codeLenInByte = 1224
; TotalNumSgprs: 20
; NumVgprs: 26
; ScratchSize: 0
; MemoryBound: 0
; FloatMode: 240
; IeeeMode: 1
; LDSByteSize: 0 bytes/workgroup (compile time only)
; SGPRBlocks: 0
; VGPRBlocks: 1
; NumSGPRsForWavesPerEU: 20
; NumVGPRsForWavesPerEU: 26
; NamedBarCnt: 0
; Occupancy: 16
; WaveLimiterHint : 1
; COMPUTE_PGM_RSRC2:SCRATCH_EN: 0
; COMPUTE_PGM_RSRC2:USER_SGPR: 2
; COMPUTE_PGM_RSRC2:TRAP_HANDLER: 0
; COMPUTE_PGM_RSRC2:TGID_X_EN: 1
; COMPUTE_PGM_RSRC2:TGID_Y_EN: 0
; COMPUTE_PGM_RSRC2:TGID_Z_EN: 0
; COMPUTE_PGM_RSRC2:TIDIG_COMP_CNT: 0
	.section	.text._ZN9rocsparseL19gebsrmvn_2xn_kernelILj128ELj5ELj4EfEEvi20rocsparse_direction_NS_24const_host_device_scalarIT2_EEPKiS6_PKS3_S8_S4_PS3_21rocsparse_index_base_b,"axG",@progbits,_ZN9rocsparseL19gebsrmvn_2xn_kernelILj128ELj5ELj4EfEEvi20rocsparse_direction_NS_24const_host_device_scalarIT2_EEPKiS6_PKS3_S8_S4_PS3_21rocsparse_index_base_b,comdat
	.globl	_ZN9rocsparseL19gebsrmvn_2xn_kernelILj128ELj5ELj4EfEEvi20rocsparse_direction_NS_24const_host_device_scalarIT2_EEPKiS6_PKS3_S8_S4_PS3_21rocsparse_index_base_b ; -- Begin function _ZN9rocsparseL19gebsrmvn_2xn_kernelILj128ELj5ELj4EfEEvi20rocsparse_direction_NS_24const_host_device_scalarIT2_EEPKiS6_PKS3_S8_S4_PS3_21rocsparse_index_base_b
	.p2align	8
	.type	_ZN9rocsparseL19gebsrmvn_2xn_kernelILj128ELj5ELj4EfEEvi20rocsparse_direction_NS_24const_host_device_scalarIT2_EEPKiS6_PKS3_S8_S4_PS3_21rocsparse_index_base_b,@function
_ZN9rocsparseL19gebsrmvn_2xn_kernelILj128ELj5ELj4EfEEvi20rocsparse_direction_NS_24const_host_device_scalarIT2_EEPKiS6_PKS3_S8_S4_PS3_21rocsparse_index_base_b: ; @_ZN9rocsparseL19gebsrmvn_2xn_kernelILj128ELj5ELj4EfEEvi20rocsparse_direction_NS_24const_host_device_scalarIT2_EEPKiS6_PKS3_S8_S4_PS3_21rocsparse_index_base_b
; %bb.0:
	s_clause 0x2
	s_load_b64 s[16:17], s[0:1], 0x40
	s_load_b64 s[14:15], s[0:1], 0x8
	;; [unrolled: 1-line block ×3, first 2 shown]
	s_wait_kmcnt 0x0
	s_bitcmp1_b32 s17, 0
	s_cselect_b32 s2, -1, 0
	s_delay_alu instid0(SALU_CYCLE_1)
	s_and_b32 vcc_lo, exec_lo, s2
	s_xor_b32 s2, s2, -1
	s_cbranch_vccnz .LBB15_2
; %bb.1:
	s_load_b32 s14, s[14:15], 0x0
.LBB15_2:
	s_and_not1_b32 vcc_lo, exec_lo, s2
	s_cbranch_vccnz .LBB15_4
; %bb.3:
	s_load_b32 s12, s[12:13], 0x0
.LBB15_4:
	s_wait_kmcnt 0x0
	s_cmp_eq_f32 s14, 0
	s_cselect_b32 s2, -1, 0
	s_cmp_eq_f32 s12, 1.0
	s_cselect_b32 s3, -1, 0
	s_delay_alu instid0(SALU_CYCLE_1) | instskip(NEXT) | instid1(SALU_CYCLE_1)
	s_and_b32 s2, s2, s3
	s_and_b32 vcc_lo, exec_lo, s2
	s_cbranch_vccnz .LBB15_23
; %bb.5:
	s_load_b64 s[2:3], s[0:1], 0x0
	s_bfe_u32 s4, ttmp6, 0x4000c
	s_and_b32 s5, ttmp6, 15
	s_add_co_i32 s4, s4, 1
	s_getreg_b32 s6, hwreg(HW_REG_IB_STS2, 6, 4)
	s_mul_i32 s4, ttmp9, s4
	v_lshrrev_b32_e32 v1, 2, v0
	s_add_co_i32 s5, s5, s4
	s_cmp_eq_u32 s6, 0
	s_cselect_b32 s4, ttmp9, s5
	s_delay_alu instid0(VALU_DEP_1) | instid1(SALU_CYCLE_1)
	v_lshl_or_b32 v2, s4, 5, v1
	s_wait_kmcnt 0x0
	s_delay_alu instid0(VALU_DEP_1)
	v_cmp_gt_i32_e32 vcc_lo, s2, v2
	s_and_saveexec_b32 s2, vcc_lo
	s_cbranch_execz .LBB15_23
; %bb.6:
	s_load_b256 s[4:11], s[0:1], 0x10
	v_ashrrev_i32_e32 v3, 31, v2
	s_cmp_lg_u32 s3, 0
	s_wait_kmcnt 0x0
	s_delay_alu instid0(VALU_DEP_1)
	v_lshl_add_u64 v[4:5], v[2:3], 2, s[4:5]
	v_and_b32_e32 v3, 3, v0
	global_load_b64 v[4:5], v[4:5], off
	s_wait_loadcnt 0x0
	v_subrev_nc_u32_e32 v0, s16, v4
	v_subrev_nc_u32_e32 v8, s16, v5
	s_delay_alu instid0(VALU_DEP_2) | instskip(NEXT) | instid1(VALU_DEP_1)
	v_add_nc_u32_e32 v9, v0, v3
	v_cmp_lt_i32_e64 s2, v9, v8
	s_cbranch_scc0 .LBB15_12
; %bb.7:
	v_mov_b32_e32 v1, 0
	s_delay_alu instid0(VALU_DEP_1)
	v_mov_b32_e32 v0, v1
	s_and_saveexec_b32 s3, s2
	s_cbranch_execz .LBB15_11
; %bb.8:
	v_mad_u32 v4, v9, 10, 8
	v_dual_mov_b32 v7, 0 :: v_dual_mov_b32 v10, v9
	s_mov_b32 s4, 0
	s_delay_alu instid0(VALU_DEP_1)
	v_dual_mov_b32 v0, v7 :: v_dual_mov_b32 v1, v7
.LBB15_9:                               ; =>This Inner Loop Header: Depth=1
	global_load_b32 v5, v10, s[6:7] scale_offset
	s_wait_xcnt 0x0
	v_add_nc_u32_e32 v10, 4, v10
	s_delay_alu instid0(VALU_DEP_1) | instskip(SKIP_3) | instid1(VALU_DEP_1)
	v_cmp_ge_i32_e32 vcc_lo, v10, v8
	s_or_b32 s4, vcc_lo, s4
	s_wait_loadcnt 0x0
	v_subrev_nc_u32_e32 v5, s16, v5
	v_lshl_add_u32 v11, v5, 2, v5
	s_delay_alu instid0(VALU_DEP_1) | instskip(NEXT) | instid1(VALU_DEP_1)
	v_dual_add_nc_u32 v6, -8, v4 :: v_dual_add_nc_u32 v5, 1, v11
	v_lshl_add_u64 v[12:13], v[6:7], 2, s[8:9]
	v_dual_add_nc_u32 v6, -6, v4 :: v_dual_add_nc_u32 v19, 2, v11
	global_load_b64 v[16:17], v[12:13], off
	global_load_b32 v18, v11, s[10:11] scale_offset
	v_lshl_add_u64 v[14:15], v[6:7], 2, s[8:9]
	v_add_nc_u32_e32 v6, -4, v4
	global_load_b32 v20, v5, s[10:11] scale_offset
	v_add_nc_u32_e32 v21, 3, v11
	global_load_b64 v[12:13], v[14:15], off
	s_wait_xcnt 0x0
	v_lshl_add_u64 v[14:15], v[6:7], 2, s[8:9]
	v_add_nc_u32_e32 v6, -2, v4
	global_load_b64 v[14:15], v[14:15], off
	v_lshl_add_u64 v[22:23], v[6:7], 2, s[8:9]
	global_load_b32 v6, v19, s[10:11] scale_offset
	v_mov_b32_e32 v5, v7
	global_load_b64 v[22:23], v[22:23], off
	v_lshl_add_u64 v[24:25], v[4:5], 2, s[8:9]
	v_add_nc_u32_e32 v5, 4, v11
	global_load_b32 v26, v21, s[10:11] scale_offset
	global_load_b64 v[28:29], v[24:25], off
	global_load_b32 v30, v5, s[10:11] scale_offset
	v_add_nc_u32_e32 v4, 40, v4
	s_wait_loadcnt 0x8
	v_pk_fma_f32 v[0:1], v[16:17], v[18:19], v[0:1] op_sel_hi:[1,0,1]
	s_wait_loadcnt 0x6
	s_delay_alu instid0(VALU_DEP_1) | instskip(SKIP_1) | instid1(VALU_DEP_1)
	v_pk_fma_f32 v[0:1], v[12:13], v[20:21], v[0:1] op_sel_hi:[1,0,1]
	s_wait_loadcnt 0x4
	v_pk_fma_f32 v[0:1], v[14:15], v[6:7], v[0:1] op_sel_hi:[1,0,1]
	s_wait_loadcnt 0x2
	s_delay_alu instid0(VALU_DEP_1) | instskip(SKIP_1) | instid1(VALU_DEP_1)
	v_pk_fma_f32 v[0:1], v[22:23], v[26:27], v[0:1] op_sel_hi:[1,0,1]
	s_wait_loadcnt 0x0
	v_pk_fma_f32 v[0:1], v[28:29], v[30:31], v[0:1] op_sel_hi:[1,0,1]
	s_and_not1_b32 exec_lo, exec_lo, s4
	s_cbranch_execnz .LBB15_9
; %bb.10:
	s_or_b32 exec_lo, exec_lo, s4
.LBB15_11:
	s_delay_alu instid0(SALU_CYCLE_1)
	s_or_b32 exec_lo, exec_lo, s3
	s_cbranch_execz .LBB15_13
	s_branch .LBB15_18
.LBB15_12:
                                        ; implicit-def: $vgpr1
.LBB15_13:
	v_mov_b32_e32 v1, 0
	s_delay_alu instid0(VALU_DEP_1)
	v_mov_b32_e32 v0, v1
	s_and_saveexec_b32 s3, s2
	s_cbranch_execz .LBB15_17
; %bb.14:
	v_mad_u32 v6, v9, 10, 9
	v_mov_b32_e32 v5, 0
	s_mov_b32 s2, 0
	s_delay_alu instid0(VALU_DEP_1)
	v_dual_mov_b32 v0, v5 :: v_dual_mov_b32 v1, v5
.LBB15_15:                              ; =>This Inner Loop Header: Depth=1
	global_load_b32 v7, v9, s[6:7] scale_offset
	v_dual_add_nc_u32 v4, -9, v6 :: v_dual_add_nc_u32 v14, -3, v6
	s_wait_xcnt 0x0
	v_dual_add_nc_u32 v17, -7, v6 :: v_dual_add_nc_u32 v9, 4, v9
	v_add_nc_u32_e32 v20, -2, v6
	s_delay_alu instid0(VALU_DEP_3) | instskip(SKIP_4) | instid1(VALU_DEP_2)
	v_lshl_add_u64 v[10:11], v[4:5], 2, s[8:9]
	global_load_b64 v[10:11], v[10:11], off
	s_wait_loadcnt 0x1
	v_subrev_nc_u32_e32 v4, s16, v7
	v_add_nc_u32_e32 v7, -4, v6
	v_lshl_add_u32 v12, v4, 2, v4
	global_load_b32 v13, v7, s[8:9] scale_offset
	global_load_b32 v4, v12, s[10:11] scale_offset
	s_wait_xcnt 0x1
	v_dual_add_nc_u32 v7, 1, v12 :: v_dual_add_nc_u32 v21, -6, v6
	global_load_b32 v15, v14, s[8:9] scale_offset
	s_wait_xcnt 0x0
	v_add_nc_u32_e32 v14, 2, v12
	global_load_b32 v16, v7, s[10:11] scale_offset
	s_clause 0x1
	global_load_b32 v18, v17, s[8:9] scale_offset
	global_load_b32 v19, v20, s[8:9] scale_offset
	s_wait_xcnt 0x1
	v_dual_add_nc_u32 v7, -1, v6 :: v_dual_add_nc_u32 v17, 3, v12
	global_load_b32 v20, v14, s[10:11] scale_offset
	s_wait_xcnt 0x0
	v_add_nc_u32_e32 v14, -5, v6
	s_clause 0x1
	global_load_b32 v22, v21, s[8:9] scale_offset
	global_load_b32 v23, v7, s[8:9] scale_offset
	s_wait_xcnt 0x0
	v_add_nc_u32_e32 v7, 4, v12
	global_load_b32 v24, v17, s[10:11] scale_offset
	s_clause 0x1
	global_load_b32 v27, v6, s[8:9] scale_offset
	global_load_b32 v26, v14, s[8:9] scale_offset
	;; [unrolled: 1-line block ×3, first 2 shown]
	s_wait_loadcnt 0xd
	s_wait_xcnt 0x1
	v_dual_mov_b32 v12, v10 :: v_dual_mov_b32 v14, v11
	v_add_nc_u32_e32 v6, 40, v6
	v_cmp_ge_i32_e32 vcc_lo, v9, v8
	s_or_b32 s2, vcc_lo, s2
	s_wait_loadcnt 0xb
	v_pk_fma_f32 v[0:1], v[12:13], v[4:5], v[0:1] op_sel_hi:[1,0,1]
	s_wait_loadcnt 0x9
	s_delay_alu instid0(VALU_DEP_1) | instskip(SKIP_1) | instid1(VALU_DEP_1)
	v_pk_fma_f32 v[0:1], v[14:15], v[16:17], v[0:1] op_sel_hi:[1,0,1]
	s_wait_loadcnt 0x6
	v_pk_fma_f32 v[0:1], v[18:19], v[20:21], v[0:1] op_sel_hi:[1,0,1]
	s_wait_loadcnt 0x3
	s_delay_alu instid0(VALU_DEP_1) | instskip(SKIP_1) | instid1(VALU_DEP_1)
	v_pk_fma_f32 v[0:1], v[22:23], v[24:25], v[0:1] op_sel_hi:[1,0,1]
	s_wait_loadcnt 0x0
	v_pk_fma_f32 v[0:1], v[26:27], v[28:29], v[0:1] op_sel_hi:[1,0,1]
	s_and_not1_b32 exec_lo, exec_lo, s2
	s_cbranch_execnz .LBB15_15
; %bb.16:
	s_or_b32 exec_lo, exec_lo, s2
.LBB15_17:
	s_delay_alu instid0(SALU_CYCLE_1)
	s_or_b32 exec_lo, exec_lo, s3
.LBB15_18:
	v_mbcnt_lo_u32_b32 v6, -1, 0
	s_mov_b32 s2, -1
	s_delay_alu instid0(VALU_DEP_1) | instskip(SKIP_1) | instid1(VALU_DEP_1)
	v_xor_b32_e32 v7, 1, v6
	v_xor_b32_e32 v4, 2, v6
	v_cmp_gt_i32_e32 vcc_lo, 32, v4
	v_cndmask_b32_e32 v4, v6, v4, vcc_lo
	s_delay_alu instid0(VALU_DEP_4) | instskip(SKIP_2) | instid1(VALU_DEP_2)
	v_cmp_gt_i32_e32 vcc_lo, 32, v7
	v_cndmask_b32_e32 v6, v6, v7, vcc_lo
	v_cmp_eq_u32_e32 vcc_lo, 3, v3
	v_dual_lshlrev_b32 v6, 2, v6 :: v_dual_lshlrev_b32 v5, 2, v4
	ds_bpermute_b32 v4, v5, v0
	ds_bpermute_b32 v5, v5, v1
	s_wait_dscnt 0x0
	v_pk_add_f32 v[0:1], v[0:1], v[4:5]
	ds_bpermute_b32 v4, v6, v0
	ds_bpermute_b32 v5, v6, v1
	s_and_b32 exec_lo, exec_lo, vcc_lo
	s_cbranch_execz .LBB15_23
; %bb.19:
	s_load_b64 s[0:1], s[0:1], 0x38
	s_wait_dscnt 0x0
	v_pk_add_f32 v[0:1], v[0:1], v[4:5]
	v_lshlrev_b32_e32 v2, 1, v2
	s_cmp_eq_f32 s12, 0
	s_cbranch_scc0 .LBB15_21
; %bb.20:
	s_delay_alu instid0(VALU_DEP_1) | instskip(SKIP_3) | instid1(VALU_DEP_2)
	v_ashrrev_i32_e32 v3, 31, v2
	v_pk_mul_f32 v[6:7], s[14:15], v[0:1] op_sel_hi:[0,1]
	s_mov_b32 s2, 0
	s_wait_kmcnt 0x0
	v_lshl_add_u64 v[4:5], v[2:3], 2, s[0:1]
	global_store_b64 v[4:5], v[6:7], off
.LBB15_21:
	s_and_not1_b32 vcc_lo, exec_lo, s2
	s_cbranch_vccnz .LBB15_23
; %bb.22:
	v_ashrrev_i32_e32 v3, 31, v2
	v_pk_mul_f32 v[0:1], s[14:15], v[0:1] op_sel_hi:[0,1]
	s_wait_kmcnt 0x0
	s_delay_alu instid0(VALU_DEP_2)
	v_lshl_add_u64 v[2:3], v[2:3], 2, s[0:1]
	global_load_b64 v[4:5], v[2:3], off
	s_wait_loadcnt 0x0
	v_pk_fma_f32 v[0:1], s[12:13], v[4:5], v[0:1] op_sel_hi:[0,1,1]
	global_store_b64 v[2:3], v[0:1], off
.LBB15_23:
	s_endpgm
	.section	.rodata,"a",@progbits
	.p2align	6, 0x0
	.amdhsa_kernel _ZN9rocsparseL19gebsrmvn_2xn_kernelILj128ELj5ELj4EfEEvi20rocsparse_direction_NS_24const_host_device_scalarIT2_EEPKiS6_PKS3_S8_S4_PS3_21rocsparse_index_base_b
		.amdhsa_group_segment_fixed_size 0
		.amdhsa_private_segment_fixed_size 0
		.amdhsa_kernarg_size 72
		.amdhsa_user_sgpr_count 2
		.amdhsa_user_sgpr_dispatch_ptr 0
		.amdhsa_user_sgpr_queue_ptr 0
		.amdhsa_user_sgpr_kernarg_segment_ptr 1
		.amdhsa_user_sgpr_dispatch_id 0
		.amdhsa_user_sgpr_kernarg_preload_length 0
		.amdhsa_user_sgpr_kernarg_preload_offset 0
		.amdhsa_user_sgpr_private_segment_size 0
		.amdhsa_wavefront_size32 1
		.amdhsa_uses_dynamic_stack 0
		.amdhsa_enable_private_segment 0
		.amdhsa_system_sgpr_workgroup_id_x 1
		.amdhsa_system_sgpr_workgroup_id_y 0
		.amdhsa_system_sgpr_workgroup_id_z 0
		.amdhsa_system_sgpr_workgroup_info 0
		.amdhsa_system_vgpr_workitem_id 0
		.amdhsa_next_free_vgpr 32
		.amdhsa_next_free_sgpr 18
		.amdhsa_named_barrier_count 0
		.amdhsa_reserve_vcc 1
		.amdhsa_float_round_mode_32 0
		.amdhsa_float_round_mode_16_64 0
		.amdhsa_float_denorm_mode_32 3
		.amdhsa_float_denorm_mode_16_64 3
		.amdhsa_fp16_overflow 0
		.amdhsa_memory_ordered 1
		.amdhsa_forward_progress 1
		.amdhsa_inst_pref_size 12
		.amdhsa_round_robin_scheduling 0
		.amdhsa_exception_fp_ieee_invalid_op 0
		.amdhsa_exception_fp_denorm_src 0
		.amdhsa_exception_fp_ieee_div_zero 0
		.amdhsa_exception_fp_ieee_overflow 0
		.amdhsa_exception_fp_ieee_underflow 0
		.amdhsa_exception_fp_ieee_inexact 0
		.amdhsa_exception_int_div_zero 0
	.end_amdhsa_kernel
	.section	.text._ZN9rocsparseL19gebsrmvn_2xn_kernelILj128ELj5ELj4EfEEvi20rocsparse_direction_NS_24const_host_device_scalarIT2_EEPKiS6_PKS3_S8_S4_PS3_21rocsparse_index_base_b,"axG",@progbits,_ZN9rocsparseL19gebsrmvn_2xn_kernelILj128ELj5ELj4EfEEvi20rocsparse_direction_NS_24const_host_device_scalarIT2_EEPKiS6_PKS3_S8_S4_PS3_21rocsparse_index_base_b,comdat
.Lfunc_end15:
	.size	_ZN9rocsparseL19gebsrmvn_2xn_kernelILj128ELj5ELj4EfEEvi20rocsparse_direction_NS_24const_host_device_scalarIT2_EEPKiS6_PKS3_S8_S4_PS3_21rocsparse_index_base_b, .Lfunc_end15-_ZN9rocsparseL19gebsrmvn_2xn_kernelILj128ELj5ELj4EfEEvi20rocsparse_direction_NS_24const_host_device_scalarIT2_EEPKiS6_PKS3_S8_S4_PS3_21rocsparse_index_base_b
                                        ; -- End function
	.set _ZN9rocsparseL19gebsrmvn_2xn_kernelILj128ELj5ELj4EfEEvi20rocsparse_direction_NS_24const_host_device_scalarIT2_EEPKiS6_PKS3_S8_S4_PS3_21rocsparse_index_base_b.num_vgpr, 32
	.set _ZN9rocsparseL19gebsrmvn_2xn_kernelILj128ELj5ELj4EfEEvi20rocsparse_direction_NS_24const_host_device_scalarIT2_EEPKiS6_PKS3_S8_S4_PS3_21rocsparse_index_base_b.num_agpr, 0
	.set _ZN9rocsparseL19gebsrmvn_2xn_kernelILj128ELj5ELj4EfEEvi20rocsparse_direction_NS_24const_host_device_scalarIT2_EEPKiS6_PKS3_S8_S4_PS3_21rocsparse_index_base_b.numbered_sgpr, 18
	.set _ZN9rocsparseL19gebsrmvn_2xn_kernelILj128ELj5ELj4EfEEvi20rocsparse_direction_NS_24const_host_device_scalarIT2_EEPKiS6_PKS3_S8_S4_PS3_21rocsparse_index_base_b.num_named_barrier, 0
	.set _ZN9rocsparseL19gebsrmvn_2xn_kernelILj128ELj5ELj4EfEEvi20rocsparse_direction_NS_24const_host_device_scalarIT2_EEPKiS6_PKS3_S8_S4_PS3_21rocsparse_index_base_b.private_seg_size, 0
	.set _ZN9rocsparseL19gebsrmvn_2xn_kernelILj128ELj5ELj4EfEEvi20rocsparse_direction_NS_24const_host_device_scalarIT2_EEPKiS6_PKS3_S8_S4_PS3_21rocsparse_index_base_b.uses_vcc, 1
	.set _ZN9rocsparseL19gebsrmvn_2xn_kernelILj128ELj5ELj4EfEEvi20rocsparse_direction_NS_24const_host_device_scalarIT2_EEPKiS6_PKS3_S8_S4_PS3_21rocsparse_index_base_b.uses_flat_scratch, 0
	.set _ZN9rocsparseL19gebsrmvn_2xn_kernelILj128ELj5ELj4EfEEvi20rocsparse_direction_NS_24const_host_device_scalarIT2_EEPKiS6_PKS3_S8_S4_PS3_21rocsparse_index_base_b.has_dyn_sized_stack, 0
	.set _ZN9rocsparseL19gebsrmvn_2xn_kernelILj128ELj5ELj4EfEEvi20rocsparse_direction_NS_24const_host_device_scalarIT2_EEPKiS6_PKS3_S8_S4_PS3_21rocsparse_index_base_b.has_recursion, 0
	.set _ZN9rocsparseL19gebsrmvn_2xn_kernelILj128ELj5ELj4EfEEvi20rocsparse_direction_NS_24const_host_device_scalarIT2_EEPKiS6_PKS3_S8_S4_PS3_21rocsparse_index_base_b.has_indirect_call, 0
	.section	.AMDGPU.csdata,"",@progbits
; Kernel info:
; codeLenInByte = 1432
; TotalNumSgprs: 20
; NumVgprs: 32
; ScratchSize: 0
; MemoryBound: 0
; FloatMode: 240
; IeeeMode: 1
; LDSByteSize: 0 bytes/workgroup (compile time only)
; SGPRBlocks: 0
; VGPRBlocks: 1
; NumSGPRsForWavesPerEU: 20
; NumVGPRsForWavesPerEU: 32
; NamedBarCnt: 0
; Occupancy: 16
; WaveLimiterHint : 1
; COMPUTE_PGM_RSRC2:SCRATCH_EN: 0
; COMPUTE_PGM_RSRC2:USER_SGPR: 2
; COMPUTE_PGM_RSRC2:TRAP_HANDLER: 0
; COMPUTE_PGM_RSRC2:TGID_X_EN: 1
; COMPUTE_PGM_RSRC2:TGID_Y_EN: 0
; COMPUTE_PGM_RSRC2:TGID_Z_EN: 0
; COMPUTE_PGM_RSRC2:TIDIG_COMP_CNT: 0
	.section	.text._ZN9rocsparseL19gebsrmvn_2xn_kernelILj128ELj5ELj8EfEEvi20rocsparse_direction_NS_24const_host_device_scalarIT2_EEPKiS6_PKS3_S8_S4_PS3_21rocsparse_index_base_b,"axG",@progbits,_ZN9rocsparseL19gebsrmvn_2xn_kernelILj128ELj5ELj8EfEEvi20rocsparse_direction_NS_24const_host_device_scalarIT2_EEPKiS6_PKS3_S8_S4_PS3_21rocsparse_index_base_b,comdat
	.globl	_ZN9rocsparseL19gebsrmvn_2xn_kernelILj128ELj5ELj8EfEEvi20rocsparse_direction_NS_24const_host_device_scalarIT2_EEPKiS6_PKS3_S8_S4_PS3_21rocsparse_index_base_b ; -- Begin function _ZN9rocsparseL19gebsrmvn_2xn_kernelILj128ELj5ELj8EfEEvi20rocsparse_direction_NS_24const_host_device_scalarIT2_EEPKiS6_PKS3_S8_S4_PS3_21rocsparse_index_base_b
	.p2align	8
	.type	_ZN9rocsparseL19gebsrmvn_2xn_kernelILj128ELj5ELj8EfEEvi20rocsparse_direction_NS_24const_host_device_scalarIT2_EEPKiS6_PKS3_S8_S4_PS3_21rocsparse_index_base_b,@function
_ZN9rocsparseL19gebsrmvn_2xn_kernelILj128ELj5ELj8EfEEvi20rocsparse_direction_NS_24const_host_device_scalarIT2_EEPKiS6_PKS3_S8_S4_PS3_21rocsparse_index_base_b: ; @_ZN9rocsparseL19gebsrmvn_2xn_kernelILj128ELj5ELj8EfEEvi20rocsparse_direction_NS_24const_host_device_scalarIT2_EEPKiS6_PKS3_S8_S4_PS3_21rocsparse_index_base_b
; %bb.0:
	s_clause 0x2
	s_load_b64 s[16:17], s[0:1], 0x40
	s_load_b64 s[14:15], s[0:1], 0x8
	;; [unrolled: 1-line block ×3, first 2 shown]
	s_wait_kmcnt 0x0
	s_bitcmp1_b32 s17, 0
	s_cselect_b32 s2, -1, 0
	s_delay_alu instid0(SALU_CYCLE_1)
	s_and_b32 vcc_lo, exec_lo, s2
	s_xor_b32 s2, s2, -1
	s_cbranch_vccnz .LBB16_2
; %bb.1:
	s_load_b32 s14, s[14:15], 0x0
.LBB16_2:
	s_and_not1_b32 vcc_lo, exec_lo, s2
	s_cbranch_vccnz .LBB16_4
; %bb.3:
	s_load_b32 s12, s[12:13], 0x0
.LBB16_4:
	s_wait_kmcnt 0x0
	s_cmp_eq_f32 s14, 0
	s_cselect_b32 s2, -1, 0
	s_cmp_eq_f32 s12, 1.0
	s_cselect_b32 s3, -1, 0
	s_delay_alu instid0(SALU_CYCLE_1) | instskip(NEXT) | instid1(SALU_CYCLE_1)
	s_and_b32 s2, s2, s3
	s_and_b32 vcc_lo, exec_lo, s2
	s_cbranch_vccnz .LBB16_23
; %bb.5:
	s_load_b64 s[2:3], s[0:1], 0x0
	s_bfe_u32 s4, ttmp6, 0x4000c
	s_and_b32 s5, ttmp6, 15
	s_add_co_i32 s4, s4, 1
	s_getreg_b32 s6, hwreg(HW_REG_IB_STS2, 6, 4)
	s_mul_i32 s4, ttmp9, s4
	v_lshrrev_b32_e32 v1, 3, v0
	s_add_co_i32 s5, s5, s4
	s_cmp_eq_u32 s6, 0
	s_cselect_b32 s4, ttmp9, s5
	s_delay_alu instid0(VALU_DEP_1) | instid1(SALU_CYCLE_1)
	v_lshl_or_b32 v2, s4, 4, v1
	s_wait_kmcnt 0x0
	s_delay_alu instid0(VALU_DEP_1)
	v_cmp_gt_i32_e32 vcc_lo, s2, v2
	s_and_saveexec_b32 s2, vcc_lo
	s_cbranch_execz .LBB16_23
; %bb.6:
	s_load_b256 s[4:11], s[0:1], 0x10
	v_ashrrev_i32_e32 v3, 31, v2
	s_cmp_lg_u32 s3, 0
	s_wait_kmcnt 0x0
	s_delay_alu instid0(VALU_DEP_1)
	v_lshl_add_u64 v[4:5], v[2:3], 2, s[4:5]
	v_and_b32_e32 v3, 7, v0
	global_load_b64 v[4:5], v[4:5], off
	s_wait_loadcnt 0x0
	v_subrev_nc_u32_e32 v0, s16, v4
	v_subrev_nc_u32_e32 v8, s16, v5
	s_delay_alu instid0(VALU_DEP_2) | instskip(NEXT) | instid1(VALU_DEP_1)
	v_add_nc_u32_e32 v9, v0, v3
	v_cmp_lt_i32_e64 s2, v9, v8
	s_cbranch_scc0 .LBB16_12
; %bb.7:
	v_mov_b32_e32 v1, 0
	s_delay_alu instid0(VALU_DEP_1)
	v_mov_b32_e32 v0, v1
	s_and_saveexec_b32 s3, s2
	s_cbranch_execz .LBB16_11
; %bb.8:
	v_mad_u32 v4, v9, 10, 8
	v_dual_mov_b32 v7, 0 :: v_dual_mov_b32 v10, v9
	s_mov_b32 s4, 0
	s_delay_alu instid0(VALU_DEP_1)
	v_dual_mov_b32 v0, v7 :: v_dual_mov_b32 v1, v7
.LBB16_9:                               ; =>This Inner Loop Header: Depth=1
	global_load_b32 v5, v10, s[6:7] scale_offset
	s_wait_xcnt 0x0
	v_add_nc_u32_e32 v10, 8, v10
	s_delay_alu instid0(VALU_DEP_1) | instskip(SKIP_3) | instid1(VALU_DEP_1)
	v_cmp_ge_i32_e32 vcc_lo, v10, v8
	s_or_b32 s4, vcc_lo, s4
	s_wait_loadcnt 0x0
	v_subrev_nc_u32_e32 v5, s16, v5
	v_lshl_add_u32 v11, v5, 2, v5
	s_delay_alu instid0(VALU_DEP_1) | instskip(NEXT) | instid1(VALU_DEP_1)
	v_dual_add_nc_u32 v6, -8, v4 :: v_dual_add_nc_u32 v5, 1, v11
	v_lshl_add_u64 v[12:13], v[6:7], 2, s[8:9]
	v_dual_add_nc_u32 v6, -6, v4 :: v_dual_add_nc_u32 v19, 2, v11
	global_load_b64 v[16:17], v[12:13], off
	global_load_b32 v18, v11, s[10:11] scale_offset
	v_lshl_add_u64 v[14:15], v[6:7], 2, s[8:9]
	v_add_nc_u32_e32 v6, -4, v4
	global_load_b32 v20, v5, s[10:11] scale_offset
	v_add_nc_u32_e32 v21, 3, v11
	global_load_b64 v[12:13], v[14:15], off
	s_wait_xcnt 0x0
	v_lshl_add_u64 v[14:15], v[6:7], 2, s[8:9]
	v_add_nc_u32_e32 v6, -2, v4
	global_load_b64 v[14:15], v[14:15], off
	v_lshl_add_u64 v[22:23], v[6:7], 2, s[8:9]
	global_load_b32 v6, v19, s[10:11] scale_offset
	v_mov_b32_e32 v5, v7
	global_load_b64 v[22:23], v[22:23], off
	v_lshl_add_u64 v[24:25], v[4:5], 2, s[8:9]
	v_add_nc_u32_e32 v5, 4, v11
	global_load_b32 v26, v21, s[10:11] scale_offset
	global_load_b64 v[28:29], v[24:25], off
	global_load_b32 v30, v5, s[10:11] scale_offset
	v_add_nc_u32_e32 v4, 0x50, v4
	s_wait_loadcnt 0x8
	v_pk_fma_f32 v[0:1], v[16:17], v[18:19], v[0:1] op_sel_hi:[1,0,1]
	s_wait_loadcnt 0x6
	s_delay_alu instid0(VALU_DEP_1) | instskip(SKIP_1) | instid1(VALU_DEP_1)
	v_pk_fma_f32 v[0:1], v[12:13], v[20:21], v[0:1] op_sel_hi:[1,0,1]
	s_wait_loadcnt 0x4
	v_pk_fma_f32 v[0:1], v[14:15], v[6:7], v[0:1] op_sel_hi:[1,0,1]
	s_wait_loadcnt 0x2
	s_delay_alu instid0(VALU_DEP_1) | instskip(SKIP_1) | instid1(VALU_DEP_1)
	v_pk_fma_f32 v[0:1], v[22:23], v[26:27], v[0:1] op_sel_hi:[1,0,1]
	s_wait_loadcnt 0x0
	v_pk_fma_f32 v[0:1], v[28:29], v[30:31], v[0:1] op_sel_hi:[1,0,1]
	s_and_not1_b32 exec_lo, exec_lo, s4
	s_cbranch_execnz .LBB16_9
; %bb.10:
	s_or_b32 exec_lo, exec_lo, s4
.LBB16_11:
	s_delay_alu instid0(SALU_CYCLE_1)
	s_or_b32 exec_lo, exec_lo, s3
	s_cbranch_execz .LBB16_13
	s_branch .LBB16_18
.LBB16_12:
                                        ; implicit-def: $vgpr1
.LBB16_13:
	v_mov_b32_e32 v1, 0
	s_delay_alu instid0(VALU_DEP_1)
	v_mov_b32_e32 v0, v1
	s_and_saveexec_b32 s3, s2
	s_cbranch_execz .LBB16_17
; %bb.14:
	v_mad_u32 v6, v9, 10, 9
	v_mov_b32_e32 v5, 0
	s_mov_b32 s2, 0
	s_delay_alu instid0(VALU_DEP_1)
	v_dual_mov_b32 v0, v5 :: v_dual_mov_b32 v1, v5
.LBB16_15:                              ; =>This Inner Loop Header: Depth=1
	global_load_b32 v7, v9, s[6:7] scale_offset
	v_dual_add_nc_u32 v4, -9, v6 :: v_dual_add_nc_u32 v14, -3, v6
	s_wait_xcnt 0x0
	v_dual_add_nc_u32 v17, -7, v6 :: v_dual_add_nc_u32 v9, 8, v9
	v_add_nc_u32_e32 v20, -2, v6
	s_delay_alu instid0(VALU_DEP_3) | instskip(NEXT) | instid1(VALU_DEP_3)
	v_lshl_add_u64 v[10:11], v[4:5], 2, s[8:9]
	v_cmp_ge_i32_e32 vcc_lo, v9, v8
	global_load_b64 v[10:11], v[10:11], off
	s_or_b32 s2, vcc_lo, s2
	s_wait_loadcnt 0x1
	v_subrev_nc_u32_e32 v4, s16, v7
	v_add_nc_u32_e32 v7, -4, v6
	s_delay_alu instid0(VALU_DEP_2)
	v_lshl_add_u32 v12, v4, 2, v4
	global_load_b32 v13, v7, s[8:9] scale_offset
	global_load_b32 v4, v12, s[10:11] scale_offset
	s_wait_xcnt 0x1
	v_dual_add_nc_u32 v7, 1, v12 :: v_dual_add_nc_u32 v21, -6, v6
	global_load_b32 v15, v14, s[8:9] scale_offset
	s_wait_xcnt 0x0
	v_add_nc_u32_e32 v14, 2, v12
	global_load_b32 v16, v7, s[10:11] scale_offset
	s_clause 0x1
	global_load_b32 v18, v17, s[8:9] scale_offset
	global_load_b32 v19, v20, s[8:9] scale_offset
	s_wait_xcnt 0x1
	v_dual_add_nc_u32 v7, -1, v6 :: v_dual_add_nc_u32 v17, 3, v12
	global_load_b32 v20, v14, s[10:11] scale_offset
	s_wait_xcnt 0x0
	v_add_nc_u32_e32 v14, -5, v6
	s_clause 0x1
	global_load_b32 v22, v21, s[8:9] scale_offset
	global_load_b32 v23, v7, s[8:9] scale_offset
	s_wait_xcnt 0x0
	v_add_nc_u32_e32 v7, 4, v12
	global_load_b32 v24, v17, s[10:11] scale_offset
	s_clause 0x1
	global_load_b32 v27, v6, s[8:9] scale_offset
	global_load_b32 v26, v14, s[8:9] scale_offset
	;; [unrolled: 1-line block ×3, first 2 shown]
	s_wait_loadcnt 0xd
	s_wait_xcnt 0x1
	v_dual_mov_b32 v12, v10 :: v_dual_mov_b32 v14, v11
	v_add_nc_u32_e32 v6, 0x50, v6
	s_wait_loadcnt 0xb
	s_delay_alu instid0(VALU_DEP_2) | instskip(SKIP_1) | instid1(VALU_DEP_1)
	v_pk_fma_f32 v[0:1], v[12:13], v[4:5], v[0:1] op_sel_hi:[1,0,1]
	s_wait_loadcnt 0x9
	v_pk_fma_f32 v[0:1], v[14:15], v[16:17], v[0:1] op_sel_hi:[1,0,1]
	s_wait_loadcnt 0x6
	s_delay_alu instid0(VALU_DEP_1) | instskip(SKIP_1) | instid1(VALU_DEP_1)
	v_pk_fma_f32 v[0:1], v[18:19], v[20:21], v[0:1] op_sel_hi:[1,0,1]
	s_wait_loadcnt 0x3
	v_pk_fma_f32 v[0:1], v[22:23], v[24:25], v[0:1] op_sel_hi:[1,0,1]
	s_wait_loadcnt 0x0
	s_delay_alu instid0(VALU_DEP_1)
	v_pk_fma_f32 v[0:1], v[26:27], v[28:29], v[0:1] op_sel_hi:[1,0,1]
	s_and_not1_b32 exec_lo, exec_lo, s2
	s_cbranch_execnz .LBB16_15
; %bb.16:
	s_or_b32 exec_lo, exec_lo, s2
.LBB16_17:
	s_delay_alu instid0(SALU_CYCLE_1)
	s_or_b32 exec_lo, exec_lo, s3
.LBB16_18:
	v_mbcnt_lo_u32_b32 v6, -1, 0
	s_mov_b32 s2, -1
	s_delay_alu instid0(VALU_DEP_1) | instskip(SKIP_1) | instid1(VALU_DEP_1)
	v_xor_b32_e32 v7, 2, v6
	v_xor_b32_e32 v4, 4, v6
	v_cmp_gt_i32_e32 vcc_lo, 32, v4
	v_cndmask_b32_e32 v4, v6, v4, vcc_lo
	s_delay_alu instid0(VALU_DEP_4) | instskip(SKIP_1) | instid1(VALU_DEP_1)
	v_cmp_gt_i32_e32 vcc_lo, 32, v7
	v_cndmask_b32_e32 v7, v6, v7, vcc_lo
	v_dual_lshlrev_b32 v7, 2, v7 :: v_dual_lshlrev_b32 v5, 2, v4
	ds_bpermute_b32 v4, v5, v0
	ds_bpermute_b32 v5, v5, v1
	s_wait_dscnt 0x0
	v_pk_add_f32 v[0:1], v[0:1], v[4:5]
	ds_bpermute_b32 v4, v7, v0
	ds_bpermute_b32 v5, v7, v1
	v_xor_b32_e32 v7, 1, v6
	s_delay_alu instid0(VALU_DEP_1) | instskip(SKIP_2) | instid1(VALU_DEP_2)
	v_cmp_gt_i32_e32 vcc_lo, 32, v7
	v_cndmask_b32_e32 v6, v6, v7, vcc_lo
	v_cmp_eq_u32_e32 vcc_lo, 7, v3
	v_lshlrev_b32_e32 v6, 2, v6
	s_wait_dscnt 0x0
	v_pk_add_f32 v[0:1], v[0:1], v[4:5]
	ds_bpermute_b32 v4, v6, v0
	ds_bpermute_b32 v5, v6, v1
	s_and_b32 exec_lo, exec_lo, vcc_lo
	s_cbranch_execz .LBB16_23
; %bb.19:
	s_load_b64 s[0:1], s[0:1], 0x38
	s_wait_dscnt 0x0
	v_pk_add_f32 v[0:1], v[0:1], v[4:5]
	v_lshlrev_b32_e32 v2, 1, v2
	s_cmp_eq_f32 s12, 0
	s_cbranch_scc0 .LBB16_21
; %bb.20:
	s_delay_alu instid0(VALU_DEP_1) | instskip(SKIP_3) | instid1(VALU_DEP_2)
	v_ashrrev_i32_e32 v3, 31, v2
	v_pk_mul_f32 v[6:7], s[14:15], v[0:1] op_sel_hi:[0,1]
	s_mov_b32 s2, 0
	s_wait_kmcnt 0x0
	v_lshl_add_u64 v[4:5], v[2:3], 2, s[0:1]
	global_store_b64 v[4:5], v[6:7], off
.LBB16_21:
	s_and_not1_b32 vcc_lo, exec_lo, s2
	s_cbranch_vccnz .LBB16_23
; %bb.22:
	v_ashrrev_i32_e32 v3, 31, v2
	v_pk_mul_f32 v[0:1], s[14:15], v[0:1] op_sel_hi:[0,1]
	s_wait_kmcnt 0x0
	s_delay_alu instid0(VALU_DEP_2)
	v_lshl_add_u64 v[2:3], v[2:3], 2, s[0:1]
	global_load_b64 v[4:5], v[2:3], off
	s_wait_loadcnt 0x0
	v_pk_fma_f32 v[0:1], s[12:13], v[4:5], v[0:1] op_sel_hi:[0,1,1]
	global_store_b64 v[2:3], v[0:1], off
.LBB16_23:
	s_endpgm
	.section	.rodata,"a",@progbits
	.p2align	6, 0x0
	.amdhsa_kernel _ZN9rocsparseL19gebsrmvn_2xn_kernelILj128ELj5ELj8EfEEvi20rocsparse_direction_NS_24const_host_device_scalarIT2_EEPKiS6_PKS3_S8_S4_PS3_21rocsparse_index_base_b
		.amdhsa_group_segment_fixed_size 0
		.amdhsa_private_segment_fixed_size 0
		.amdhsa_kernarg_size 72
		.amdhsa_user_sgpr_count 2
		.amdhsa_user_sgpr_dispatch_ptr 0
		.amdhsa_user_sgpr_queue_ptr 0
		.amdhsa_user_sgpr_kernarg_segment_ptr 1
		.amdhsa_user_sgpr_dispatch_id 0
		.amdhsa_user_sgpr_kernarg_preload_length 0
		.amdhsa_user_sgpr_kernarg_preload_offset 0
		.amdhsa_user_sgpr_private_segment_size 0
		.amdhsa_wavefront_size32 1
		.amdhsa_uses_dynamic_stack 0
		.amdhsa_enable_private_segment 0
		.amdhsa_system_sgpr_workgroup_id_x 1
		.amdhsa_system_sgpr_workgroup_id_y 0
		.amdhsa_system_sgpr_workgroup_id_z 0
		.amdhsa_system_sgpr_workgroup_info 0
		.amdhsa_system_vgpr_workitem_id 0
		.amdhsa_next_free_vgpr 32
		.amdhsa_next_free_sgpr 18
		.amdhsa_named_barrier_count 0
		.amdhsa_reserve_vcc 1
		.amdhsa_float_round_mode_32 0
		.amdhsa_float_round_mode_16_64 0
		.amdhsa_float_denorm_mode_32 3
		.amdhsa_float_denorm_mode_16_64 3
		.amdhsa_fp16_overflow 0
		.amdhsa_memory_ordered 1
		.amdhsa_forward_progress 1
		.amdhsa_inst_pref_size 12
		.amdhsa_round_robin_scheduling 0
		.amdhsa_exception_fp_ieee_invalid_op 0
		.amdhsa_exception_fp_denorm_src 0
		.amdhsa_exception_fp_ieee_div_zero 0
		.amdhsa_exception_fp_ieee_overflow 0
		.amdhsa_exception_fp_ieee_underflow 0
		.amdhsa_exception_fp_ieee_inexact 0
		.amdhsa_exception_int_div_zero 0
	.end_amdhsa_kernel
	.section	.text._ZN9rocsparseL19gebsrmvn_2xn_kernelILj128ELj5ELj8EfEEvi20rocsparse_direction_NS_24const_host_device_scalarIT2_EEPKiS6_PKS3_S8_S4_PS3_21rocsparse_index_base_b,"axG",@progbits,_ZN9rocsparseL19gebsrmvn_2xn_kernelILj128ELj5ELj8EfEEvi20rocsparse_direction_NS_24const_host_device_scalarIT2_EEPKiS6_PKS3_S8_S4_PS3_21rocsparse_index_base_b,comdat
.Lfunc_end16:
	.size	_ZN9rocsparseL19gebsrmvn_2xn_kernelILj128ELj5ELj8EfEEvi20rocsparse_direction_NS_24const_host_device_scalarIT2_EEPKiS6_PKS3_S8_S4_PS3_21rocsparse_index_base_b, .Lfunc_end16-_ZN9rocsparseL19gebsrmvn_2xn_kernelILj128ELj5ELj8EfEEvi20rocsparse_direction_NS_24const_host_device_scalarIT2_EEPKiS6_PKS3_S8_S4_PS3_21rocsparse_index_base_b
                                        ; -- End function
	.set _ZN9rocsparseL19gebsrmvn_2xn_kernelILj128ELj5ELj8EfEEvi20rocsparse_direction_NS_24const_host_device_scalarIT2_EEPKiS6_PKS3_S8_S4_PS3_21rocsparse_index_base_b.num_vgpr, 32
	.set _ZN9rocsparseL19gebsrmvn_2xn_kernelILj128ELj5ELj8EfEEvi20rocsparse_direction_NS_24const_host_device_scalarIT2_EEPKiS6_PKS3_S8_S4_PS3_21rocsparse_index_base_b.num_agpr, 0
	.set _ZN9rocsparseL19gebsrmvn_2xn_kernelILj128ELj5ELj8EfEEvi20rocsparse_direction_NS_24const_host_device_scalarIT2_EEPKiS6_PKS3_S8_S4_PS3_21rocsparse_index_base_b.numbered_sgpr, 18
	.set _ZN9rocsparseL19gebsrmvn_2xn_kernelILj128ELj5ELj8EfEEvi20rocsparse_direction_NS_24const_host_device_scalarIT2_EEPKiS6_PKS3_S8_S4_PS3_21rocsparse_index_base_b.num_named_barrier, 0
	.set _ZN9rocsparseL19gebsrmvn_2xn_kernelILj128ELj5ELj8EfEEvi20rocsparse_direction_NS_24const_host_device_scalarIT2_EEPKiS6_PKS3_S8_S4_PS3_21rocsparse_index_base_b.private_seg_size, 0
	.set _ZN9rocsparseL19gebsrmvn_2xn_kernelILj128ELj5ELj8EfEEvi20rocsparse_direction_NS_24const_host_device_scalarIT2_EEPKiS6_PKS3_S8_S4_PS3_21rocsparse_index_base_b.uses_vcc, 1
	.set _ZN9rocsparseL19gebsrmvn_2xn_kernelILj128ELj5ELj8EfEEvi20rocsparse_direction_NS_24const_host_device_scalarIT2_EEPKiS6_PKS3_S8_S4_PS3_21rocsparse_index_base_b.uses_flat_scratch, 0
	.set _ZN9rocsparseL19gebsrmvn_2xn_kernelILj128ELj5ELj8EfEEvi20rocsparse_direction_NS_24const_host_device_scalarIT2_EEPKiS6_PKS3_S8_S4_PS3_21rocsparse_index_base_b.has_dyn_sized_stack, 0
	.set _ZN9rocsparseL19gebsrmvn_2xn_kernelILj128ELj5ELj8EfEEvi20rocsparse_direction_NS_24const_host_device_scalarIT2_EEPKiS6_PKS3_S8_S4_PS3_21rocsparse_index_base_b.has_recursion, 0
	.set _ZN9rocsparseL19gebsrmvn_2xn_kernelILj128ELj5ELj8EfEEvi20rocsparse_direction_NS_24const_host_device_scalarIT2_EEPKiS6_PKS3_S8_S4_PS3_21rocsparse_index_base_b.has_indirect_call, 0
	.section	.AMDGPU.csdata,"",@progbits
; Kernel info:
; codeLenInByte = 1496
; TotalNumSgprs: 20
; NumVgprs: 32
; ScratchSize: 0
; MemoryBound: 0
; FloatMode: 240
; IeeeMode: 1
; LDSByteSize: 0 bytes/workgroup (compile time only)
; SGPRBlocks: 0
; VGPRBlocks: 1
; NumSGPRsForWavesPerEU: 20
; NumVGPRsForWavesPerEU: 32
; NamedBarCnt: 0
; Occupancy: 16
; WaveLimiterHint : 1
; COMPUTE_PGM_RSRC2:SCRATCH_EN: 0
; COMPUTE_PGM_RSRC2:USER_SGPR: 2
; COMPUTE_PGM_RSRC2:TRAP_HANDLER: 0
; COMPUTE_PGM_RSRC2:TGID_X_EN: 1
; COMPUTE_PGM_RSRC2:TGID_Y_EN: 0
; COMPUTE_PGM_RSRC2:TGID_Z_EN: 0
; COMPUTE_PGM_RSRC2:TIDIG_COMP_CNT: 0
	.section	.text._ZN9rocsparseL19gebsrmvn_2xn_kernelILj128ELj5ELj16EfEEvi20rocsparse_direction_NS_24const_host_device_scalarIT2_EEPKiS6_PKS3_S8_S4_PS3_21rocsparse_index_base_b,"axG",@progbits,_ZN9rocsparseL19gebsrmvn_2xn_kernelILj128ELj5ELj16EfEEvi20rocsparse_direction_NS_24const_host_device_scalarIT2_EEPKiS6_PKS3_S8_S4_PS3_21rocsparse_index_base_b,comdat
	.globl	_ZN9rocsparseL19gebsrmvn_2xn_kernelILj128ELj5ELj16EfEEvi20rocsparse_direction_NS_24const_host_device_scalarIT2_EEPKiS6_PKS3_S8_S4_PS3_21rocsparse_index_base_b ; -- Begin function _ZN9rocsparseL19gebsrmvn_2xn_kernelILj128ELj5ELj16EfEEvi20rocsparse_direction_NS_24const_host_device_scalarIT2_EEPKiS6_PKS3_S8_S4_PS3_21rocsparse_index_base_b
	.p2align	8
	.type	_ZN9rocsparseL19gebsrmvn_2xn_kernelILj128ELj5ELj16EfEEvi20rocsparse_direction_NS_24const_host_device_scalarIT2_EEPKiS6_PKS3_S8_S4_PS3_21rocsparse_index_base_b,@function
_ZN9rocsparseL19gebsrmvn_2xn_kernelILj128ELj5ELj16EfEEvi20rocsparse_direction_NS_24const_host_device_scalarIT2_EEPKiS6_PKS3_S8_S4_PS3_21rocsparse_index_base_b: ; @_ZN9rocsparseL19gebsrmvn_2xn_kernelILj128ELj5ELj16EfEEvi20rocsparse_direction_NS_24const_host_device_scalarIT2_EEPKiS6_PKS3_S8_S4_PS3_21rocsparse_index_base_b
; %bb.0:
	s_clause 0x2
	s_load_b64 s[16:17], s[0:1], 0x40
	s_load_b64 s[14:15], s[0:1], 0x8
	;; [unrolled: 1-line block ×3, first 2 shown]
	s_wait_kmcnt 0x0
	s_bitcmp1_b32 s17, 0
	s_cselect_b32 s2, -1, 0
	s_delay_alu instid0(SALU_CYCLE_1)
	s_and_b32 vcc_lo, exec_lo, s2
	s_xor_b32 s2, s2, -1
	s_cbranch_vccnz .LBB17_2
; %bb.1:
	s_load_b32 s14, s[14:15], 0x0
.LBB17_2:
	s_and_not1_b32 vcc_lo, exec_lo, s2
	s_cbranch_vccnz .LBB17_4
; %bb.3:
	s_load_b32 s12, s[12:13], 0x0
.LBB17_4:
	s_wait_kmcnt 0x0
	s_cmp_eq_f32 s14, 0
	s_cselect_b32 s2, -1, 0
	s_cmp_eq_f32 s12, 1.0
	s_cselect_b32 s3, -1, 0
	s_delay_alu instid0(SALU_CYCLE_1) | instskip(NEXT) | instid1(SALU_CYCLE_1)
	s_and_b32 s2, s2, s3
	s_and_b32 vcc_lo, exec_lo, s2
	s_cbranch_vccnz .LBB17_23
; %bb.5:
	s_load_b64 s[2:3], s[0:1], 0x0
	s_bfe_u32 s4, ttmp6, 0x4000c
	s_and_b32 s5, ttmp6, 15
	s_add_co_i32 s4, s4, 1
	s_getreg_b32 s6, hwreg(HW_REG_IB_STS2, 6, 4)
	s_mul_i32 s4, ttmp9, s4
	v_lshrrev_b32_e32 v1, 4, v0
	s_add_co_i32 s5, s5, s4
	s_cmp_eq_u32 s6, 0
	s_cselect_b32 s4, ttmp9, s5
	s_delay_alu instid0(VALU_DEP_1) | instid1(SALU_CYCLE_1)
	v_lshl_or_b32 v2, s4, 3, v1
	s_wait_kmcnt 0x0
	s_delay_alu instid0(VALU_DEP_1)
	v_cmp_gt_i32_e32 vcc_lo, s2, v2
	s_and_saveexec_b32 s2, vcc_lo
	s_cbranch_execz .LBB17_23
; %bb.6:
	s_load_b256 s[4:11], s[0:1], 0x10
	v_ashrrev_i32_e32 v3, 31, v2
	s_cmp_lg_u32 s3, 0
	s_wait_kmcnt 0x0
	s_delay_alu instid0(VALU_DEP_1)
	v_lshl_add_u64 v[4:5], v[2:3], 2, s[4:5]
	v_and_b32_e32 v3, 15, v0
	global_load_b64 v[4:5], v[4:5], off
	s_wait_loadcnt 0x0
	v_subrev_nc_u32_e32 v0, s16, v4
	v_subrev_nc_u32_e32 v8, s16, v5
	s_delay_alu instid0(VALU_DEP_2) | instskip(NEXT) | instid1(VALU_DEP_1)
	v_add_nc_u32_e32 v9, v0, v3
	v_cmp_lt_i32_e64 s2, v9, v8
	s_cbranch_scc0 .LBB17_12
; %bb.7:
	v_mov_b32_e32 v1, 0
	s_delay_alu instid0(VALU_DEP_1)
	v_mov_b32_e32 v0, v1
	s_and_saveexec_b32 s3, s2
	s_cbranch_execz .LBB17_11
; %bb.8:
	v_mad_u32 v4, v9, 10, 8
	v_dual_mov_b32 v7, 0 :: v_dual_mov_b32 v10, v9
	s_mov_b32 s4, 0
	s_delay_alu instid0(VALU_DEP_1)
	v_dual_mov_b32 v0, v7 :: v_dual_mov_b32 v1, v7
.LBB17_9:                               ; =>This Inner Loop Header: Depth=1
	global_load_b32 v5, v10, s[6:7] scale_offset
	s_wait_xcnt 0x0
	v_add_nc_u32_e32 v10, 16, v10
	s_delay_alu instid0(VALU_DEP_1) | instskip(SKIP_3) | instid1(VALU_DEP_1)
	v_cmp_ge_i32_e32 vcc_lo, v10, v8
	s_or_b32 s4, vcc_lo, s4
	s_wait_loadcnt 0x0
	v_subrev_nc_u32_e32 v5, s16, v5
	v_lshl_add_u32 v11, v5, 2, v5
	s_delay_alu instid0(VALU_DEP_1) | instskip(NEXT) | instid1(VALU_DEP_1)
	v_dual_add_nc_u32 v6, -8, v4 :: v_dual_add_nc_u32 v5, 1, v11
	v_lshl_add_u64 v[12:13], v[6:7], 2, s[8:9]
	v_dual_add_nc_u32 v6, -6, v4 :: v_dual_add_nc_u32 v19, 2, v11
	global_load_b64 v[16:17], v[12:13], off
	global_load_b32 v18, v11, s[10:11] scale_offset
	v_lshl_add_u64 v[14:15], v[6:7], 2, s[8:9]
	v_add_nc_u32_e32 v6, -4, v4
	global_load_b32 v20, v5, s[10:11] scale_offset
	v_add_nc_u32_e32 v21, 3, v11
	global_load_b64 v[12:13], v[14:15], off
	s_wait_xcnt 0x0
	v_lshl_add_u64 v[14:15], v[6:7], 2, s[8:9]
	v_add_nc_u32_e32 v6, -2, v4
	global_load_b64 v[14:15], v[14:15], off
	v_lshl_add_u64 v[22:23], v[6:7], 2, s[8:9]
	global_load_b32 v6, v19, s[10:11] scale_offset
	v_mov_b32_e32 v5, v7
	global_load_b64 v[22:23], v[22:23], off
	v_lshl_add_u64 v[24:25], v[4:5], 2, s[8:9]
	v_add_nc_u32_e32 v5, 4, v11
	global_load_b32 v26, v21, s[10:11] scale_offset
	global_load_b64 v[28:29], v[24:25], off
	global_load_b32 v30, v5, s[10:11] scale_offset
	v_add_nc_u32_e32 v4, 0xa0, v4
	s_wait_loadcnt 0x8
	v_pk_fma_f32 v[0:1], v[16:17], v[18:19], v[0:1] op_sel_hi:[1,0,1]
	s_wait_loadcnt 0x6
	s_delay_alu instid0(VALU_DEP_1) | instskip(SKIP_1) | instid1(VALU_DEP_1)
	v_pk_fma_f32 v[0:1], v[12:13], v[20:21], v[0:1] op_sel_hi:[1,0,1]
	s_wait_loadcnt 0x4
	v_pk_fma_f32 v[0:1], v[14:15], v[6:7], v[0:1] op_sel_hi:[1,0,1]
	s_wait_loadcnt 0x2
	s_delay_alu instid0(VALU_DEP_1) | instskip(SKIP_1) | instid1(VALU_DEP_1)
	v_pk_fma_f32 v[0:1], v[22:23], v[26:27], v[0:1] op_sel_hi:[1,0,1]
	s_wait_loadcnt 0x0
	v_pk_fma_f32 v[0:1], v[28:29], v[30:31], v[0:1] op_sel_hi:[1,0,1]
	s_and_not1_b32 exec_lo, exec_lo, s4
	s_cbranch_execnz .LBB17_9
; %bb.10:
	s_or_b32 exec_lo, exec_lo, s4
.LBB17_11:
	s_delay_alu instid0(SALU_CYCLE_1)
	s_or_b32 exec_lo, exec_lo, s3
	s_cbranch_execz .LBB17_13
	s_branch .LBB17_18
.LBB17_12:
                                        ; implicit-def: $vgpr1
.LBB17_13:
	v_mov_b32_e32 v1, 0
	s_delay_alu instid0(VALU_DEP_1)
	v_mov_b32_e32 v0, v1
	s_and_saveexec_b32 s3, s2
	s_cbranch_execz .LBB17_17
; %bb.14:
	v_mad_u32 v6, v9, 10, 9
	v_mov_b32_e32 v5, 0
	s_mov_b32 s2, 0
	s_delay_alu instid0(VALU_DEP_1)
	v_dual_mov_b32 v0, v5 :: v_dual_mov_b32 v1, v5
.LBB17_15:                              ; =>This Inner Loop Header: Depth=1
	global_load_b32 v7, v9, s[6:7] scale_offset
	v_dual_add_nc_u32 v4, -9, v6 :: v_dual_add_nc_u32 v14, -3, v6
	s_wait_xcnt 0x0
	v_dual_add_nc_u32 v17, -7, v6 :: v_dual_add_nc_u32 v9, 16, v9
	v_add_nc_u32_e32 v20, -2, v6
	s_delay_alu instid0(VALU_DEP_3) | instskip(NEXT) | instid1(VALU_DEP_3)
	v_lshl_add_u64 v[10:11], v[4:5], 2, s[8:9]
	v_cmp_ge_i32_e32 vcc_lo, v9, v8
	global_load_b64 v[10:11], v[10:11], off
	s_or_b32 s2, vcc_lo, s2
	s_wait_loadcnt 0x1
	v_subrev_nc_u32_e32 v4, s16, v7
	v_add_nc_u32_e32 v7, -4, v6
	s_delay_alu instid0(VALU_DEP_2)
	v_lshl_add_u32 v12, v4, 2, v4
	global_load_b32 v13, v7, s[8:9] scale_offset
	global_load_b32 v4, v12, s[10:11] scale_offset
	s_wait_xcnt 0x1
	v_dual_add_nc_u32 v7, 1, v12 :: v_dual_add_nc_u32 v21, -6, v6
	global_load_b32 v15, v14, s[8:9] scale_offset
	s_wait_xcnt 0x0
	v_add_nc_u32_e32 v14, 2, v12
	global_load_b32 v16, v7, s[10:11] scale_offset
	s_clause 0x1
	global_load_b32 v18, v17, s[8:9] scale_offset
	global_load_b32 v19, v20, s[8:9] scale_offset
	s_wait_xcnt 0x1
	v_dual_add_nc_u32 v7, -1, v6 :: v_dual_add_nc_u32 v17, 3, v12
	global_load_b32 v20, v14, s[10:11] scale_offset
	s_wait_xcnt 0x0
	v_add_nc_u32_e32 v14, -5, v6
	s_clause 0x1
	global_load_b32 v22, v21, s[8:9] scale_offset
	global_load_b32 v23, v7, s[8:9] scale_offset
	s_wait_xcnt 0x0
	v_add_nc_u32_e32 v7, 4, v12
	global_load_b32 v24, v17, s[10:11] scale_offset
	s_clause 0x1
	global_load_b32 v27, v6, s[8:9] scale_offset
	global_load_b32 v26, v14, s[8:9] scale_offset
	;; [unrolled: 1-line block ×3, first 2 shown]
	s_wait_loadcnt 0xd
	s_wait_xcnt 0x1
	v_dual_mov_b32 v12, v10 :: v_dual_mov_b32 v14, v11
	v_add_nc_u32_e32 v6, 0xa0, v6
	s_wait_loadcnt 0xb
	s_delay_alu instid0(VALU_DEP_2) | instskip(SKIP_1) | instid1(VALU_DEP_1)
	v_pk_fma_f32 v[0:1], v[12:13], v[4:5], v[0:1] op_sel_hi:[1,0,1]
	s_wait_loadcnt 0x9
	v_pk_fma_f32 v[0:1], v[14:15], v[16:17], v[0:1] op_sel_hi:[1,0,1]
	s_wait_loadcnt 0x6
	s_delay_alu instid0(VALU_DEP_1) | instskip(SKIP_1) | instid1(VALU_DEP_1)
	v_pk_fma_f32 v[0:1], v[18:19], v[20:21], v[0:1] op_sel_hi:[1,0,1]
	s_wait_loadcnt 0x3
	v_pk_fma_f32 v[0:1], v[22:23], v[24:25], v[0:1] op_sel_hi:[1,0,1]
	s_wait_loadcnt 0x0
	s_delay_alu instid0(VALU_DEP_1)
	v_pk_fma_f32 v[0:1], v[26:27], v[28:29], v[0:1] op_sel_hi:[1,0,1]
	s_and_not1_b32 exec_lo, exec_lo, s2
	s_cbranch_execnz .LBB17_15
; %bb.16:
	s_or_b32 exec_lo, exec_lo, s2
.LBB17_17:
	s_delay_alu instid0(SALU_CYCLE_1)
	s_or_b32 exec_lo, exec_lo, s3
.LBB17_18:
	v_mbcnt_lo_u32_b32 v6, -1, 0
	s_mov_b32 s2, -1
	s_delay_alu instid0(VALU_DEP_1) | instskip(SKIP_1) | instid1(VALU_DEP_1)
	v_xor_b32_e32 v7, 4, v6
	v_xor_b32_e32 v4, 8, v6
	v_cmp_gt_i32_e32 vcc_lo, 32, v4
	v_cndmask_b32_e32 v4, v6, v4, vcc_lo
	s_delay_alu instid0(VALU_DEP_4) | instskip(SKIP_1) | instid1(VALU_DEP_1)
	v_cmp_gt_i32_e32 vcc_lo, 32, v7
	v_cndmask_b32_e32 v7, v6, v7, vcc_lo
	v_dual_lshlrev_b32 v7, 2, v7 :: v_dual_lshlrev_b32 v5, 2, v4
	ds_bpermute_b32 v4, v5, v0
	ds_bpermute_b32 v5, v5, v1
	s_wait_dscnt 0x0
	v_pk_add_f32 v[0:1], v[0:1], v[4:5]
	ds_bpermute_b32 v4, v7, v0
	ds_bpermute_b32 v5, v7, v1
	v_xor_b32_e32 v7, 2, v6
	s_delay_alu instid0(VALU_DEP_1) | instskip(SKIP_1) | instid1(VALU_DEP_1)
	v_cmp_gt_i32_e32 vcc_lo, 32, v7
	v_cndmask_b32_e32 v7, v6, v7, vcc_lo
	v_lshlrev_b32_e32 v7, 2, v7
	s_wait_dscnt 0x0
	v_pk_add_f32 v[0:1], v[0:1], v[4:5]
	ds_bpermute_b32 v4, v7, v0
	ds_bpermute_b32 v5, v7, v1
	v_xor_b32_e32 v7, 1, v6
	s_delay_alu instid0(VALU_DEP_1) | instskip(SKIP_2) | instid1(VALU_DEP_2)
	v_cmp_gt_i32_e32 vcc_lo, 32, v7
	v_cndmask_b32_e32 v6, v6, v7, vcc_lo
	v_cmp_eq_u32_e32 vcc_lo, 15, v3
	v_lshlrev_b32_e32 v6, 2, v6
	s_wait_dscnt 0x0
	v_pk_add_f32 v[0:1], v[0:1], v[4:5]
	ds_bpermute_b32 v4, v6, v0
	ds_bpermute_b32 v5, v6, v1
	s_and_b32 exec_lo, exec_lo, vcc_lo
	s_cbranch_execz .LBB17_23
; %bb.19:
	s_load_b64 s[0:1], s[0:1], 0x38
	s_wait_dscnt 0x0
	v_pk_add_f32 v[0:1], v[0:1], v[4:5]
	v_lshlrev_b32_e32 v2, 1, v2
	s_cmp_eq_f32 s12, 0
	s_cbranch_scc0 .LBB17_21
; %bb.20:
	s_delay_alu instid0(VALU_DEP_1) | instskip(SKIP_3) | instid1(VALU_DEP_2)
	v_ashrrev_i32_e32 v3, 31, v2
	v_pk_mul_f32 v[6:7], s[14:15], v[0:1] op_sel_hi:[0,1]
	s_mov_b32 s2, 0
	s_wait_kmcnt 0x0
	v_lshl_add_u64 v[4:5], v[2:3], 2, s[0:1]
	global_store_b64 v[4:5], v[6:7], off
.LBB17_21:
	s_and_not1_b32 vcc_lo, exec_lo, s2
	s_cbranch_vccnz .LBB17_23
; %bb.22:
	v_ashrrev_i32_e32 v3, 31, v2
	v_pk_mul_f32 v[0:1], s[14:15], v[0:1] op_sel_hi:[0,1]
	s_wait_kmcnt 0x0
	s_delay_alu instid0(VALU_DEP_2)
	v_lshl_add_u64 v[2:3], v[2:3], 2, s[0:1]
	global_load_b64 v[4:5], v[2:3], off
	s_wait_loadcnt 0x0
	v_pk_fma_f32 v[0:1], s[12:13], v[4:5], v[0:1] op_sel_hi:[0,1,1]
	global_store_b64 v[2:3], v[0:1], off
.LBB17_23:
	s_endpgm
	.section	.rodata,"a",@progbits
	.p2align	6, 0x0
	.amdhsa_kernel _ZN9rocsparseL19gebsrmvn_2xn_kernelILj128ELj5ELj16EfEEvi20rocsparse_direction_NS_24const_host_device_scalarIT2_EEPKiS6_PKS3_S8_S4_PS3_21rocsparse_index_base_b
		.amdhsa_group_segment_fixed_size 0
		.amdhsa_private_segment_fixed_size 0
		.amdhsa_kernarg_size 72
		.amdhsa_user_sgpr_count 2
		.amdhsa_user_sgpr_dispatch_ptr 0
		.amdhsa_user_sgpr_queue_ptr 0
		.amdhsa_user_sgpr_kernarg_segment_ptr 1
		.amdhsa_user_sgpr_dispatch_id 0
		.amdhsa_user_sgpr_kernarg_preload_length 0
		.amdhsa_user_sgpr_kernarg_preload_offset 0
		.amdhsa_user_sgpr_private_segment_size 0
		.amdhsa_wavefront_size32 1
		.amdhsa_uses_dynamic_stack 0
		.amdhsa_enable_private_segment 0
		.amdhsa_system_sgpr_workgroup_id_x 1
		.amdhsa_system_sgpr_workgroup_id_y 0
		.amdhsa_system_sgpr_workgroup_id_z 0
		.amdhsa_system_sgpr_workgroup_info 0
		.amdhsa_system_vgpr_workitem_id 0
		.amdhsa_next_free_vgpr 32
		.amdhsa_next_free_sgpr 18
		.amdhsa_named_barrier_count 0
		.amdhsa_reserve_vcc 1
		.amdhsa_float_round_mode_32 0
		.amdhsa_float_round_mode_16_64 0
		.amdhsa_float_denorm_mode_32 3
		.amdhsa_float_denorm_mode_16_64 3
		.amdhsa_fp16_overflow 0
		.amdhsa_memory_ordered 1
		.amdhsa_forward_progress 1
		.amdhsa_inst_pref_size 13
		.amdhsa_round_robin_scheduling 0
		.amdhsa_exception_fp_ieee_invalid_op 0
		.amdhsa_exception_fp_denorm_src 0
		.amdhsa_exception_fp_ieee_div_zero 0
		.amdhsa_exception_fp_ieee_overflow 0
		.amdhsa_exception_fp_ieee_underflow 0
		.amdhsa_exception_fp_ieee_inexact 0
		.amdhsa_exception_int_div_zero 0
	.end_amdhsa_kernel
	.section	.text._ZN9rocsparseL19gebsrmvn_2xn_kernelILj128ELj5ELj16EfEEvi20rocsparse_direction_NS_24const_host_device_scalarIT2_EEPKiS6_PKS3_S8_S4_PS3_21rocsparse_index_base_b,"axG",@progbits,_ZN9rocsparseL19gebsrmvn_2xn_kernelILj128ELj5ELj16EfEEvi20rocsparse_direction_NS_24const_host_device_scalarIT2_EEPKiS6_PKS3_S8_S4_PS3_21rocsparse_index_base_b,comdat
.Lfunc_end17:
	.size	_ZN9rocsparseL19gebsrmvn_2xn_kernelILj128ELj5ELj16EfEEvi20rocsparse_direction_NS_24const_host_device_scalarIT2_EEPKiS6_PKS3_S8_S4_PS3_21rocsparse_index_base_b, .Lfunc_end17-_ZN9rocsparseL19gebsrmvn_2xn_kernelILj128ELj5ELj16EfEEvi20rocsparse_direction_NS_24const_host_device_scalarIT2_EEPKiS6_PKS3_S8_S4_PS3_21rocsparse_index_base_b
                                        ; -- End function
	.set _ZN9rocsparseL19gebsrmvn_2xn_kernelILj128ELj5ELj16EfEEvi20rocsparse_direction_NS_24const_host_device_scalarIT2_EEPKiS6_PKS3_S8_S4_PS3_21rocsparse_index_base_b.num_vgpr, 32
	.set _ZN9rocsparseL19gebsrmvn_2xn_kernelILj128ELj5ELj16EfEEvi20rocsparse_direction_NS_24const_host_device_scalarIT2_EEPKiS6_PKS3_S8_S4_PS3_21rocsparse_index_base_b.num_agpr, 0
	.set _ZN9rocsparseL19gebsrmvn_2xn_kernelILj128ELj5ELj16EfEEvi20rocsparse_direction_NS_24const_host_device_scalarIT2_EEPKiS6_PKS3_S8_S4_PS3_21rocsparse_index_base_b.numbered_sgpr, 18
	.set _ZN9rocsparseL19gebsrmvn_2xn_kernelILj128ELj5ELj16EfEEvi20rocsparse_direction_NS_24const_host_device_scalarIT2_EEPKiS6_PKS3_S8_S4_PS3_21rocsparse_index_base_b.num_named_barrier, 0
	.set _ZN9rocsparseL19gebsrmvn_2xn_kernelILj128ELj5ELj16EfEEvi20rocsparse_direction_NS_24const_host_device_scalarIT2_EEPKiS6_PKS3_S8_S4_PS3_21rocsparse_index_base_b.private_seg_size, 0
	.set _ZN9rocsparseL19gebsrmvn_2xn_kernelILj128ELj5ELj16EfEEvi20rocsparse_direction_NS_24const_host_device_scalarIT2_EEPKiS6_PKS3_S8_S4_PS3_21rocsparse_index_base_b.uses_vcc, 1
	.set _ZN9rocsparseL19gebsrmvn_2xn_kernelILj128ELj5ELj16EfEEvi20rocsparse_direction_NS_24const_host_device_scalarIT2_EEPKiS6_PKS3_S8_S4_PS3_21rocsparse_index_base_b.uses_flat_scratch, 0
	.set _ZN9rocsparseL19gebsrmvn_2xn_kernelILj128ELj5ELj16EfEEvi20rocsparse_direction_NS_24const_host_device_scalarIT2_EEPKiS6_PKS3_S8_S4_PS3_21rocsparse_index_base_b.has_dyn_sized_stack, 0
	.set _ZN9rocsparseL19gebsrmvn_2xn_kernelILj128ELj5ELj16EfEEvi20rocsparse_direction_NS_24const_host_device_scalarIT2_EEPKiS6_PKS3_S8_S4_PS3_21rocsparse_index_base_b.has_recursion, 0
	.set _ZN9rocsparseL19gebsrmvn_2xn_kernelILj128ELj5ELj16EfEEvi20rocsparse_direction_NS_24const_host_device_scalarIT2_EEPKiS6_PKS3_S8_S4_PS3_21rocsparse_index_base_b.has_indirect_call, 0
	.section	.AMDGPU.csdata,"",@progbits
; Kernel info:
; codeLenInByte = 1544
; TotalNumSgprs: 20
; NumVgprs: 32
; ScratchSize: 0
; MemoryBound: 0
; FloatMode: 240
; IeeeMode: 1
; LDSByteSize: 0 bytes/workgroup (compile time only)
; SGPRBlocks: 0
; VGPRBlocks: 1
; NumSGPRsForWavesPerEU: 20
; NumVGPRsForWavesPerEU: 32
; NamedBarCnt: 0
; Occupancy: 16
; WaveLimiterHint : 1
; COMPUTE_PGM_RSRC2:SCRATCH_EN: 0
; COMPUTE_PGM_RSRC2:USER_SGPR: 2
; COMPUTE_PGM_RSRC2:TRAP_HANDLER: 0
; COMPUTE_PGM_RSRC2:TGID_X_EN: 1
; COMPUTE_PGM_RSRC2:TGID_Y_EN: 0
; COMPUTE_PGM_RSRC2:TGID_Z_EN: 0
; COMPUTE_PGM_RSRC2:TIDIG_COMP_CNT: 0
	.section	.text._ZN9rocsparseL19gebsrmvn_2xn_kernelILj128ELj5ELj32EfEEvi20rocsparse_direction_NS_24const_host_device_scalarIT2_EEPKiS6_PKS3_S8_S4_PS3_21rocsparse_index_base_b,"axG",@progbits,_ZN9rocsparseL19gebsrmvn_2xn_kernelILj128ELj5ELj32EfEEvi20rocsparse_direction_NS_24const_host_device_scalarIT2_EEPKiS6_PKS3_S8_S4_PS3_21rocsparse_index_base_b,comdat
	.globl	_ZN9rocsparseL19gebsrmvn_2xn_kernelILj128ELj5ELj32EfEEvi20rocsparse_direction_NS_24const_host_device_scalarIT2_EEPKiS6_PKS3_S8_S4_PS3_21rocsparse_index_base_b ; -- Begin function _ZN9rocsparseL19gebsrmvn_2xn_kernelILj128ELj5ELj32EfEEvi20rocsparse_direction_NS_24const_host_device_scalarIT2_EEPKiS6_PKS3_S8_S4_PS3_21rocsparse_index_base_b
	.p2align	8
	.type	_ZN9rocsparseL19gebsrmvn_2xn_kernelILj128ELj5ELj32EfEEvi20rocsparse_direction_NS_24const_host_device_scalarIT2_EEPKiS6_PKS3_S8_S4_PS3_21rocsparse_index_base_b,@function
_ZN9rocsparseL19gebsrmvn_2xn_kernelILj128ELj5ELj32EfEEvi20rocsparse_direction_NS_24const_host_device_scalarIT2_EEPKiS6_PKS3_S8_S4_PS3_21rocsparse_index_base_b: ; @_ZN9rocsparseL19gebsrmvn_2xn_kernelILj128ELj5ELj32EfEEvi20rocsparse_direction_NS_24const_host_device_scalarIT2_EEPKiS6_PKS3_S8_S4_PS3_21rocsparse_index_base_b
; %bb.0:
	s_clause 0x2
	s_load_b64 s[16:17], s[0:1], 0x40
	s_load_b64 s[14:15], s[0:1], 0x8
	;; [unrolled: 1-line block ×3, first 2 shown]
	s_wait_kmcnt 0x0
	s_bitcmp1_b32 s17, 0
	s_cselect_b32 s2, -1, 0
	s_delay_alu instid0(SALU_CYCLE_1)
	s_and_b32 vcc_lo, exec_lo, s2
	s_xor_b32 s2, s2, -1
	s_cbranch_vccnz .LBB18_2
; %bb.1:
	s_load_b32 s14, s[14:15], 0x0
.LBB18_2:
	s_and_not1_b32 vcc_lo, exec_lo, s2
	s_cbranch_vccnz .LBB18_4
; %bb.3:
	s_load_b32 s12, s[12:13], 0x0
.LBB18_4:
	s_wait_kmcnt 0x0
	s_cmp_eq_f32 s14, 0
	s_cselect_b32 s2, -1, 0
	s_cmp_eq_f32 s12, 1.0
	s_cselect_b32 s3, -1, 0
	s_delay_alu instid0(SALU_CYCLE_1) | instskip(NEXT) | instid1(SALU_CYCLE_1)
	s_and_b32 s2, s2, s3
	s_and_b32 vcc_lo, exec_lo, s2
	s_cbranch_vccnz .LBB18_23
; %bb.5:
	s_load_b64 s[2:3], s[0:1], 0x0
	s_bfe_u32 s4, ttmp6, 0x4000c
	s_and_b32 s5, ttmp6, 15
	s_add_co_i32 s4, s4, 1
	s_getreg_b32 s6, hwreg(HW_REG_IB_STS2, 6, 4)
	s_mul_i32 s4, ttmp9, s4
	v_lshrrev_b32_e32 v1, 5, v0
	s_add_co_i32 s5, s5, s4
	s_cmp_eq_u32 s6, 0
	s_cselect_b32 s4, ttmp9, s5
	s_delay_alu instid0(VALU_DEP_1) | instid1(SALU_CYCLE_1)
	v_lshl_or_b32 v2, s4, 2, v1
	s_wait_kmcnt 0x0
	s_delay_alu instid0(VALU_DEP_1)
	v_cmp_gt_i32_e32 vcc_lo, s2, v2
	s_and_saveexec_b32 s2, vcc_lo
	s_cbranch_execz .LBB18_23
; %bb.6:
	s_load_b256 s[4:11], s[0:1], 0x10
	v_ashrrev_i32_e32 v3, 31, v2
	s_cmp_lg_u32 s3, 0
	s_wait_kmcnt 0x0
	s_delay_alu instid0(VALU_DEP_1)
	v_lshl_add_u64 v[4:5], v[2:3], 2, s[4:5]
	v_and_b32_e32 v3, 31, v0
	global_load_b64 v[4:5], v[4:5], off
	s_wait_loadcnt 0x0
	v_subrev_nc_u32_e32 v0, s16, v4
	v_subrev_nc_u32_e32 v8, s16, v5
	s_delay_alu instid0(VALU_DEP_2) | instskip(NEXT) | instid1(VALU_DEP_1)
	v_add_nc_u32_e32 v9, v0, v3
	v_cmp_lt_i32_e64 s2, v9, v8
	s_cbranch_scc0 .LBB18_12
; %bb.7:
	v_mov_b32_e32 v1, 0
	s_delay_alu instid0(VALU_DEP_1)
	v_mov_b32_e32 v0, v1
	s_and_saveexec_b32 s3, s2
	s_cbranch_execz .LBB18_11
; %bb.8:
	v_mad_u32 v4, v9, 10, 8
	v_dual_mov_b32 v7, 0 :: v_dual_mov_b32 v10, v9
	s_mov_b32 s4, 0
	s_delay_alu instid0(VALU_DEP_1)
	v_dual_mov_b32 v0, v7 :: v_dual_mov_b32 v1, v7
.LBB18_9:                               ; =>This Inner Loop Header: Depth=1
	global_load_b32 v5, v10, s[6:7] scale_offset
	s_wait_xcnt 0x0
	v_add_nc_u32_e32 v10, 32, v10
	s_delay_alu instid0(VALU_DEP_1) | instskip(SKIP_3) | instid1(VALU_DEP_1)
	v_cmp_ge_i32_e32 vcc_lo, v10, v8
	s_or_b32 s4, vcc_lo, s4
	s_wait_loadcnt 0x0
	v_subrev_nc_u32_e32 v5, s16, v5
	v_lshl_add_u32 v11, v5, 2, v5
	s_delay_alu instid0(VALU_DEP_1) | instskip(NEXT) | instid1(VALU_DEP_1)
	v_dual_add_nc_u32 v6, -8, v4 :: v_dual_add_nc_u32 v5, 1, v11
	v_lshl_add_u64 v[12:13], v[6:7], 2, s[8:9]
	v_dual_add_nc_u32 v6, -6, v4 :: v_dual_add_nc_u32 v19, 2, v11
	global_load_b64 v[16:17], v[12:13], off
	global_load_b32 v18, v11, s[10:11] scale_offset
	v_lshl_add_u64 v[14:15], v[6:7], 2, s[8:9]
	v_add_nc_u32_e32 v6, -4, v4
	global_load_b32 v20, v5, s[10:11] scale_offset
	v_add_nc_u32_e32 v21, 3, v11
	global_load_b64 v[12:13], v[14:15], off
	s_wait_xcnt 0x0
	v_lshl_add_u64 v[14:15], v[6:7], 2, s[8:9]
	v_add_nc_u32_e32 v6, -2, v4
	global_load_b64 v[14:15], v[14:15], off
	v_lshl_add_u64 v[22:23], v[6:7], 2, s[8:9]
	global_load_b32 v6, v19, s[10:11] scale_offset
	v_mov_b32_e32 v5, v7
	global_load_b64 v[22:23], v[22:23], off
	v_lshl_add_u64 v[24:25], v[4:5], 2, s[8:9]
	v_add_nc_u32_e32 v5, 4, v11
	global_load_b32 v26, v21, s[10:11] scale_offset
	global_load_b64 v[28:29], v[24:25], off
	global_load_b32 v30, v5, s[10:11] scale_offset
	v_add_nc_u32_e32 v4, 0x140, v4
	s_wait_loadcnt 0x8
	v_pk_fma_f32 v[0:1], v[16:17], v[18:19], v[0:1] op_sel_hi:[1,0,1]
	s_wait_loadcnt 0x6
	s_delay_alu instid0(VALU_DEP_1) | instskip(SKIP_1) | instid1(VALU_DEP_1)
	v_pk_fma_f32 v[0:1], v[12:13], v[20:21], v[0:1] op_sel_hi:[1,0,1]
	s_wait_loadcnt 0x4
	v_pk_fma_f32 v[0:1], v[14:15], v[6:7], v[0:1] op_sel_hi:[1,0,1]
	s_wait_loadcnt 0x2
	s_delay_alu instid0(VALU_DEP_1) | instskip(SKIP_1) | instid1(VALU_DEP_1)
	v_pk_fma_f32 v[0:1], v[22:23], v[26:27], v[0:1] op_sel_hi:[1,0,1]
	s_wait_loadcnt 0x0
	v_pk_fma_f32 v[0:1], v[28:29], v[30:31], v[0:1] op_sel_hi:[1,0,1]
	s_and_not1_b32 exec_lo, exec_lo, s4
	s_cbranch_execnz .LBB18_9
; %bb.10:
	s_or_b32 exec_lo, exec_lo, s4
.LBB18_11:
	s_delay_alu instid0(SALU_CYCLE_1)
	s_or_b32 exec_lo, exec_lo, s3
	s_cbranch_execz .LBB18_13
	s_branch .LBB18_18
.LBB18_12:
                                        ; implicit-def: $vgpr1
.LBB18_13:
	v_mov_b32_e32 v1, 0
	s_delay_alu instid0(VALU_DEP_1)
	v_mov_b32_e32 v0, v1
	s_and_saveexec_b32 s3, s2
	s_cbranch_execz .LBB18_17
; %bb.14:
	v_mad_u32 v6, v9, 10, 9
	v_mov_b32_e32 v5, 0
	s_mov_b32 s2, 0
	s_delay_alu instid0(VALU_DEP_1)
	v_dual_mov_b32 v0, v5 :: v_dual_mov_b32 v1, v5
.LBB18_15:                              ; =>This Inner Loop Header: Depth=1
	global_load_b32 v7, v9, s[6:7] scale_offset
	v_dual_add_nc_u32 v4, -9, v6 :: v_dual_add_nc_u32 v14, -3, v6
	s_wait_xcnt 0x0
	v_dual_add_nc_u32 v17, -7, v6 :: v_dual_add_nc_u32 v9, 32, v9
	v_add_nc_u32_e32 v20, -2, v6
	s_delay_alu instid0(VALU_DEP_3) | instskip(NEXT) | instid1(VALU_DEP_3)
	v_lshl_add_u64 v[10:11], v[4:5], 2, s[8:9]
	v_cmp_ge_i32_e32 vcc_lo, v9, v8
	global_load_b64 v[10:11], v[10:11], off
	s_or_b32 s2, vcc_lo, s2
	s_wait_loadcnt 0x1
	v_subrev_nc_u32_e32 v4, s16, v7
	v_add_nc_u32_e32 v7, -4, v6
	s_delay_alu instid0(VALU_DEP_2)
	v_lshl_add_u32 v12, v4, 2, v4
	global_load_b32 v13, v7, s[8:9] scale_offset
	global_load_b32 v4, v12, s[10:11] scale_offset
	s_wait_xcnt 0x1
	v_dual_add_nc_u32 v7, 1, v12 :: v_dual_add_nc_u32 v21, -6, v6
	global_load_b32 v15, v14, s[8:9] scale_offset
	s_wait_xcnt 0x0
	v_add_nc_u32_e32 v14, 2, v12
	global_load_b32 v16, v7, s[10:11] scale_offset
	s_clause 0x1
	global_load_b32 v18, v17, s[8:9] scale_offset
	global_load_b32 v19, v20, s[8:9] scale_offset
	s_wait_xcnt 0x1
	v_dual_add_nc_u32 v7, -1, v6 :: v_dual_add_nc_u32 v17, 3, v12
	global_load_b32 v20, v14, s[10:11] scale_offset
	s_wait_xcnt 0x0
	v_add_nc_u32_e32 v14, -5, v6
	s_clause 0x1
	global_load_b32 v22, v21, s[8:9] scale_offset
	global_load_b32 v23, v7, s[8:9] scale_offset
	s_wait_xcnt 0x0
	v_add_nc_u32_e32 v7, 4, v12
	global_load_b32 v24, v17, s[10:11] scale_offset
	s_clause 0x1
	global_load_b32 v27, v6, s[8:9] scale_offset
	global_load_b32 v26, v14, s[8:9] scale_offset
	;; [unrolled: 1-line block ×3, first 2 shown]
	s_wait_loadcnt 0xd
	s_wait_xcnt 0x1
	v_dual_mov_b32 v12, v10 :: v_dual_mov_b32 v14, v11
	v_add_nc_u32_e32 v6, 0x140, v6
	s_wait_loadcnt 0xb
	s_delay_alu instid0(VALU_DEP_2) | instskip(SKIP_1) | instid1(VALU_DEP_1)
	v_pk_fma_f32 v[0:1], v[12:13], v[4:5], v[0:1] op_sel_hi:[1,0,1]
	s_wait_loadcnt 0x9
	v_pk_fma_f32 v[0:1], v[14:15], v[16:17], v[0:1] op_sel_hi:[1,0,1]
	s_wait_loadcnt 0x6
	s_delay_alu instid0(VALU_DEP_1) | instskip(SKIP_1) | instid1(VALU_DEP_1)
	v_pk_fma_f32 v[0:1], v[18:19], v[20:21], v[0:1] op_sel_hi:[1,0,1]
	s_wait_loadcnt 0x3
	v_pk_fma_f32 v[0:1], v[22:23], v[24:25], v[0:1] op_sel_hi:[1,0,1]
	s_wait_loadcnt 0x0
	s_delay_alu instid0(VALU_DEP_1)
	v_pk_fma_f32 v[0:1], v[26:27], v[28:29], v[0:1] op_sel_hi:[1,0,1]
	s_and_not1_b32 exec_lo, exec_lo, s2
	s_cbranch_execnz .LBB18_15
; %bb.16:
	s_or_b32 exec_lo, exec_lo, s2
.LBB18_17:
	s_delay_alu instid0(SALU_CYCLE_1)
	s_or_b32 exec_lo, exec_lo, s3
.LBB18_18:
	v_mbcnt_lo_u32_b32 v6, -1, 0
	s_mov_b32 s2, -1
	s_delay_alu instid0(VALU_DEP_1) | instskip(SKIP_1) | instid1(VALU_DEP_1)
	v_xor_b32_e32 v7, 8, v6
	v_xor_b32_e32 v4, 16, v6
	v_cmp_gt_i32_e32 vcc_lo, 32, v4
	v_cndmask_b32_e32 v4, v6, v4, vcc_lo
	s_delay_alu instid0(VALU_DEP_4) | instskip(SKIP_1) | instid1(VALU_DEP_1)
	v_cmp_gt_i32_e32 vcc_lo, 32, v7
	v_cndmask_b32_e32 v7, v6, v7, vcc_lo
	v_dual_lshlrev_b32 v7, 2, v7 :: v_dual_lshlrev_b32 v5, 2, v4
	ds_bpermute_b32 v4, v5, v0
	ds_bpermute_b32 v5, v5, v1
	s_wait_dscnt 0x0
	v_pk_add_f32 v[0:1], v[0:1], v[4:5]
	ds_bpermute_b32 v4, v7, v0
	ds_bpermute_b32 v5, v7, v1
	v_xor_b32_e32 v7, 4, v6
	s_delay_alu instid0(VALU_DEP_1) | instskip(SKIP_1) | instid1(VALU_DEP_1)
	v_cmp_gt_i32_e32 vcc_lo, 32, v7
	v_cndmask_b32_e32 v7, v6, v7, vcc_lo
	v_lshlrev_b32_e32 v7, 2, v7
	s_wait_dscnt 0x0
	v_pk_add_f32 v[0:1], v[0:1], v[4:5]
	ds_bpermute_b32 v4, v7, v0
	ds_bpermute_b32 v5, v7, v1
	v_xor_b32_e32 v7, 2, v6
	s_delay_alu instid0(VALU_DEP_1) | instskip(SKIP_1) | instid1(VALU_DEP_1)
	v_cmp_gt_i32_e32 vcc_lo, 32, v7
	v_cndmask_b32_e32 v7, v6, v7, vcc_lo
	v_lshlrev_b32_e32 v7, 2, v7
	s_wait_dscnt 0x0
	v_pk_add_f32 v[0:1], v[0:1], v[4:5]
	ds_bpermute_b32 v4, v7, v0
	ds_bpermute_b32 v5, v7, v1
	v_xor_b32_e32 v7, 1, v6
	s_delay_alu instid0(VALU_DEP_1) | instskip(SKIP_2) | instid1(VALU_DEP_2)
	v_cmp_gt_i32_e32 vcc_lo, 32, v7
	v_cndmask_b32_e32 v6, v6, v7, vcc_lo
	v_cmp_eq_u32_e32 vcc_lo, 31, v3
	v_lshlrev_b32_e32 v6, 2, v6
	s_wait_dscnt 0x0
	v_pk_add_f32 v[0:1], v[0:1], v[4:5]
	ds_bpermute_b32 v4, v6, v0
	ds_bpermute_b32 v5, v6, v1
	s_and_b32 exec_lo, exec_lo, vcc_lo
	s_cbranch_execz .LBB18_23
; %bb.19:
	s_load_b64 s[0:1], s[0:1], 0x38
	s_wait_dscnt 0x0
	v_pk_add_f32 v[0:1], v[0:1], v[4:5]
	v_lshlrev_b32_e32 v2, 1, v2
	s_cmp_eq_f32 s12, 0
	s_cbranch_scc0 .LBB18_21
; %bb.20:
	s_delay_alu instid0(VALU_DEP_1) | instskip(SKIP_3) | instid1(VALU_DEP_2)
	v_ashrrev_i32_e32 v3, 31, v2
	v_pk_mul_f32 v[6:7], s[14:15], v[0:1] op_sel_hi:[0,1]
	s_mov_b32 s2, 0
	s_wait_kmcnt 0x0
	v_lshl_add_u64 v[4:5], v[2:3], 2, s[0:1]
	global_store_b64 v[4:5], v[6:7], off
.LBB18_21:
	s_and_not1_b32 vcc_lo, exec_lo, s2
	s_cbranch_vccnz .LBB18_23
; %bb.22:
	v_ashrrev_i32_e32 v3, 31, v2
	v_pk_mul_f32 v[0:1], s[14:15], v[0:1] op_sel_hi:[0,1]
	s_wait_kmcnt 0x0
	s_delay_alu instid0(VALU_DEP_2)
	v_lshl_add_u64 v[2:3], v[2:3], 2, s[0:1]
	global_load_b64 v[4:5], v[2:3], off
	s_wait_loadcnt 0x0
	v_pk_fma_f32 v[0:1], s[12:13], v[4:5], v[0:1] op_sel_hi:[0,1,1]
	global_store_b64 v[2:3], v[0:1], off
.LBB18_23:
	s_endpgm
	.section	.rodata,"a",@progbits
	.p2align	6, 0x0
	.amdhsa_kernel _ZN9rocsparseL19gebsrmvn_2xn_kernelILj128ELj5ELj32EfEEvi20rocsparse_direction_NS_24const_host_device_scalarIT2_EEPKiS6_PKS3_S8_S4_PS3_21rocsparse_index_base_b
		.amdhsa_group_segment_fixed_size 0
		.amdhsa_private_segment_fixed_size 0
		.amdhsa_kernarg_size 72
		.amdhsa_user_sgpr_count 2
		.amdhsa_user_sgpr_dispatch_ptr 0
		.amdhsa_user_sgpr_queue_ptr 0
		.amdhsa_user_sgpr_kernarg_segment_ptr 1
		.amdhsa_user_sgpr_dispatch_id 0
		.amdhsa_user_sgpr_kernarg_preload_length 0
		.amdhsa_user_sgpr_kernarg_preload_offset 0
		.amdhsa_user_sgpr_private_segment_size 0
		.amdhsa_wavefront_size32 1
		.amdhsa_uses_dynamic_stack 0
		.amdhsa_enable_private_segment 0
		.amdhsa_system_sgpr_workgroup_id_x 1
		.amdhsa_system_sgpr_workgroup_id_y 0
		.amdhsa_system_sgpr_workgroup_id_z 0
		.amdhsa_system_sgpr_workgroup_info 0
		.amdhsa_system_vgpr_workitem_id 0
		.amdhsa_next_free_vgpr 32
		.amdhsa_next_free_sgpr 18
		.amdhsa_named_barrier_count 0
		.amdhsa_reserve_vcc 1
		.amdhsa_float_round_mode_32 0
		.amdhsa_float_round_mode_16_64 0
		.amdhsa_float_denorm_mode_32 3
		.amdhsa_float_denorm_mode_16_64 3
		.amdhsa_fp16_overflow 0
		.amdhsa_memory_ordered 1
		.amdhsa_forward_progress 1
		.amdhsa_inst_pref_size 13
		.amdhsa_round_robin_scheduling 0
		.amdhsa_exception_fp_ieee_invalid_op 0
		.amdhsa_exception_fp_denorm_src 0
		.amdhsa_exception_fp_ieee_div_zero 0
		.amdhsa_exception_fp_ieee_overflow 0
		.amdhsa_exception_fp_ieee_underflow 0
		.amdhsa_exception_fp_ieee_inexact 0
		.amdhsa_exception_int_div_zero 0
	.end_amdhsa_kernel
	.section	.text._ZN9rocsparseL19gebsrmvn_2xn_kernelILj128ELj5ELj32EfEEvi20rocsparse_direction_NS_24const_host_device_scalarIT2_EEPKiS6_PKS3_S8_S4_PS3_21rocsparse_index_base_b,"axG",@progbits,_ZN9rocsparseL19gebsrmvn_2xn_kernelILj128ELj5ELj32EfEEvi20rocsparse_direction_NS_24const_host_device_scalarIT2_EEPKiS6_PKS3_S8_S4_PS3_21rocsparse_index_base_b,comdat
.Lfunc_end18:
	.size	_ZN9rocsparseL19gebsrmvn_2xn_kernelILj128ELj5ELj32EfEEvi20rocsparse_direction_NS_24const_host_device_scalarIT2_EEPKiS6_PKS3_S8_S4_PS3_21rocsparse_index_base_b, .Lfunc_end18-_ZN9rocsparseL19gebsrmvn_2xn_kernelILj128ELj5ELj32EfEEvi20rocsparse_direction_NS_24const_host_device_scalarIT2_EEPKiS6_PKS3_S8_S4_PS3_21rocsparse_index_base_b
                                        ; -- End function
	.set _ZN9rocsparseL19gebsrmvn_2xn_kernelILj128ELj5ELj32EfEEvi20rocsparse_direction_NS_24const_host_device_scalarIT2_EEPKiS6_PKS3_S8_S4_PS3_21rocsparse_index_base_b.num_vgpr, 32
	.set _ZN9rocsparseL19gebsrmvn_2xn_kernelILj128ELj5ELj32EfEEvi20rocsparse_direction_NS_24const_host_device_scalarIT2_EEPKiS6_PKS3_S8_S4_PS3_21rocsparse_index_base_b.num_agpr, 0
	.set _ZN9rocsparseL19gebsrmvn_2xn_kernelILj128ELj5ELj32EfEEvi20rocsparse_direction_NS_24const_host_device_scalarIT2_EEPKiS6_PKS3_S8_S4_PS3_21rocsparse_index_base_b.numbered_sgpr, 18
	.set _ZN9rocsparseL19gebsrmvn_2xn_kernelILj128ELj5ELj32EfEEvi20rocsparse_direction_NS_24const_host_device_scalarIT2_EEPKiS6_PKS3_S8_S4_PS3_21rocsparse_index_base_b.num_named_barrier, 0
	.set _ZN9rocsparseL19gebsrmvn_2xn_kernelILj128ELj5ELj32EfEEvi20rocsparse_direction_NS_24const_host_device_scalarIT2_EEPKiS6_PKS3_S8_S4_PS3_21rocsparse_index_base_b.private_seg_size, 0
	.set _ZN9rocsparseL19gebsrmvn_2xn_kernelILj128ELj5ELj32EfEEvi20rocsparse_direction_NS_24const_host_device_scalarIT2_EEPKiS6_PKS3_S8_S4_PS3_21rocsparse_index_base_b.uses_vcc, 1
	.set _ZN9rocsparseL19gebsrmvn_2xn_kernelILj128ELj5ELj32EfEEvi20rocsparse_direction_NS_24const_host_device_scalarIT2_EEPKiS6_PKS3_S8_S4_PS3_21rocsparse_index_base_b.uses_flat_scratch, 0
	.set _ZN9rocsparseL19gebsrmvn_2xn_kernelILj128ELj5ELj32EfEEvi20rocsparse_direction_NS_24const_host_device_scalarIT2_EEPKiS6_PKS3_S8_S4_PS3_21rocsparse_index_base_b.has_dyn_sized_stack, 0
	.set _ZN9rocsparseL19gebsrmvn_2xn_kernelILj128ELj5ELj32EfEEvi20rocsparse_direction_NS_24const_host_device_scalarIT2_EEPKiS6_PKS3_S8_S4_PS3_21rocsparse_index_base_b.has_recursion, 0
	.set _ZN9rocsparseL19gebsrmvn_2xn_kernelILj128ELj5ELj32EfEEvi20rocsparse_direction_NS_24const_host_device_scalarIT2_EEPKiS6_PKS3_S8_S4_PS3_21rocsparse_index_base_b.has_indirect_call, 0
	.section	.AMDGPU.csdata,"",@progbits
; Kernel info:
; codeLenInByte = 1592
; TotalNumSgprs: 20
; NumVgprs: 32
; ScratchSize: 0
; MemoryBound: 0
; FloatMode: 240
; IeeeMode: 1
; LDSByteSize: 0 bytes/workgroup (compile time only)
; SGPRBlocks: 0
; VGPRBlocks: 1
; NumSGPRsForWavesPerEU: 20
; NumVGPRsForWavesPerEU: 32
; NamedBarCnt: 0
; Occupancy: 16
; WaveLimiterHint : 1
; COMPUTE_PGM_RSRC2:SCRATCH_EN: 0
; COMPUTE_PGM_RSRC2:USER_SGPR: 2
; COMPUTE_PGM_RSRC2:TRAP_HANDLER: 0
; COMPUTE_PGM_RSRC2:TGID_X_EN: 1
; COMPUTE_PGM_RSRC2:TGID_Y_EN: 0
; COMPUTE_PGM_RSRC2:TGID_Z_EN: 0
; COMPUTE_PGM_RSRC2:TIDIG_COMP_CNT: 0
	.section	.text._ZN9rocsparseL19gebsrmvn_2xn_kernelILj128ELj5ELj64EfEEvi20rocsparse_direction_NS_24const_host_device_scalarIT2_EEPKiS6_PKS3_S8_S4_PS3_21rocsparse_index_base_b,"axG",@progbits,_ZN9rocsparseL19gebsrmvn_2xn_kernelILj128ELj5ELj64EfEEvi20rocsparse_direction_NS_24const_host_device_scalarIT2_EEPKiS6_PKS3_S8_S4_PS3_21rocsparse_index_base_b,comdat
	.globl	_ZN9rocsparseL19gebsrmvn_2xn_kernelILj128ELj5ELj64EfEEvi20rocsparse_direction_NS_24const_host_device_scalarIT2_EEPKiS6_PKS3_S8_S4_PS3_21rocsparse_index_base_b ; -- Begin function _ZN9rocsparseL19gebsrmvn_2xn_kernelILj128ELj5ELj64EfEEvi20rocsparse_direction_NS_24const_host_device_scalarIT2_EEPKiS6_PKS3_S8_S4_PS3_21rocsparse_index_base_b
	.p2align	8
	.type	_ZN9rocsparseL19gebsrmvn_2xn_kernelILj128ELj5ELj64EfEEvi20rocsparse_direction_NS_24const_host_device_scalarIT2_EEPKiS6_PKS3_S8_S4_PS3_21rocsparse_index_base_b,@function
_ZN9rocsparseL19gebsrmvn_2xn_kernelILj128ELj5ELj64EfEEvi20rocsparse_direction_NS_24const_host_device_scalarIT2_EEPKiS6_PKS3_S8_S4_PS3_21rocsparse_index_base_b: ; @_ZN9rocsparseL19gebsrmvn_2xn_kernelILj128ELj5ELj64EfEEvi20rocsparse_direction_NS_24const_host_device_scalarIT2_EEPKiS6_PKS3_S8_S4_PS3_21rocsparse_index_base_b
; %bb.0:
	s_clause 0x2
	s_load_b64 s[16:17], s[0:1], 0x40
	s_load_b64 s[14:15], s[0:1], 0x8
	;; [unrolled: 1-line block ×3, first 2 shown]
	s_wait_kmcnt 0x0
	s_bitcmp1_b32 s17, 0
	s_cselect_b32 s2, -1, 0
	s_delay_alu instid0(SALU_CYCLE_1)
	s_and_b32 vcc_lo, exec_lo, s2
	s_xor_b32 s2, s2, -1
	s_cbranch_vccnz .LBB19_2
; %bb.1:
	s_load_b32 s14, s[14:15], 0x0
.LBB19_2:
	s_and_not1_b32 vcc_lo, exec_lo, s2
	s_cbranch_vccnz .LBB19_4
; %bb.3:
	s_load_b32 s12, s[12:13], 0x0
.LBB19_4:
	s_wait_kmcnt 0x0
	s_cmp_eq_f32 s14, 0
	s_cselect_b32 s2, -1, 0
	s_cmp_eq_f32 s12, 1.0
	s_cselect_b32 s3, -1, 0
	s_delay_alu instid0(SALU_CYCLE_1) | instskip(NEXT) | instid1(SALU_CYCLE_1)
	s_and_b32 s2, s2, s3
	s_and_b32 vcc_lo, exec_lo, s2
	s_cbranch_vccnz .LBB19_23
; %bb.5:
	s_load_b64 s[2:3], s[0:1], 0x0
	s_bfe_u32 s4, ttmp6, 0x4000c
	s_and_b32 s5, ttmp6, 15
	s_add_co_i32 s4, s4, 1
	s_getreg_b32 s6, hwreg(HW_REG_IB_STS2, 6, 4)
	s_mul_i32 s4, ttmp9, s4
	v_lshrrev_b32_e32 v1, 6, v0
	s_add_co_i32 s5, s5, s4
	s_cmp_eq_u32 s6, 0
	s_cselect_b32 s4, ttmp9, s5
	s_delay_alu instid0(VALU_DEP_1) | instid1(SALU_CYCLE_1)
	v_lshl_or_b32 v2, s4, 1, v1
	s_wait_kmcnt 0x0
	s_delay_alu instid0(VALU_DEP_1)
	v_cmp_gt_i32_e32 vcc_lo, s2, v2
	s_and_saveexec_b32 s2, vcc_lo
	s_cbranch_execz .LBB19_23
; %bb.6:
	s_load_b256 s[4:11], s[0:1], 0x10
	v_ashrrev_i32_e32 v3, 31, v2
	s_cmp_lg_u32 s3, 0
	s_wait_kmcnt 0x0
	s_delay_alu instid0(VALU_DEP_1)
	v_lshl_add_u64 v[4:5], v[2:3], 2, s[4:5]
	v_and_b32_e32 v3, 63, v0
	global_load_b64 v[4:5], v[4:5], off
	s_wait_loadcnt 0x0
	v_subrev_nc_u32_e32 v0, s16, v4
	v_subrev_nc_u32_e32 v8, s16, v5
	s_delay_alu instid0(VALU_DEP_2) | instskip(NEXT) | instid1(VALU_DEP_1)
	v_add_nc_u32_e32 v9, v0, v3
	v_cmp_lt_i32_e64 s2, v9, v8
	s_cbranch_scc0 .LBB19_12
; %bb.7:
	v_mov_b32_e32 v1, 0
	s_delay_alu instid0(VALU_DEP_1)
	v_mov_b32_e32 v0, v1
	s_and_saveexec_b32 s3, s2
	s_cbranch_execz .LBB19_11
; %bb.8:
	v_mad_u32 v4, v9, 10, 8
	v_dual_mov_b32 v7, 0 :: v_dual_mov_b32 v10, v9
	s_mov_b32 s4, 0
	s_delay_alu instid0(VALU_DEP_1)
	v_dual_mov_b32 v0, v7 :: v_dual_mov_b32 v1, v7
.LBB19_9:                               ; =>This Inner Loop Header: Depth=1
	global_load_b32 v5, v10, s[6:7] scale_offset
	s_wait_xcnt 0x0
	v_add_nc_u32_e32 v10, 64, v10
	s_delay_alu instid0(VALU_DEP_1) | instskip(SKIP_3) | instid1(VALU_DEP_1)
	v_cmp_ge_i32_e32 vcc_lo, v10, v8
	s_or_b32 s4, vcc_lo, s4
	s_wait_loadcnt 0x0
	v_subrev_nc_u32_e32 v5, s16, v5
	v_lshl_add_u32 v11, v5, 2, v5
	s_delay_alu instid0(VALU_DEP_1) | instskip(NEXT) | instid1(VALU_DEP_1)
	v_dual_add_nc_u32 v6, -8, v4 :: v_dual_add_nc_u32 v5, 1, v11
	v_lshl_add_u64 v[12:13], v[6:7], 2, s[8:9]
	v_dual_add_nc_u32 v6, -6, v4 :: v_dual_add_nc_u32 v19, 2, v11
	global_load_b64 v[16:17], v[12:13], off
	global_load_b32 v18, v11, s[10:11] scale_offset
	v_lshl_add_u64 v[14:15], v[6:7], 2, s[8:9]
	v_add_nc_u32_e32 v6, -4, v4
	global_load_b32 v20, v5, s[10:11] scale_offset
	v_add_nc_u32_e32 v21, 3, v11
	global_load_b64 v[12:13], v[14:15], off
	s_wait_xcnt 0x0
	v_lshl_add_u64 v[14:15], v[6:7], 2, s[8:9]
	v_add_nc_u32_e32 v6, -2, v4
	global_load_b64 v[14:15], v[14:15], off
	v_lshl_add_u64 v[22:23], v[6:7], 2, s[8:9]
	global_load_b32 v6, v19, s[10:11] scale_offset
	v_mov_b32_e32 v5, v7
	global_load_b64 v[22:23], v[22:23], off
	v_lshl_add_u64 v[24:25], v[4:5], 2, s[8:9]
	v_add_nc_u32_e32 v5, 4, v11
	global_load_b32 v26, v21, s[10:11] scale_offset
	global_load_b64 v[28:29], v[24:25], off
	global_load_b32 v30, v5, s[10:11] scale_offset
	v_add_nc_u32_e32 v4, 0x280, v4
	s_wait_loadcnt 0x8
	v_pk_fma_f32 v[0:1], v[16:17], v[18:19], v[0:1] op_sel_hi:[1,0,1]
	s_wait_loadcnt 0x6
	s_delay_alu instid0(VALU_DEP_1) | instskip(SKIP_1) | instid1(VALU_DEP_1)
	v_pk_fma_f32 v[0:1], v[12:13], v[20:21], v[0:1] op_sel_hi:[1,0,1]
	s_wait_loadcnt 0x4
	v_pk_fma_f32 v[0:1], v[14:15], v[6:7], v[0:1] op_sel_hi:[1,0,1]
	s_wait_loadcnt 0x2
	s_delay_alu instid0(VALU_DEP_1) | instskip(SKIP_1) | instid1(VALU_DEP_1)
	v_pk_fma_f32 v[0:1], v[22:23], v[26:27], v[0:1] op_sel_hi:[1,0,1]
	s_wait_loadcnt 0x0
	v_pk_fma_f32 v[0:1], v[28:29], v[30:31], v[0:1] op_sel_hi:[1,0,1]
	s_and_not1_b32 exec_lo, exec_lo, s4
	s_cbranch_execnz .LBB19_9
; %bb.10:
	s_or_b32 exec_lo, exec_lo, s4
.LBB19_11:
	s_delay_alu instid0(SALU_CYCLE_1)
	s_or_b32 exec_lo, exec_lo, s3
	s_cbranch_execz .LBB19_13
	s_branch .LBB19_18
.LBB19_12:
                                        ; implicit-def: $vgpr1
.LBB19_13:
	v_mov_b32_e32 v1, 0
	s_delay_alu instid0(VALU_DEP_1)
	v_mov_b32_e32 v0, v1
	s_and_saveexec_b32 s3, s2
	s_cbranch_execz .LBB19_17
; %bb.14:
	v_mad_u32 v6, v9, 10, 9
	v_mov_b32_e32 v5, 0
	s_mov_b32 s2, 0
	s_delay_alu instid0(VALU_DEP_1)
	v_dual_mov_b32 v0, v5 :: v_dual_mov_b32 v1, v5
.LBB19_15:                              ; =>This Inner Loop Header: Depth=1
	global_load_b32 v7, v9, s[6:7] scale_offset
	v_dual_add_nc_u32 v4, -9, v6 :: v_dual_add_nc_u32 v14, -3, v6
	s_wait_xcnt 0x0
	v_dual_add_nc_u32 v17, -7, v6 :: v_dual_add_nc_u32 v9, 64, v9
	v_add_nc_u32_e32 v20, -2, v6
	s_delay_alu instid0(VALU_DEP_3) | instskip(NEXT) | instid1(VALU_DEP_3)
	v_lshl_add_u64 v[10:11], v[4:5], 2, s[8:9]
	v_cmp_ge_i32_e32 vcc_lo, v9, v8
	global_load_b64 v[10:11], v[10:11], off
	s_or_b32 s2, vcc_lo, s2
	s_wait_loadcnt 0x1
	v_subrev_nc_u32_e32 v4, s16, v7
	v_add_nc_u32_e32 v7, -4, v6
	s_delay_alu instid0(VALU_DEP_2)
	v_lshl_add_u32 v12, v4, 2, v4
	global_load_b32 v13, v7, s[8:9] scale_offset
	global_load_b32 v4, v12, s[10:11] scale_offset
	s_wait_xcnt 0x1
	v_dual_add_nc_u32 v7, 1, v12 :: v_dual_add_nc_u32 v21, -6, v6
	global_load_b32 v15, v14, s[8:9] scale_offset
	s_wait_xcnt 0x0
	v_add_nc_u32_e32 v14, 2, v12
	global_load_b32 v16, v7, s[10:11] scale_offset
	s_clause 0x1
	global_load_b32 v18, v17, s[8:9] scale_offset
	global_load_b32 v19, v20, s[8:9] scale_offset
	s_wait_xcnt 0x1
	v_dual_add_nc_u32 v7, -1, v6 :: v_dual_add_nc_u32 v17, 3, v12
	global_load_b32 v20, v14, s[10:11] scale_offset
	s_wait_xcnt 0x0
	v_add_nc_u32_e32 v14, -5, v6
	s_clause 0x1
	global_load_b32 v22, v21, s[8:9] scale_offset
	global_load_b32 v23, v7, s[8:9] scale_offset
	s_wait_xcnt 0x0
	v_add_nc_u32_e32 v7, 4, v12
	global_load_b32 v24, v17, s[10:11] scale_offset
	s_clause 0x1
	global_load_b32 v27, v6, s[8:9] scale_offset
	global_load_b32 v26, v14, s[8:9] scale_offset
	;; [unrolled: 1-line block ×3, first 2 shown]
	s_wait_loadcnt 0xd
	s_wait_xcnt 0x1
	v_dual_mov_b32 v12, v10 :: v_dual_mov_b32 v14, v11
	v_add_nc_u32_e32 v6, 0x280, v6
	s_wait_loadcnt 0xb
	s_delay_alu instid0(VALU_DEP_2) | instskip(SKIP_1) | instid1(VALU_DEP_1)
	v_pk_fma_f32 v[0:1], v[12:13], v[4:5], v[0:1] op_sel_hi:[1,0,1]
	s_wait_loadcnt 0x9
	v_pk_fma_f32 v[0:1], v[14:15], v[16:17], v[0:1] op_sel_hi:[1,0,1]
	s_wait_loadcnt 0x6
	s_delay_alu instid0(VALU_DEP_1) | instskip(SKIP_1) | instid1(VALU_DEP_1)
	v_pk_fma_f32 v[0:1], v[18:19], v[20:21], v[0:1] op_sel_hi:[1,0,1]
	s_wait_loadcnt 0x3
	v_pk_fma_f32 v[0:1], v[22:23], v[24:25], v[0:1] op_sel_hi:[1,0,1]
	s_wait_loadcnt 0x0
	s_delay_alu instid0(VALU_DEP_1)
	v_pk_fma_f32 v[0:1], v[26:27], v[28:29], v[0:1] op_sel_hi:[1,0,1]
	s_and_not1_b32 exec_lo, exec_lo, s2
	s_cbranch_execnz .LBB19_15
; %bb.16:
	s_or_b32 exec_lo, exec_lo, s2
.LBB19_17:
	s_delay_alu instid0(SALU_CYCLE_1)
	s_or_b32 exec_lo, exec_lo, s3
.LBB19_18:
	v_mbcnt_lo_u32_b32 v6, -1, 0
	s_mov_b32 s2, -1
	s_delay_alu instid0(VALU_DEP_1) | instskip(SKIP_1) | instid1(VALU_DEP_1)
	v_xor_b32_e32 v7, 16, v6
	v_or_b32_e32 v4, 32, v6
	v_cmp_gt_i32_e32 vcc_lo, 32, v4
	v_cndmask_b32_e32 v4, v6, v4, vcc_lo
	s_delay_alu instid0(VALU_DEP_4) | instskip(SKIP_1) | instid1(VALU_DEP_1)
	v_cmp_gt_i32_e32 vcc_lo, 32, v7
	v_cndmask_b32_e32 v7, v6, v7, vcc_lo
	v_dual_lshlrev_b32 v7, 2, v7 :: v_dual_lshlrev_b32 v5, 2, v4
	ds_bpermute_b32 v4, v5, v0
	ds_bpermute_b32 v5, v5, v1
	s_wait_dscnt 0x0
	v_pk_add_f32 v[0:1], v[0:1], v[4:5]
	ds_bpermute_b32 v4, v7, v0
	ds_bpermute_b32 v5, v7, v1
	v_xor_b32_e32 v7, 8, v6
	s_delay_alu instid0(VALU_DEP_1) | instskip(SKIP_1) | instid1(VALU_DEP_1)
	v_cmp_gt_i32_e32 vcc_lo, 32, v7
	v_cndmask_b32_e32 v7, v6, v7, vcc_lo
	v_lshlrev_b32_e32 v7, 2, v7
	s_wait_dscnt 0x0
	v_pk_add_f32 v[0:1], v[0:1], v[4:5]
	ds_bpermute_b32 v4, v7, v0
	ds_bpermute_b32 v5, v7, v1
	v_xor_b32_e32 v7, 4, v6
	s_delay_alu instid0(VALU_DEP_1) | instskip(SKIP_1) | instid1(VALU_DEP_1)
	v_cmp_gt_i32_e32 vcc_lo, 32, v7
	v_cndmask_b32_e32 v7, v6, v7, vcc_lo
	v_lshlrev_b32_e32 v7, 2, v7
	;; [unrolled: 9-line block ×3, first 2 shown]
	s_wait_dscnt 0x0
	v_pk_add_f32 v[0:1], v[0:1], v[4:5]
	ds_bpermute_b32 v4, v7, v0
	ds_bpermute_b32 v5, v7, v1
	v_xor_b32_e32 v7, 1, v6
	s_delay_alu instid0(VALU_DEP_1) | instskip(SKIP_2) | instid1(VALU_DEP_2)
	v_cmp_gt_i32_e32 vcc_lo, 32, v7
	v_cndmask_b32_e32 v6, v6, v7, vcc_lo
	v_cmp_eq_u32_e32 vcc_lo, 63, v3
	v_lshlrev_b32_e32 v6, 2, v6
	s_wait_dscnt 0x0
	v_pk_add_f32 v[0:1], v[0:1], v[4:5]
	ds_bpermute_b32 v4, v6, v0
	ds_bpermute_b32 v5, v6, v1
	s_and_b32 exec_lo, exec_lo, vcc_lo
	s_cbranch_execz .LBB19_23
; %bb.19:
	s_load_b64 s[0:1], s[0:1], 0x38
	s_wait_dscnt 0x0
	v_pk_add_f32 v[0:1], v[0:1], v[4:5]
	v_lshlrev_b32_e32 v2, 1, v2
	s_cmp_eq_f32 s12, 0
	s_cbranch_scc0 .LBB19_21
; %bb.20:
	s_delay_alu instid0(VALU_DEP_1) | instskip(SKIP_3) | instid1(VALU_DEP_2)
	v_ashrrev_i32_e32 v3, 31, v2
	v_pk_mul_f32 v[6:7], s[14:15], v[0:1] op_sel_hi:[0,1]
	s_mov_b32 s2, 0
	s_wait_kmcnt 0x0
	v_lshl_add_u64 v[4:5], v[2:3], 2, s[0:1]
	global_store_b64 v[4:5], v[6:7], off
.LBB19_21:
	s_and_not1_b32 vcc_lo, exec_lo, s2
	s_cbranch_vccnz .LBB19_23
; %bb.22:
	v_ashrrev_i32_e32 v3, 31, v2
	v_pk_mul_f32 v[0:1], s[14:15], v[0:1] op_sel_hi:[0,1]
	s_wait_kmcnt 0x0
	s_delay_alu instid0(VALU_DEP_2)
	v_lshl_add_u64 v[2:3], v[2:3], 2, s[0:1]
	global_load_b64 v[4:5], v[2:3], off
	s_wait_loadcnt 0x0
	v_pk_fma_f32 v[0:1], s[12:13], v[4:5], v[0:1] op_sel_hi:[0,1,1]
	global_store_b64 v[2:3], v[0:1], off
.LBB19_23:
	s_endpgm
	.section	.rodata,"a",@progbits
	.p2align	6, 0x0
	.amdhsa_kernel _ZN9rocsparseL19gebsrmvn_2xn_kernelILj128ELj5ELj64EfEEvi20rocsparse_direction_NS_24const_host_device_scalarIT2_EEPKiS6_PKS3_S8_S4_PS3_21rocsparse_index_base_b
		.amdhsa_group_segment_fixed_size 0
		.amdhsa_private_segment_fixed_size 0
		.amdhsa_kernarg_size 72
		.amdhsa_user_sgpr_count 2
		.amdhsa_user_sgpr_dispatch_ptr 0
		.amdhsa_user_sgpr_queue_ptr 0
		.amdhsa_user_sgpr_kernarg_segment_ptr 1
		.amdhsa_user_sgpr_dispatch_id 0
		.amdhsa_user_sgpr_kernarg_preload_length 0
		.amdhsa_user_sgpr_kernarg_preload_offset 0
		.amdhsa_user_sgpr_private_segment_size 0
		.amdhsa_wavefront_size32 1
		.amdhsa_uses_dynamic_stack 0
		.amdhsa_enable_private_segment 0
		.amdhsa_system_sgpr_workgroup_id_x 1
		.amdhsa_system_sgpr_workgroup_id_y 0
		.amdhsa_system_sgpr_workgroup_id_z 0
		.amdhsa_system_sgpr_workgroup_info 0
		.amdhsa_system_vgpr_workitem_id 0
		.amdhsa_next_free_vgpr 32
		.amdhsa_next_free_sgpr 18
		.amdhsa_named_barrier_count 0
		.amdhsa_reserve_vcc 1
		.amdhsa_float_round_mode_32 0
		.amdhsa_float_round_mode_16_64 0
		.amdhsa_float_denorm_mode_32 3
		.amdhsa_float_denorm_mode_16_64 3
		.amdhsa_fp16_overflow 0
		.amdhsa_memory_ordered 1
		.amdhsa_forward_progress 1
		.amdhsa_inst_pref_size 13
		.amdhsa_round_robin_scheduling 0
		.amdhsa_exception_fp_ieee_invalid_op 0
		.amdhsa_exception_fp_denorm_src 0
		.amdhsa_exception_fp_ieee_div_zero 0
		.amdhsa_exception_fp_ieee_overflow 0
		.amdhsa_exception_fp_ieee_underflow 0
		.amdhsa_exception_fp_ieee_inexact 0
		.amdhsa_exception_int_div_zero 0
	.end_amdhsa_kernel
	.section	.text._ZN9rocsparseL19gebsrmvn_2xn_kernelILj128ELj5ELj64EfEEvi20rocsparse_direction_NS_24const_host_device_scalarIT2_EEPKiS6_PKS3_S8_S4_PS3_21rocsparse_index_base_b,"axG",@progbits,_ZN9rocsparseL19gebsrmvn_2xn_kernelILj128ELj5ELj64EfEEvi20rocsparse_direction_NS_24const_host_device_scalarIT2_EEPKiS6_PKS3_S8_S4_PS3_21rocsparse_index_base_b,comdat
.Lfunc_end19:
	.size	_ZN9rocsparseL19gebsrmvn_2xn_kernelILj128ELj5ELj64EfEEvi20rocsparse_direction_NS_24const_host_device_scalarIT2_EEPKiS6_PKS3_S8_S4_PS3_21rocsparse_index_base_b, .Lfunc_end19-_ZN9rocsparseL19gebsrmvn_2xn_kernelILj128ELj5ELj64EfEEvi20rocsparse_direction_NS_24const_host_device_scalarIT2_EEPKiS6_PKS3_S8_S4_PS3_21rocsparse_index_base_b
                                        ; -- End function
	.set _ZN9rocsparseL19gebsrmvn_2xn_kernelILj128ELj5ELj64EfEEvi20rocsparse_direction_NS_24const_host_device_scalarIT2_EEPKiS6_PKS3_S8_S4_PS3_21rocsparse_index_base_b.num_vgpr, 32
	.set _ZN9rocsparseL19gebsrmvn_2xn_kernelILj128ELj5ELj64EfEEvi20rocsparse_direction_NS_24const_host_device_scalarIT2_EEPKiS6_PKS3_S8_S4_PS3_21rocsparse_index_base_b.num_agpr, 0
	.set _ZN9rocsparseL19gebsrmvn_2xn_kernelILj128ELj5ELj64EfEEvi20rocsparse_direction_NS_24const_host_device_scalarIT2_EEPKiS6_PKS3_S8_S4_PS3_21rocsparse_index_base_b.numbered_sgpr, 18
	.set _ZN9rocsparseL19gebsrmvn_2xn_kernelILj128ELj5ELj64EfEEvi20rocsparse_direction_NS_24const_host_device_scalarIT2_EEPKiS6_PKS3_S8_S4_PS3_21rocsparse_index_base_b.num_named_barrier, 0
	.set _ZN9rocsparseL19gebsrmvn_2xn_kernelILj128ELj5ELj64EfEEvi20rocsparse_direction_NS_24const_host_device_scalarIT2_EEPKiS6_PKS3_S8_S4_PS3_21rocsparse_index_base_b.private_seg_size, 0
	.set _ZN9rocsparseL19gebsrmvn_2xn_kernelILj128ELj5ELj64EfEEvi20rocsparse_direction_NS_24const_host_device_scalarIT2_EEPKiS6_PKS3_S8_S4_PS3_21rocsparse_index_base_b.uses_vcc, 1
	.set _ZN9rocsparseL19gebsrmvn_2xn_kernelILj128ELj5ELj64EfEEvi20rocsparse_direction_NS_24const_host_device_scalarIT2_EEPKiS6_PKS3_S8_S4_PS3_21rocsparse_index_base_b.uses_flat_scratch, 0
	.set _ZN9rocsparseL19gebsrmvn_2xn_kernelILj128ELj5ELj64EfEEvi20rocsparse_direction_NS_24const_host_device_scalarIT2_EEPKiS6_PKS3_S8_S4_PS3_21rocsparse_index_base_b.has_dyn_sized_stack, 0
	.set _ZN9rocsparseL19gebsrmvn_2xn_kernelILj128ELj5ELj64EfEEvi20rocsparse_direction_NS_24const_host_device_scalarIT2_EEPKiS6_PKS3_S8_S4_PS3_21rocsparse_index_base_b.has_recursion, 0
	.set _ZN9rocsparseL19gebsrmvn_2xn_kernelILj128ELj5ELj64EfEEvi20rocsparse_direction_NS_24const_host_device_scalarIT2_EEPKiS6_PKS3_S8_S4_PS3_21rocsparse_index_base_b.has_indirect_call, 0
	.section	.AMDGPU.csdata,"",@progbits
; Kernel info:
; codeLenInByte = 1640
; TotalNumSgprs: 20
; NumVgprs: 32
; ScratchSize: 0
; MemoryBound: 0
; FloatMode: 240
; IeeeMode: 1
; LDSByteSize: 0 bytes/workgroup (compile time only)
; SGPRBlocks: 0
; VGPRBlocks: 1
; NumSGPRsForWavesPerEU: 20
; NumVGPRsForWavesPerEU: 32
; NamedBarCnt: 0
; Occupancy: 16
; WaveLimiterHint : 1
; COMPUTE_PGM_RSRC2:SCRATCH_EN: 0
; COMPUTE_PGM_RSRC2:USER_SGPR: 2
; COMPUTE_PGM_RSRC2:TRAP_HANDLER: 0
; COMPUTE_PGM_RSRC2:TGID_X_EN: 1
; COMPUTE_PGM_RSRC2:TGID_Y_EN: 0
; COMPUTE_PGM_RSRC2:TGID_Z_EN: 0
; COMPUTE_PGM_RSRC2:TIDIG_COMP_CNT: 0
	.section	.text._ZN9rocsparseL19gebsrmvn_2xn_kernelILj128ELj6ELj4EfEEvi20rocsparse_direction_NS_24const_host_device_scalarIT2_EEPKiS6_PKS3_S8_S4_PS3_21rocsparse_index_base_b,"axG",@progbits,_ZN9rocsparseL19gebsrmvn_2xn_kernelILj128ELj6ELj4EfEEvi20rocsparse_direction_NS_24const_host_device_scalarIT2_EEPKiS6_PKS3_S8_S4_PS3_21rocsparse_index_base_b,comdat
	.globl	_ZN9rocsparseL19gebsrmvn_2xn_kernelILj128ELj6ELj4EfEEvi20rocsparse_direction_NS_24const_host_device_scalarIT2_EEPKiS6_PKS3_S8_S4_PS3_21rocsparse_index_base_b ; -- Begin function _ZN9rocsparseL19gebsrmvn_2xn_kernelILj128ELj6ELj4EfEEvi20rocsparse_direction_NS_24const_host_device_scalarIT2_EEPKiS6_PKS3_S8_S4_PS3_21rocsparse_index_base_b
	.p2align	8
	.type	_ZN9rocsparseL19gebsrmvn_2xn_kernelILj128ELj6ELj4EfEEvi20rocsparse_direction_NS_24const_host_device_scalarIT2_EEPKiS6_PKS3_S8_S4_PS3_21rocsparse_index_base_b,@function
_ZN9rocsparseL19gebsrmvn_2xn_kernelILj128ELj6ELj4EfEEvi20rocsparse_direction_NS_24const_host_device_scalarIT2_EEPKiS6_PKS3_S8_S4_PS3_21rocsparse_index_base_b: ; @_ZN9rocsparseL19gebsrmvn_2xn_kernelILj128ELj6ELj4EfEEvi20rocsparse_direction_NS_24const_host_device_scalarIT2_EEPKiS6_PKS3_S8_S4_PS3_21rocsparse_index_base_b
; %bb.0:
	s_clause 0x2
	s_load_b64 s[16:17], s[0:1], 0x40
	s_load_b64 s[14:15], s[0:1], 0x8
	;; [unrolled: 1-line block ×3, first 2 shown]
	s_wait_kmcnt 0x0
	s_bitcmp1_b32 s17, 0
	s_cselect_b32 s2, -1, 0
	s_delay_alu instid0(SALU_CYCLE_1)
	s_and_b32 vcc_lo, exec_lo, s2
	s_xor_b32 s2, s2, -1
	s_cbranch_vccnz .LBB20_2
; %bb.1:
	s_load_b32 s14, s[14:15], 0x0
.LBB20_2:
	s_and_not1_b32 vcc_lo, exec_lo, s2
	s_cbranch_vccnz .LBB20_4
; %bb.3:
	s_load_b32 s12, s[12:13], 0x0
.LBB20_4:
	s_wait_kmcnt 0x0
	s_cmp_eq_f32 s14, 0
	s_cselect_b32 s2, -1, 0
	s_cmp_eq_f32 s12, 1.0
	s_cselect_b32 s3, -1, 0
	s_delay_alu instid0(SALU_CYCLE_1) | instskip(NEXT) | instid1(SALU_CYCLE_1)
	s_and_b32 s2, s2, s3
	s_and_b32 vcc_lo, exec_lo, s2
	s_cbranch_vccnz .LBB20_23
; %bb.5:
	s_load_b64 s[2:3], s[0:1], 0x0
	s_bfe_u32 s4, ttmp6, 0x4000c
	s_and_b32 s5, ttmp6, 15
	s_add_co_i32 s4, s4, 1
	s_getreg_b32 s6, hwreg(HW_REG_IB_STS2, 6, 4)
	s_mul_i32 s4, ttmp9, s4
	v_lshrrev_b32_e32 v1, 2, v0
	s_add_co_i32 s5, s5, s4
	s_cmp_eq_u32 s6, 0
	s_cselect_b32 s4, ttmp9, s5
	s_delay_alu instid0(VALU_DEP_1) | instid1(SALU_CYCLE_1)
	v_lshl_or_b32 v2, s4, 5, v1
	s_wait_kmcnt 0x0
	s_delay_alu instid0(VALU_DEP_1)
	v_cmp_gt_i32_e32 vcc_lo, s2, v2
	s_and_saveexec_b32 s2, vcc_lo
	s_cbranch_execz .LBB20_23
; %bb.6:
	s_load_b256 s[4:11], s[0:1], 0x10
	v_ashrrev_i32_e32 v3, 31, v2
	s_cmp_lg_u32 s3, 0
	s_wait_kmcnt 0x0
	s_delay_alu instid0(VALU_DEP_1)
	v_lshl_add_u64 v[4:5], v[2:3], 2, s[4:5]
	v_and_b32_e32 v3, 3, v0
	global_load_b64 v[4:5], v[4:5], off
	s_wait_loadcnt 0x0
	v_subrev_nc_u32_e32 v0, s16, v4
	v_subrev_nc_u32_e32 v8, s16, v5
	s_delay_alu instid0(VALU_DEP_2) | instskip(NEXT) | instid1(VALU_DEP_1)
	v_add_nc_u32_e32 v9, v0, v3
	v_cmp_lt_i32_e64 s2, v9, v8
	s_cbranch_scc0 .LBB20_12
; %bb.7:
	v_mov_b32_e32 v1, 0
	s_delay_alu instid0(VALU_DEP_1)
	v_mov_b32_e32 v0, v1
	s_and_saveexec_b32 s3, s2
	s_cbranch_execz .LBB20_11
; %bb.8:
	v_mad_u32 v4, v9, 12, 10
	v_dual_mov_b32 v7, 0 :: v_dual_mov_b32 v10, v9
	s_mov_b32 s4, 0
	s_delay_alu instid0(VALU_DEP_1)
	v_dual_mov_b32 v0, v7 :: v_dual_mov_b32 v1, v7
.LBB20_9:                               ; =>This Inner Loop Header: Depth=1
	global_load_b32 v5, v10, s[6:7] scale_offset
	v_dual_mov_b32 v17, v7 :: v_dual_add_nc_u32 v6, -10, v4
	s_wait_xcnt 0x0
	v_add_nc_u32_e32 v10, 4, v10
	s_delay_alu instid0(VALU_DEP_2) | instskip(SKIP_1) | instid1(VALU_DEP_3)
	v_lshl_add_u64 v[12:13], v[6:7], 2, s[8:9]
	v_add_nc_u32_e32 v6, -6, v4
	v_cmp_ge_i32_e32 vcc_lo, v10, v8
	global_load_b128 v[12:15], v[12:13], off
	s_or_b32 s4, vcc_lo, s4
	s_wait_loadcnt 0x1
	v_subrev_nc_u32_e32 v5, s16, v5
	s_delay_alu instid0(VALU_DEP_1) | instskip(SKIP_2) | instid1(VALU_DEP_3)
	v_mul_lo_u32 v16, v5, 6
	v_mov_b32_e32 v5, v7
	v_lshl_add_u64 v[18:19], v[6:7], 2, s[8:9]
	v_lshl_add_u64 v[20:21], v[16:17], 2, s[10:11]
	v_add_nc_u32_e32 v6, 2, v16
	global_load_b64 v[20:21], v[20:21], off
	v_lshl_add_u64 v[22:23], v[6:7], 2, s[10:11]
	v_add_nc_u32_e32 v6, -4, v4
	global_load_b64 v[26:27], v[18:19], off
	global_load_b64 v[28:29], v[22:23], off
	v_lshl_add_u64 v[24:25], v[6:7], 2, s[8:9]
	v_add_nc_u32_e32 v6, -2, v4
	s_wait_xcnt 0x1
	s_delay_alu instid0(VALU_DEP_1)
	v_lshl_add_u64 v[18:19], v[6:7], 2, s[8:9]
	v_add_nc_u32_e32 v6, 4, v16
	global_load_b64 v[16:17], v[24:25], off
	s_wait_xcnt 0x0
	v_lshl_add_u64 v[24:25], v[4:5], 2, s[8:9]
	v_add_nc_u32_e32 v4, 48, v4
	v_lshl_add_u64 v[22:23], v[6:7], 2, s[10:11]
	global_load_b64 v[30:31], v[18:19], off
	global_load_b64 v[32:33], v[22:23], off
	;; [unrolled: 1-line block ×3, first 2 shown]
	s_wait_loadcnt 0x6
	v_pk_fma_f32 v[0:1], v[12:13], v[20:21], v[0:1] op_sel_hi:[1,0,1]
	s_delay_alu instid0(VALU_DEP_1) | instskip(SKIP_1) | instid1(VALU_DEP_1)
	v_pk_fma_f32 v[0:1], v[14:15], v[20:21], v[0:1] op_sel:[0,1,0]
	s_wait_loadcnt 0x4
	v_pk_fma_f32 v[0:1], v[26:27], v[28:29], v[0:1] op_sel_hi:[1,0,1]
	s_wait_loadcnt 0x3
	s_delay_alu instid0(VALU_DEP_1) | instskip(SKIP_1) | instid1(VALU_DEP_1)
	v_pk_fma_f32 v[0:1], v[16:17], v[28:29], v[0:1] op_sel:[0,1,0]
	s_wait_loadcnt 0x1
	v_pk_fma_f32 v[0:1], v[30:31], v[32:33], v[0:1] op_sel_hi:[1,0,1]
	s_wait_loadcnt 0x0
	s_delay_alu instid0(VALU_DEP_1)
	v_pk_fma_f32 v[0:1], v[34:35], v[32:33], v[0:1] op_sel:[0,1,0]
	s_and_not1_b32 exec_lo, exec_lo, s4
	s_cbranch_execnz .LBB20_9
; %bb.10:
	s_or_b32 exec_lo, exec_lo, s4
.LBB20_11:
	s_delay_alu instid0(SALU_CYCLE_1)
	s_or_b32 exec_lo, exec_lo, s3
	s_cbranch_execz .LBB20_13
	s_branch .LBB20_18
.LBB20_12:
                                        ; implicit-def: $vgpr1
.LBB20_13:
	v_mov_b32_e32 v1, 0
	s_delay_alu instid0(VALU_DEP_1)
	v_mov_b32_e32 v0, v1
	s_and_saveexec_b32 s3, s2
	s_cbranch_execz .LBB20_17
; %bb.14:
	v_mad_u32 v6, v9, 12, 11
	v_mov_b32_e32 v5, 0
	s_mov_b32 s2, 0
	s_delay_alu instid0(VALU_DEP_1)
	v_dual_mov_b32 v0, v5 :: v_dual_mov_b32 v1, v5
.LBB20_15:                              ; =>This Inner Loop Header: Depth=1
	global_load_b32 v4, v9, s[6:7] scale_offset
	v_dual_mov_b32 v15, v5 :: v_dual_add_nc_u32 v18, -3, v6
	s_wait_xcnt 0x0
	v_dual_add_nc_u32 v7, -4, v6 :: v_dual_add_nc_u32 v9, 4, v9
	global_load_b32 v23, v18, s[8:9] scale_offset
	s_wait_xcnt 0x0
	v_add_nc_u32_e32 v18, -1, v6
	global_load_b32 v19, v7, s[8:9] scale_offset
	s_wait_xcnt 0x0
	v_add_nc_u32_e32 v7, -2, v6
	v_cmp_ge_i32_e32 vcc_lo, v9, v8
	global_load_b32 v25, v7, s[8:9] scale_offset
	s_or_b32 s2, vcc_lo, s2
	s_wait_loadcnt 0x3
	v_subrev_nc_u32_e32 v4, s16, v4
	s_delay_alu instid0(VALU_DEP_1) | instskip(SKIP_1) | instid1(VALU_DEP_1)
	v_mul_lo_u32 v14, v4, 6
	v_add_nc_u32_e32 v4, -11, v6
	v_lshl_add_u64 v[10:11], v[4:5], 2, s[8:9]
	v_add_nc_u32_e32 v4, -5, v6
	global_load_b128 v[10:13], v[10:11], off
	v_lshl_add_u64 v[16:17], v[14:15], 2, s[10:11]
	global_load_b32 v15, v4, s[8:9] scale_offset
	s_wait_xcnt 0x0
	v_add_nc_u32_e32 v4, 2, v14
	global_load_b64 v[16:17], v[16:17], off
	v_lshl_add_u64 v[20:21], v[4:5], 2, s[10:11]
	v_add_nc_u32_e32 v4, 4, v14
	v_add_nc_u32_e32 v14, -7, v6
	global_load_b64 v[20:21], v[20:21], off
	v_lshl_add_u64 v[26:27], v[4:5], 2, s[10:11]
	s_wait_loadcnt 0x3
	v_dual_add_nc_u32 v4, -6, v6 :: v_dual_mov_b32 v22, v12
	s_clause 0x1
	global_load_b32 v28, v14, s[8:9] scale_offset
	global_load_b32 v29, v18, s[8:9] scale_offset
	global_load_b64 v[30:31], v[26:27], off
	s_clause 0x1
	global_load_b32 v32, v4, s[8:9] scale_offset
	global_load_b32 v33, v6, s[8:9] scale_offset
	s_wait_xcnt 0x3
	v_dual_mov_b32 v14, v10 :: v_dual_mov_b32 v18, v11
	s_wait_xcnt 0x0
	v_dual_mov_b32 v24, v13 :: v_dual_add_nc_u32 v6, 48, v6
	s_wait_loadcnt 0x6
	s_delay_alu instid0(VALU_DEP_2) | instskip(NEXT) | instid1(VALU_DEP_1)
	v_pk_fma_f32 v[0:1], v[14:15], v[16:17], v[0:1] op_sel_hi:[1,0,1]
	v_pk_fma_f32 v[0:1], v[18:19], v[16:17], v[0:1] op_sel:[0,1,0]
	s_wait_loadcnt 0x5
	s_delay_alu instid0(VALU_DEP_1) | instskip(NEXT) | instid1(VALU_DEP_1)
	v_pk_fma_f32 v[0:1], v[22:23], v[20:21], v[0:1] op_sel_hi:[1,0,1]
	v_pk_fma_f32 v[0:1], v[24:25], v[20:21], v[0:1] op_sel:[0,1,0]
	s_wait_loadcnt 0x2
	s_delay_alu instid0(VALU_DEP_1) | instskip(SKIP_1) | instid1(VALU_DEP_1)
	v_pk_fma_f32 v[0:1], v[28:29], v[30:31], v[0:1] op_sel_hi:[1,0,1]
	s_wait_loadcnt 0x0
	v_pk_fma_f32 v[0:1], v[32:33], v[30:31], v[0:1] op_sel:[0,1,0]
	s_and_not1_b32 exec_lo, exec_lo, s2
	s_cbranch_execnz .LBB20_15
; %bb.16:
	s_or_b32 exec_lo, exec_lo, s2
.LBB20_17:
	s_delay_alu instid0(SALU_CYCLE_1)
	s_or_b32 exec_lo, exec_lo, s3
.LBB20_18:
	v_mbcnt_lo_u32_b32 v6, -1, 0
	s_mov_b32 s2, -1
	s_delay_alu instid0(VALU_DEP_1) | instskip(SKIP_1) | instid1(VALU_DEP_1)
	v_xor_b32_e32 v7, 1, v6
	v_xor_b32_e32 v4, 2, v6
	v_cmp_gt_i32_e32 vcc_lo, 32, v4
	v_cndmask_b32_e32 v4, v6, v4, vcc_lo
	s_delay_alu instid0(VALU_DEP_4) | instskip(SKIP_2) | instid1(VALU_DEP_2)
	v_cmp_gt_i32_e32 vcc_lo, 32, v7
	v_cndmask_b32_e32 v6, v6, v7, vcc_lo
	v_cmp_eq_u32_e32 vcc_lo, 3, v3
	v_dual_lshlrev_b32 v6, 2, v6 :: v_dual_lshlrev_b32 v5, 2, v4
	ds_bpermute_b32 v4, v5, v0
	ds_bpermute_b32 v5, v5, v1
	s_wait_dscnt 0x0
	v_pk_add_f32 v[0:1], v[0:1], v[4:5]
	ds_bpermute_b32 v4, v6, v0
	ds_bpermute_b32 v5, v6, v1
	s_and_b32 exec_lo, exec_lo, vcc_lo
	s_cbranch_execz .LBB20_23
; %bb.19:
	s_load_b64 s[0:1], s[0:1], 0x38
	s_wait_dscnt 0x0
	v_pk_add_f32 v[0:1], v[0:1], v[4:5]
	v_lshlrev_b32_e32 v2, 1, v2
	s_cmp_eq_f32 s12, 0
	s_cbranch_scc0 .LBB20_21
; %bb.20:
	s_delay_alu instid0(VALU_DEP_1) | instskip(SKIP_3) | instid1(VALU_DEP_2)
	v_ashrrev_i32_e32 v3, 31, v2
	v_pk_mul_f32 v[6:7], s[14:15], v[0:1] op_sel_hi:[0,1]
	s_mov_b32 s2, 0
	s_wait_kmcnt 0x0
	v_lshl_add_u64 v[4:5], v[2:3], 2, s[0:1]
	global_store_b64 v[4:5], v[6:7], off
.LBB20_21:
	s_and_not1_b32 vcc_lo, exec_lo, s2
	s_cbranch_vccnz .LBB20_23
; %bb.22:
	v_ashrrev_i32_e32 v3, 31, v2
	v_pk_mul_f32 v[0:1], s[14:15], v[0:1] op_sel_hi:[0,1]
	s_wait_kmcnt 0x0
	s_delay_alu instid0(VALU_DEP_2)
	v_lshl_add_u64 v[2:3], v[2:3], 2, s[0:1]
	global_load_b64 v[4:5], v[2:3], off
	s_wait_loadcnt 0x0
	v_pk_fma_f32 v[0:1], s[12:13], v[4:5], v[0:1] op_sel_hi:[0,1,1]
	global_store_b64 v[2:3], v[0:1], off
.LBB20_23:
	s_endpgm
	.section	.rodata,"a",@progbits
	.p2align	6, 0x0
	.amdhsa_kernel _ZN9rocsparseL19gebsrmvn_2xn_kernelILj128ELj6ELj4EfEEvi20rocsparse_direction_NS_24const_host_device_scalarIT2_EEPKiS6_PKS3_S8_S4_PS3_21rocsparse_index_base_b
		.amdhsa_group_segment_fixed_size 0
		.amdhsa_private_segment_fixed_size 0
		.amdhsa_kernarg_size 72
		.amdhsa_user_sgpr_count 2
		.amdhsa_user_sgpr_dispatch_ptr 0
		.amdhsa_user_sgpr_queue_ptr 0
		.amdhsa_user_sgpr_kernarg_segment_ptr 1
		.amdhsa_user_sgpr_dispatch_id 0
		.amdhsa_user_sgpr_kernarg_preload_length 0
		.amdhsa_user_sgpr_kernarg_preload_offset 0
		.amdhsa_user_sgpr_private_segment_size 0
		.amdhsa_wavefront_size32 1
		.amdhsa_uses_dynamic_stack 0
		.amdhsa_enable_private_segment 0
		.amdhsa_system_sgpr_workgroup_id_x 1
		.amdhsa_system_sgpr_workgroup_id_y 0
		.amdhsa_system_sgpr_workgroup_id_z 0
		.amdhsa_system_sgpr_workgroup_info 0
		.amdhsa_system_vgpr_workitem_id 0
		.amdhsa_next_free_vgpr 36
		.amdhsa_next_free_sgpr 18
		.amdhsa_named_barrier_count 0
		.amdhsa_reserve_vcc 1
		.amdhsa_float_round_mode_32 0
		.amdhsa_float_round_mode_16_64 0
		.amdhsa_float_denorm_mode_32 3
		.amdhsa_float_denorm_mode_16_64 3
		.amdhsa_fp16_overflow 0
		.amdhsa_memory_ordered 1
		.amdhsa_forward_progress 1
		.amdhsa_inst_pref_size 12
		.amdhsa_round_robin_scheduling 0
		.amdhsa_exception_fp_ieee_invalid_op 0
		.amdhsa_exception_fp_denorm_src 0
		.amdhsa_exception_fp_ieee_div_zero 0
		.amdhsa_exception_fp_ieee_overflow 0
		.amdhsa_exception_fp_ieee_underflow 0
		.amdhsa_exception_fp_ieee_inexact 0
		.amdhsa_exception_int_div_zero 0
	.end_amdhsa_kernel
	.section	.text._ZN9rocsparseL19gebsrmvn_2xn_kernelILj128ELj6ELj4EfEEvi20rocsparse_direction_NS_24const_host_device_scalarIT2_EEPKiS6_PKS3_S8_S4_PS3_21rocsparse_index_base_b,"axG",@progbits,_ZN9rocsparseL19gebsrmvn_2xn_kernelILj128ELj6ELj4EfEEvi20rocsparse_direction_NS_24const_host_device_scalarIT2_EEPKiS6_PKS3_S8_S4_PS3_21rocsparse_index_base_b,comdat
.Lfunc_end20:
	.size	_ZN9rocsparseL19gebsrmvn_2xn_kernelILj128ELj6ELj4EfEEvi20rocsparse_direction_NS_24const_host_device_scalarIT2_EEPKiS6_PKS3_S8_S4_PS3_21rocsparse_index_base_b, .Lfunc_end20-_ZN9rocsparseL19gebsrmvn_2xn_kernelILj128ELj6ELj4EfEEvi20rocsparse_direction_NS_24const_host_device_scalarIT2_EEPKiS6_PKS3_S8_S4_PS3_21rocsparse_index_base_b
                                        ; -- End function
	.set _ZN9rocsparseL19gebsrmvn_2xn_kernelILj128ELj6ELj4EfEEvi20rocsparse_direction_NS_24const_host_device_scalarIT2_EEPKiS6_PKS3_S8_S4_PS3_21rocsparse_index_base_b.num_vgpr, 36
	.set _ZN9rocsparseL19gebsrmvn_2xn_kernelILj128ELj6ELj4EfEEvi20rocsparse_direction_NS_24const_host_device_scalarIT2_EEPKiS6_PKS3_S8_S4_PS3_21rocsparse_index_base_b.num_agpr, 0
	.set _ZN9rocsparseL19gebsrmvn_2xn_kernelILj128ELj6ELj4EfEEvi20rocsparse_direction_NS_24const_host_device_scalarIT2_EEPKiS6_PKS3_S8_S4_PS3_21rocsparse_index_base_b.numbered_sgpr, 18
	.set _ZN9rocsparseL19gebsrmvn_2xn_kernelILj128ELj6ELj4EfEEvi20rocsparse_direction_NS_24const_host_device_scalarIT2_EEPKiS6_PKS3_S8_S4_PS3_21rocsparse_index_base_b.num_named_barrier, 0
	.set _ZN9rocsparseL19gebsrmvn_2xn_kernelILj128ELj6ELj4EfEEvi20rocsparse_direction_NS_24const_host_device_scalarIT2_EEPKiS6_PKS3_S8_S4_PS3_21rocsparse_index_base_b.private_seg_size, 0
	.set _ZN9rocsparseL19gebsrmvn_2xn_kernelILj128ELj6ELj4EfEEvi20rocsparse_direction_NS_24const_host_device_scalarIT2_EEPKiS6_PKS3_S8_S4_PS3_21rocsparse_index_base_b.uses_vcc, 1
	.set _ZN9rocsparseL19gebsrmvn_2xn_kernelILj128ELj6ELj4EfEEvi20rocsparse_direction_NS_24const_host_device_scalarIT2_EEPKiS6_PKS3_S8_S4_PS3_21rocsparse_index_base_b.uses_flat_scratch, 0
	.set _ZN9rocsparseL19gebsrmvn_2xn_kernelILj128ELj6ELj4EfEEvi20rocsparse_direction_NS_24const_host_device_scalarIT2_EEPKiS6_PKS3_S8_S4_PS3_21rocsparse_index_base_b.has_dyn_sized_stack, 0
	.set _ZN9rocsparseL19gebsrmvn_2xn_kernelILj128ELj6ELj4EfEEvi20rocsparse_direction_NS_24const_host_device_scalarIT2_EEPKiS6_PKS3_S8_S4_PS3_21rocsparse_index_base_b.has_recursion, 0
	.set _ZN9rocsparseL19gebsrmvn_2xn_kernelILj128ELj6ELj4EfEEvi20rocsparse_direction_NS_24const_host_device_scalarIT2_EEPKiS6_PKS3_S8_S4_PS3_21rocsparse_index_base_b.has_indirect_call, 0
	.section	.AMDGPU.csdata,"",@progbits
; Kernel info:
; codeLenInByte = 1440
; TotalNumSgprs: 20
; NumVgprs: 36
; ScratchSize: 0
; MemoryBound: 0
; FloatMode: 240
; IeeeMode: 1
; LDSByteSize: 0 bytes/workgroup (compile time only)
; SGPRBlocks: 0
; VGPRBlocks: 2
; NumSGPRsForWavesPerEU: 20
; NumVGPRsForWavesPerEU: 36
; NamedBarCnt: 0
; Occupancy: 16
; WaveLimiterHint : 1
; COMPUTE_PGM_RSRC2:SCRATCH_EN: 0
; COMPUTE_PGM_RSRC2:USER_SGPR: 2
; COMPUTE_PGM_RSRC2:TRAP_HANDLER: 0
; COMPUTE_PGM_RSRC2:TGID_X_EN: 1
; COMPUTE_PGM_RSRC2:TGID_Y_EN: 0
; COMPUTE_PGM_RSRC2:TGID_Z_EN: 0
; COMPUTE_PGM_RSRC2:TIDIG_COMP_CNT: 0
	.section	.text._ZN9rocsparseL19gebsrmvn_2xn_kernelILj128ELj6ELj8EfEEvi20rocsparse_direction_NS_24const_host_device_scalarIT2_EEPKiS6_PKS3_S8_S4_PS3_21rocsparse_index_base_b,"axG",@progbits,_ZN9rocsparseL19gebsrmvn_2xn_kernelILj128ELj6ELj8EfEEvi20rocsparse_direction_NS_24const_host_device_scalarIT2_EEPKiS6_PKS3_S8_S4_PS3_21rocsparse_index_base_b,comdat
	.globl	_ZN9rocsparseL19gebsrmvn_2xn_kernelILj128ELj6ELj8EfEEvi20rocsparse_direction_NS_24const_host_device_scalarIT2_EEPKiS6_PKS3_S8_S4_PS3_21rocsparse_index_base_b ; -- Begin function _ZN9rocsparseL19gebsrmvn_2xn_kernelILj128ELj6ELj8EfEEvi20rocsparse_direction_NS_24const_host_device_scalarIT2_EEPKiS6_PKS3_S8_S4_PS3_21rocsparse_index_base_b
	.p2align	8
	.type	_ZN9rocsparseL19gebsrmvn_2xn_kernelILj128ELj6ELj8EfEEvi20rocsparse_direction_NS_24const_host_device_scalarIT2_EEPKiS6_PKS3_S8_S4_PS3_21rocsparse_index_base_b,@function
_ZN9rocsparseL19gebsrmvn_2xn_kernelILj128ELj6ELj8EfEEvi20rocsparse_direction_NS_24const_host_device_scalarIT2_EEPKiS6_PKS3_S8_S4_PS3_21rocsparse_index_base_b: ; @_ZN9rocsparseL19gebsrmvn_2xn_kernelILj128ELj6ELj8EfEEvi20rocsparse_direction_NS_24const_host_device_scalarIT2_EEPKiS6_PKS3_S8_S4_PS3_21rocsparse_index_base_b
; %bb.0:
	s_clause 0x2
	s_load_b64 s[16:17], s[0:1], 0x40
	s_load_b64 s[14:15], s[0:1], 0x8
	;; [unrolled: 1-line block ×3, first 2 shown]
	s_wait_kmcnt 0x0
	s_bitcmp1_b32 s17, 0
	s_cselect_b32 s2, -1, 0
	s_delay_alu instid0(SALU_CYCLE_1)
	s_and_b32 vcc_lo, exec_lo, s2
	s_xor_b32 s2, s2, -1
	s_cbranch_vccnz .LBB21_2
; %bb.1:
	s_load_b32 s14, s[14:15], 0x0
.LBB21_2:
	s_and_not1_b32 vcc_lo, exec_lo, s2
	s_cbranch_vccnz .LBB21_4
; %bb.3:
	s_load_b32 s12, s[12:13], 0x0
.LBB21_4:
	s_wait_kmcnt 0x0
	s_cmp_eq_f32 s14, 0
	s_cselect_b32 s2, -1, 0
	s_cmp_eq_f32 s12, 1.0
	s_cselect_b32 s3, -1, 0
	s_delay_alu instid0(SALU_CYCLE_1) | instskip(NEXT) | instid1(SALU_CYCLE_1)
	s_and_b32 s2, s2, s3
	s_and_b32 vcc_lo, exec_lo, s2
	s_cbranch_vccnz .LBB21_23
; %bb.5:
	s_load_b64 s[2:3], s[0:1], 0x0
	s_bfe_u32 s4, ttmp6, 0x4000c
	s_and_b32 s5, ttmp6, 15
	s_add_co_i32 s4, s4, 1
	s_getreg_b32 s6, hwreg(HW_REG_IB_STS2, 6, 4)
	s_mul_i32 s4, ttmp9, s4
	v_lshrrev_b32_e32 v1, 3, v0
	s_add_co_i32 s5, s5, s4
	s_cmp_eq_u32 s6, 0
	s_cselect_b32 s4, ttmp9, s5
	s_delay_alu instid0(VALU_DEP_1) | instid1(SALU_CYCLE_1)
	v_lshl_or_b32 v2, s4, 4, v1
	s_wait_kmcnt 0x0
	s_delay_alu instid0(VALU_DEP_1)
	v_cmp_gt_i32_e32 vcc_lo, s2, v2
	s_and_saveexec_b32 s2, vcc_lo
	s_cbranch_execz .LBB21_23
; %bb.6:
	s_load_b256 s[4:11], s[0:1], 0x10
	v_ashrrev_i32_e32 v3, 31, v2
	s_cmp_lg_u32 s3, 0
	s_wait_kmcnt 0x0
	s_delay_alu instid0(VALU_DEP_1)
	v_lshl_add_u64 v[4:5], v[2:3], 2, s[4:5]
	v_and_b32_e32 v3, 7, v0
	global_load_b64 v[4:5], v[4:5], off
	s_wait_loadcnt 0x0
	v_subrev_nc_u32_e32 v0, s16, v4
	v_subrev_nc_u32_e32 v8, s16, v5
	s_delay_alu instid0(VALU_DEP_2) | instskip(NEXT) | instid1(VALU_DEP_1)
	v_add_nc_u32_e32 v9, v0, v3
	v_cmp_lt_i32_e64 s2, v9, v8
	s_cbranch_scc0 .LBB21_12
; %bb.7:
	v_mov_b32_e32 v1, 0
	s_delay_alu instid0(VALU_DEP_1)
	v_mov_b32_e32 v0, v1
	s_and_saveexec_b32 s3, s2
	s_cbranch_execz .LBB21_11
; %bb.8:
	v_mad_u32 v4, v9, 12, 10
	v_dual_mov_b32 v7, 0 :: v_dual_mov_b32 v10, v9
	s_mov_b32 s4, 0
	s_delay_alu instid0(VALU_DEP_1)
	v_dual_mov_b32 v0, v7 :: v_dual_mov_b32 v1, v7
.LBB21_9:                               ; =>This Inner Loop Header: Depth=1
	global_load_b32 v5, v10, s[6:7] scale_offset
	v_dual_mov_b32 v17, v7 :: v_dual_add_nc_u32 v6, -10, v4
	s_wait_xcnt 0x0
	v_add_nc_u32_e32 v10, 8, v10
	s_delay_alu instid0(VALU_DEP_2) | instskip(SKIP_1) | instid1(VALU_DEP_3)
	v_lshl_add_u64 v[12:13], v[6:7], 2, s[8:9]
	v_add_nc_u32_e32 v6, -6, v4
	v_cmp_ge_i32_e32 vcc_lo, v10, v8
	global_load_b128 v[12:15], v[12:13], off
	s_or_b32 s4, vcc_lo, s4
	s_wait_loadcnt 0x1
	v_subrev_nc_u32_e32 v5, s16, v5
	s_delay_alu instid0(VALU_DEP_1) | instskip(SKIP_2) | instid1(VALU_DEP_3)
	v_mul_lo_u32 v16, v5, 6
	v_mov_b32_e32 v5, v7
	v_lshl_add_u64 v[18:19], v[6:7], 2, s[8:9]
	v_lshl_add_u64 v[20:21], v[16:17], 2, s[10:11]
	v_add_nc_u32_e32 v6, 2, v16
	global_load_b64 v[20:21], v[20:21], off
	v_lshl_add_u64 v[22:23], v[6:7], 2, s[10:11]
	v_add_nc_u32_e32 v6, -4, v4
	global_load_b64 v[26:27], v[18:19], off
	global_load_b64 v[28:29], v[22:23], off
	v_lshl_add_u64 v[24:25], v[6:7], 2, s[8:9]
	v_add_nc_u32_e32 v6, -2, v4
	s_wait_xcnt 0x1
	s_delay_alu instid0(VALU_DEP_1)
	v_lshl_add_u64 v[18:19], v[6:7], 2, s[8:9]
	v_add_nc_u32_e32 v6, 4, v16
	global_load_b64 v[16:17], v[24:25], off
	s_wait_xcnt 0x0
	v_lshl_add_u64 v[24:25], v[4:5], 2, s[8:9]
	v_add_nc_u32_e32 v4, 0x60, v4
	v_lshl_add_u64 v[22:23], v[6:7], 2, s[10:11]
	global_load_b64 v[30:31], v[18:19], off
	global_load_b64 v[32:33], v[22:23], off
	;; [unrolled: 1-line block ×3, first 2 shown]
	s_wait_loadcnt 0x6
	v_pk_fma_f32 v[0:1], v[12:13], v[20:21], v[0:1] op_sel_hi:[1,0,1]
	s_delay_alu instid0(VALU_DEP_1) | instskip(SKIP_1) | instid1(VALU_DEP_1)
	v_pk_fma_f32 v[0:1], v[14:15], v[20:21], v[0:1] op_sel:[0,1,0]
	s_wait_loadcnt 0x4
	v_pk_fma_f32 v[0:1], v[26:27], v[28:29], v[0:1] op_sel_hi:[1,0,1]
	s_wait_loadcnt 0x3
	s_delay_alu instid0(VALU_DEP_1) | instskip(SKIP_1) | instid1(VALU_DEP_1)
	v_pk_fma_f32 v[0:1], v[16:17], v[28:29], v[0:1] op_sel:[0,1,0]
	s_wait_loadcnt 0x1
	v_pk_fma_f32 v[0:1], v[30:31], v[32:33], v[0:1] op_sel_hi:[1,0,1]
	s_wait_loadcnt 0x0
	s_delay_alu instid0(VALU_DEP_1)
	v_pk_fma_f32 v[0:1], v[34:35], v[32:33], v[0:1] op_sel:[0,1,0]
	s_and_not1_b32 exec_lo, exec_lo, s4
	s_cbranch_execnz .LBB21_9
; %bb.10:
	s_or_b32 exec_lo, exec_lo, s4
.LBB21_11:
	s_delay_alu instid0(SALU_CYCLE_1)
	s_or_b32 exec_lo, exec_lo, s3
	s_cbranch_execz .LBB21_13
	s_branch .LBB21_18
.LBB21_12:
                                        ; implicit-def: $vgpr1
.LBB21_13:
	v_mov_b32_e32 v1, 0
	s_delay_alu instid0(VALU_DEP_1)
	v_mov_b32_e32 v0, v1
	s_and_saveexec_b32 s3, s2
	s_cbranch_execz .LBB21_17
; %bb.14:
	v_mad_u32 v6, v9, 12, 11
	v_mov_b32_e32 v5, 0
	s_mov_b32 s2, 0
	s_delay_alu instid0(VALU_DEP_1)
	v_dual_mov_b32 v0, v5 :: v_dual_mov_b32 v1, v5
.LBB21_15:                              ; =>This Inner Loop Header: Depth=1
	global_load_b32 v4, v9, s[6:7] scale_offset
	v_dual_mov_b32 v15, v5 :: v_dual_add_nc_u32 v18, -3, v6
	s_wait_xcnt 0x0
	v_dual_add_nc_u32 v7, -4, v6 :: v_dual_add_nc_u32 v9, 8, v9
	global_load_b32 v23, v18, s[8:9] scale_offset
	s_wait_xcnt 0x0
	v_add_nc_u32_e32 v18, -1, v6
	global_load_b32 v19, v7, s[8:9] scale_offset
	s_wait_xcnt 0x0
	v_add_nc_u32_e32 v7, -2, v6
	v_cmp_ge_i32_e32 vcc_lo, v9, v8
	global_load_b32 v25, v7, s[8:9] scale_offset
	s_or_b32 s2, vcc_lo, s2
	s_wait_loadcnt 0x3
	v_subrev_nc_u32_e32 v4, s16, v4
	s_delay_alu instid0(VALU_DEP_1) | instskip(SKIP_1) | instid1(VALU_DEP_1)
	v_mul_lo_u32 v14, v4, 6
	v_add_nc_u32_e32 v4, -11, v6
	v_lshl_add_u64 v[10:11], v[4:5], 2, s[8:9]
	v_add_nc_u32_e32 v4, -5, v6
	global_load_b128 v[10:13], v[10:11], off
	v_lshl_add_u64 v[16:17], v[14:15], 2, s[10:11]
	global_load_b32 v15, v4, s[8:9] scale_offset
	s_wait_xcnt 0x0
	v_add_nc_u32_e32 v4, 2, v14
	global_load_b64 v[16:17], v[16:17], off
	v_lshl_add_u64 v[20:21], v[4:5], 2, s[10:11]
	v_add_nc_u32_e32 v4, 4, v14
	v_add_nc_u32_e32 v14, -7, v6
	global_load_b64 v[20:21], v[20:21], off
	v_lshl_add_u64 v[26:27], v[4:5], 2, s[10:11]
	s_wait_loadcnt 0x3
	v_dual_add_nc_u32 v4, -6, v6 :: v_dual_mov_b32 v22, v12
	s_clause 0x1
	global_load_b32 v28, v14, s[8:9] scale_offset
	global_load_b32 v29, v18, s[8:9] scale_offset
	global_load_b64 v[30:31], v[26:27], off
	s_clause 0x1
	global_load_b32 v32, v4, s[8:9] scale_offset
	global_load_b32 v33, v6, s[8:9] scale_offset
	s_wait_xcnt 0x3
	v_dual_mov_b32 v14, v10 :: v_dual_mov_b32 v18, v11
	v_mov_b32_e32 v24, v13
	s_wait_xcnt 0x0
	v_add_nc_u32_e32 v6, 0x60, v6
	s_wait_loadcnt 0x6
	v_pk_fma_f32 v[0:1], v[14:15], v[16:17], v[0:1] op_sel_hi:[1,0,1]
	s_delay_alu instid0(VALU_DEP_1) | instskip(SKIP_1) | instid1(VALU_DEP_1)
	v_pk_fma_f32 v[0:1], v[18:19], v[16:17], v[0:1] op_sel:[0,1,0]
	s_wait_loadcnt 0x5
	v_pk_fma_f32 v[0:1], v[22:23], v[20:21], v[0:1] op_sel_hi:[1,0,1]
	s_delay_alu instid0(VALU_DEP_1) | instskip(SKIP_1) | instid1(VALU_DEP_1)
	v_pk_fma_f32 v[0:1], v[24:25], v[20:21], v[0:1] op_sel:[0,1,0]
	s_wait_loadcnt 0x2
	v_pk_fma_f32 v[0:1], v[28:29], v[30:31], v[0:1] op_sel_hi:[1,0,1]
	s_wait_loadcnt 0x0
	s_delay_alu instid0(VALU_DEP_1)
	v_pk_fma_f32 v[0:1], v[32:33], v[30:31], v[0:1] op_sel:[0,1,0]
	s_and_not1_b32 exec_lo, exec_lo, s2
	s_cbranch_execnz .LBB21_15
; %bb.16:
	s_or_b32 exec_lo, exec_lo, s2
.LBB21_17:
	s_delay_alu instid0(SALU_CYCLE_1)
	s_or_b32 exec_lo, exec_lo, s3
.LBB21_18:
	v_mbcnt_lo_u32_b32 v6, -1, 0
	s_mov_b32 s2, -1
	s_delay_alu instid0(VALU_DEP_1) | instskip(SKIP_1) | instid1(VALU_DEP_1)
	v_xor_b32_e32 v7, 2, v6
	v_xor_b32_e32 v4, 4, v6
	v_cmp_gt_i32_e32 vcc_lo, 32, v4
	v_cndmask_b32_e32 v4, v6, v4, vcc_lo
	s_delay_alu instid0(VALU_DEP_4) | instskip(SKIP_1) | instid1(VALU_DEP_1)
	v_cmp_gt_i32_e32 vcc_lo, 32, v7
	v_cndmask_b32_e32 v7, v6, v7, vcc_lo
	v_dual_lshlrev_b32 v7, 2, v7 :: v_dual_lshlrev_b32 v5, 2, v4
	ds_bpermute_b32 v4, v5, v0
	ds_bpermute_b32 v5, v5, v1
	s_wait_dscnt 0x0
	v_pk_add_f32 v[0:1], v[0:1], v[4:5]
	ds_bpermute_b32 v4, v7, v0
	ds_bpermute_b32 v5, v7, v1
	v_xor_b32_e32 v7, 1, v6
	s_delay_alu instid0(VALU_DEP_1) | instskip(SKIP_2) | instid1(VALU_DEP_2)
	v_cmp_gt_i32_e32 vcc_lo, 32, v7
	v_cndmask_b32_e32 v6, v6, v7, vcc_lo
	v_cmp_eq_u32_e32 vcc_lo, 7, v3
	v_lshlrev_b32_e32 v6, 2, v6
	s_wait_dscnt 0x0
	v_pk_add_f32 v[0:1], v[0:1], v[4:5]
	ds_bpermute_b32 v4, v6, v0
	ds_bpermute_b32 v5, v6, v1
	s_and_b32 exec_lo, exec_lo, vcc_lo
	s_cbranch_execz .LBB21_23
; %bb.19:
	s_load_b64 s[0:1], s[0:1], 0x38
	s_wait_dscnt 0x0
	v_pk_add_f32 v[0:1], v[0:1], v[4:5]
	v_lshlrev_b32_e32 v2, 1, v2
	s_cmp_eq_f32 s12, 0
	s_cbranch_scc0 .LBB21_21
; %bb.20:
	s_delay_alu instid0(VALU_DEP_1) | instskip(SKIP_3) | instid1(VALU_DEP_2)
	v_ashrrev_i32_e32 v3, 31, v2
	v_pk_mul_f32 v[6:7], s[14:15], v[0:1] op_sel_hi:[0,1]
	s_mov_b32 s2, 0
	s_wait_kmcnt 0x0
	v_lshl_add_u64 v[4:5], v[2:3], 2, s[0:1]
	global_store_b64 v[4:5], v[6:7], off
.LBB21_21:
	s_and_not1_b32 vcc_lo, exec_lo, s2
	s_cbranch_vccnz .LBB21_23
; %bb.22:
	v_ashrrev_i32_e32 v3, 31, v2
	v_pk_mul_f32 v[0:1], s[14:15], v[0:1] op_sel_hi:[0,1]
	s_wait_kmcnt 0x0
	s_delay_alu instid0(VALU_DEP_2)
	v_lshl_add_u64 v[2:3], v[2:3], 2, s[0:1]
	global_load_b64 v[4:5], v[2:3], off
	s_wait_loadcnt 0x0
	v_pk_fma_f32 v[0:1], s[12:13], v[4:5], v[0:1] op_sel_hi:[0,1,1]
	global_store_b64 v[2:3], v[0:1], off
.LBB21_23:
	s_endpgm
	.section	.rodata,"a",@progbits
	.p2align	6, 0x0
	.amdhsa_kernel _ZN9rocsparseL19gebsrmvn_2xn_kernelILj128ELj6ELj8EfEEvi20rocsparse_direction_NS_24const_host_device_scalarIT2_EEPKiS6_PKS3_S8_S4_PS3_21rocsparse_index_base_b
		.amdhsa_group_segment_fixed_size 0
		.amdhsa_private_segment_fixed_size 0
		.amdhsa_kernarg_size 72
		.amdhsa_user_sgpr_count 2
		.amdhsa_user_sgpr_dispatch_ptr 0
		.amdhsa_user_sgpr_queue_ptr 0
		.amdhsa_user_sgpr_kernarg_segment_ptr 1
		.amdhsa_user_sgpr_dispatch_id 0
		.amdhsa_user_sgpr_kernarg_preload_length 0
		.amdhsa_user_sgpr_kernarg_preload_offset 0
		.amdhsa_user_sgpr_private_segment_size 0
		.amdhsa_wavefront_size32 1
		.amdhsa_uses_dynamic_stack 0
		.amdhsa_enable_private_segment 0
		.amdhsa_system_sgpr_workgroup_id_x 1
		.amdhsa_system_sgpr_workgroup_id_y 0
		.amdhsa_system_sgpr_workgroup_id_z 0
		.amdhsa_system_sgpr_workgroup_info 0
		.amdhsa_system_vgpr_workitem_id 0
		.amdhsa_next_free_vgpr 36
		.amdhsa_next_free_sgpr 18
		.amdhsa_named_barrier_count 0
		.amdhsa_reserve_vcc 1
		.amdhsa_float_round_mode_32 0
		.amdhsa_float_round_mode_16_64 0
		.amdhsa_float_denorm_mode_32 3
		.amdhsa_float_denorm_mode_16_64 3
		.amdhsa_fp16_overflow 0
		.amdhsa_memory_ordered 1
		.amdhsa_forward_progress 1
		.amdhsa_inst_pref_size 12
		.amdhsa_round_robin_scheduling 0
		.amdhsa_exception_fp_ieee_invalid_op 0
		.amdhsa_exception_fp_denorm_src 0
		.amdhsa_exception_fp_ieee_div_zero 0
		.amdhsa_exception_fp_ieee_overflow 0
		.amdhsa_exception_fp_ieee_underflow 0
		.amdhsa_exception_fp_ieee_inexact 0
		.amdhsa_exception_int_div_zero 0
	.end_amdhsa_kernel
	.section	.text._ZN9rocsparseL19gebsrmvn_2xn_kernelILj128ELj6ELj8EfEEvi20rocsparse_direction_NS_24const_host_device_scalarIT2_EEPKiS6_PKS3_S8_S4_PS3_21rocsparse_index_base_b,"axG",@progbits,_ZN9rocsparseL19gebsrmvn_2xn_kernelILj128ELj6ELj8EfEEvi20rocsparse_direction_NS_24const_host_device_scalarIT2_EEPKiS6_PKS3_S8_S4_PS3_21rocsparse_index_base_b,comdat
.Lfunc_end21:
	.size	_ZN9rocsparseL19gebsrmvn_2xn_kernelILj128ELj6ELj8EfEEvi20rocsparse_direction_NS_24const_host_device_scalarIT2_EEPKiS6_PKS3_S8_S4_PS3_21rocsparse_index_base_b, .Lfunc_end21-_ZN9rocsparseL19gebsrmvn_2xn_kernelILj128ELj6ELj8EfEEvi20rocsparse_direction_NS_24const_host_device_scalarIT2_EEPKiS6_PKS3_S8_S4_PS3_21rocsparse_index_base_b
                                        ; -- End function
	.set _ZN9rocsparseL19gebsrmvn_2xn_kernelILj128ELj6ELj8EfEEvi20rocsparse_direction_NS_24const_host_device_scalarIT2_EEPKiS6_PKS3_S8_S4_PS3_21rocsparse_index_base_b.num_vgpr, 36
	.set _ZN9rocsparseL19gebsrmvn_2xn_kernelILj128ELj6ELj8EfEEvi20rocsparse_direction_NS_24const_host_device_scalarIT2_EEPKiS6_PKS3_S8_S4_PS3_21rocsparse_index_base_b.num_agpr, 0
	.set _ZN9rocsparseL19gebsrmvn_2xn_kernelILj128ELj6ELj8EfEEvi20rocsparse_direction_NS_24const_host_device_scalarIT2_EEPKiS6_PKS3_S8_S4_PS3_21rocsparse_index_base_b.numbered_sgpr, 18
	.set _ZN9rocsparseL19gebsrmvn_2xn_kernelILj128ELj6ELj8EfEEvi20rocsparse_direction_NS_24const_host_device_scalarIT2_EEPKiS6_PKS3_S8_S4_PS3_21rocsparse_index_base_b.num_named_barrier, 0
	.set _ZN9rocsparseL19gebsrmvn_2xn_kernelILj128ELj6ELj8EfEEvi20rocsparse_direction_NS_24const_host_device_scalarIT2_EEPKiS6_PKS3_S8_S4_PS3_21rocsparse_index_base_b.private_seg_size, 0
	.set _ZN9rocsparseL19gebsrmvn_2xn_kernelILj128ELj6ELj8EfEEvi20rocsparse_direction_NS_24const_host_device_scalarIT2_EEPKiS6_PKS3_S8_S4_PS3_21rocsparse_index_base_b.uses_vcc, 1
	.set _ZN9rocsparseL19gebsrmvn_2xn_kernelILj128ELj6ELj8EfEEvi20rocsparse_direction_NS_24const_host_device_scalarIT2_EEPKiS6_PKS3_S8_S4_PS3_21rocsparse_index_base_b.uses_flat_scratch, 0
	.set _ZN9rocsparseL19gebsrmvn_2xn_kernelILj128ELj6ELj8EfEEvi20rocsparse_direction_NS_24const_host_device_scalarIT2_EEPKiS6_PKS3_S8_S4_PS3_21rocsparse_index_base_b.has_dyn_sized_stack, 0
	.set _ZN9rocsparseL19gebsrmvn_2xn_kernelILj128ELj6ELj8EfEEvi20rocsparse_direction_NS_24const_host_device_scalarIT2_EEPKiS6_PKS3_S8_S4_PS3_21rocsparse_index_base_b.has_recursion, 0
	.set _ZN9rocsparseL19gebsrmvn_2xn_kernelILj128ELj6ELj8EfEEvi20rocsparse_direction_NS_24const_host_device_scalarIT2_EEPKiS6_PKS3_S8_S4_PS3_21rocsparse_index_base_b.has_indirect_call, 0
	.section	.AMDGPU.csdata,"",@progbits
; Kernel info:
; codeLenInByte = 1492
; TotalNumSgprs: 20
; NumVgprs: 36
; ScratchSize: 0
; MemoryBound: 0
; FloatMode: 240
; IeeeMode: 1
; LDSByteSize: 0 bytes/workgroup (compile time only)
; SGPRBlocks: 0
; VGPRBlocks: 2
; NumSGPRsForWavesPerEU: 20
; NumVGPRsForWavesPerEU: 36
; NamedBarCnt: 0
; Occupancy: 16
; WaveLimiterHint : 1
; COMPUTE_PGM_RSRC2:SCRATCH_EN: 0
; COMPUTE_PGM_RSRC2:USER_SGPR: 2
; COMPUTE_PGM_RSRC2:TRAP_HANDLER: 0
; COMPUTE_PGM_RSRC2:TGID_X_EN: 1
; COMPUTE_PGM_RSRC2:TGID_Y_EN: 0
; COMPUTE_PGM_RSRC2:TGID_Z_EN: 0
; COMPUTE_PGM_RSRC2:TIDIG_COMP_CNT: 0
	.section	.text._ZN9rocsparseL19gebsrmvn_2xn_kernelILj128ELj6ELj16EfEEvi20rocsparse_direction_NS_24const_host_device_scalarIT2_EEPKiS6_PKS3_S8_S4_PS3_21rocsparse_index_base_b,"axG",@progbits,_ZN9rocsparseL19gebsrmvn_2xn_kernelILj128ELj6ELj16EfEEvi20rocsparse_direction_NS_24const_host_device_scalarIT2_EEPKiS6_PKS3_S8_S4_PS3_21rocsparse_index_base_b,comdat
	.globl	_ZN9rocsparseL19gebsrmvn_2xn_kernelILj128ELj6ELj16EfEEvi20rocsparse_direction_NS_24const_host_device_scalarIT2_EEPKiS6_PKS3_S8_S4_PS3_21rocsparse_index_base_b ; -- Begin function _ZN9rocsparseL19gebsrmvn_2xn_kernelILj128ELj6ELj16EfEEvi20rocsparse_direction_NS_24const_host_device_scalarIT2_EEPKiS6_PKS3_S8_S4_PS3_21rocsparse_index_base_b
	.p2align	8
	.type	_ZN9rocsparseL19gebsrmvn_2xn_kernelILj128ELj6ELj16EfEEvi20rocsparse_direction_NS_24const_host_device_scalarIT2_EEPKiS6_PKS3_S8_S4_PS3_21rocsparse_index_base_b,@function
_ZN9rocsparseL19gebsrmvn_2xn_kernelILj128ELj6ELj16EfEEvi20rocsparse_direction_NS_24const_host_device_scalarIT2_EEPKiS6_PKS3_S8_S4_PS3_21rocsparse_index_base_b: ; @_ZN9rocsparseL19gebsrmvn_2xn_kernelILj128ELj6ELj16EfEEvi20rocsparse_direction_NS_24const_host_device_scalarIT2_EEPKiS6_PKS3_S8_S4_PS3_21rocsparse_index_base_b
; %bb.0:
	s_clause 0x2
	s_load_b64 s[16:17], s[0:1], 0x40
	s_load_b64 s[14:15], s[0:1], 0x8
	;; [unrolled: 1-line block ×3, first 2 shown]
	s_wait_kmcnt 0x0
	s_bitcmp1_b32 s17, 0
	s_cselect_b32 s2, -1, 0
	s_delay_alu instid0(SALU_CYCLE_1)
	s_and_b32 vcc_lo, exec_lo, s2
	s_xor_b32 s2, s2, -1
	s_cbranch_vccnz .LBB22_2
; %bb.1:
	s_load_b32 s14, s[14:15], 0x0
.LBB22_2:
	s_and_not1_b32 vcc_lo, exec_lo, s2
	s_cbranch_vccnz .LBB22_4
; %bb.3:
	s_load_b32 s12, s[12:13], 0x0
.LBB22_4:
	s_wait_kmcnt 0x0
	s_cmp_eq_f32 s14, 0
	s_cselect_b32 s2, -1, 0
	s_cmp_eq_f32 s12, 1.0
	s_cselect_b32 s3, -1, 0
	s_delay_alu instid0(SALU_CYCLE_1) | instskip(NEXT) | instid1(SALU_CYCLE_1)
	s_and_b32 s2, s2, s3
	s_and_b32 vcc_lo, exec_lo, s2
	s_cbranch_vccnz .LBB22_23
; %bb.5:
	s_load_b64 s[2:3], s[0:1], 0x0
	s_bfe_u32 s4, ttmp6, 0x4000c
	s_and_b32 s5, ttmp6, 15
	s_add_co_i32 s4, s4, 1
	s_getreg_b32 s6, hwreg(HW_REG_IB_STS2, 6, 4)
	s_mul_i32 s4, ttmp9, s4
	v_lshrrev_b32_e32 v1, 4, v0
	s_add_co_i32 s5, s5, s4
	s_cmp_eq_u32 s6, 0
	s_cselect_b32 s4, ttmp9, s5
	s_delay_alu instid0(VALU_DEP_1) | instid1(SALU_CYCLE_1)
	v_lshl_or_b32 v2, s4, 3, v1
	s_wait_kmcnt 0x0
	s_delay_alu instid0(VALU_DEP_1)
	v_cmp_gt_i32_e32 vcc_lo, s2, v2
	s_and_saveexec_b32 s2, vcc_lo
	s_cbranch_execz .LBB22_23
; %bb.6:
	s_load_b256 s[4:11], s[0:1], 0x10
	v_ashrrev_i32_e32 v3, 31, v2
	s_cmp_lg_u32 s3, 0
	s_wait_kmcnt 0x0
	s_delay_alu instid0(VALU_DEP_1)
	v_lshl_add_u64 v[4:5], v[2:3], 2, s[4:5]
	v_and_b32_e32 v3, 15, v0
	global_load_b64 v[4:5], v[4:5], off
	s_wait_loadcnt 0x0
	v_subrev_nc_u32_e32 v0, s16, v4
	v_subrev_nc_u32_e32 v8, s16, v5
	s_delay_alu instid0(VALU_DEP_2) | instskip(NEXT) | instid1(VALU_DEP_1)
	v_add_nc_u32_e32 v9, v0, v3
	v_cmp_lt_i32_e64 s2, v9, v8
	s_cbranch_scc0 .LBB22_12
; %bb.7:
	v_mov_b32_e32 v1, 0
	s_delay_alu instid0(VALU_DEP_1)
	v_mov_b32_e32 v0, v1
	s_and_saveexec_b32 s3, s2
	s_cbranch_execz .LBB22_11
; %bb.8:
	v_mad_u32 v4, v9, 12, 10
	v_dual_mov_b32 v7, 0 :: v_dual_mov_b32 v10, v9
	s_mov_b32 s4, 0
	s_delay_alu instid0(VALU_DEP_1)
	v_dual_mov_b32 v0, v7 :: v_dual_mov_b32 v1, v7
.LBB22_9:                               ; =>This Inner Loop Header: Depth=1
	global_load_b32 v5, v10, s[6:7] scale_offset
	v_dual_mov_b32 v17, v7 :: v_dual_add_nc_u32 v6, -10, v4
	s_wait_xcnt 0x0
	v_add_nc_u32_e32 v10, 16, v10
	s_delay_alu instid0(VALU_DEP_2) | instskip(SKIP_1) | instid1(VALU_DEP_3)
	v_lshl_add_u64 v[12:13], v[6:7], 2, s[8:9]
	v_add_nc_u32_e32 v6, -6, v4
	v_cmp_ge_i32_e32 vcc_lo, v10, v8
	global_load_b128 v[12:15], v[12:13], off
	s_or_b32 s4, vcc_lo, s4
	s_wait_loadcnt 0x1
	v_subrev_nc_u32_e32 v5, s16, v5
	s_delay_alu instid0(VALU_DEP_1) | instskip(SKIP_2) | instid1(VALU_DEP_3)
	v_mul_lo_u32 v16, v5, 6
	v_mov_b32_e32 v5, v7
	v_lshl_add_u64 v[18:19], v[6:7], 2, s[8:9]
	v_lshl_add_u64 v[20:21], v[16:17], 2, s[10:11]
	v_add_nc_u32_e32 v6, 2, v16
	global_load_b64 v[20:21], v[20:21], off
	v_lshl_add_u64 v[22:23], v[6:7], 2, s[10:11]
	v_add_nc_u32_e32 v6, -4, v4
	global_load_b64 v[26:27], v[18:19], off
	global_load_b64 v[28:29], v[22:23], off
	v_lshl_add_u64 v[24:25], v[6:7], 2, s[8:9]
	v_add_nc_u32_e32 v6, -2, v4
	s_wait_xcnt 0x1
	s_delay_alu instid0(VALU_DEP_1)
	v_lshl_add_u64 v[18:19], v[6:7], 2, s[8:9]
	v_add_nc_u32_e32 v6, 4, v16
	global_load_b64 v[16:17], v[24:25], off
	s_wait_xcnt 0x0
	v_lshl_add_u64 v[24:25], v[4:5], 2, s[8:9]
	v_add_nc_u32_e32 v4, 0xc0, v4
	v_lshl_add_u64 v[22:23], v[6:7], 2, s[10:11]
	global_load_b64 v[30:31], v[18:19], off
	global_load_b64 v[32:33], v[22:23], off
	;; [unrolled: 1-line block ×3, first 2 shown]
	s_wait_loadcnt 0x6
	v_pk_fma_f32 v[0:1], v[12:13], v[20:21], v[0:1] op_sel_hi:[1,0,1]
	s_delay_alu instid0(VALU_DEP_1) | instskip(SKIP_1) | instid1(VALU_DEP_1)
	v_pk_fma_f32 v[0:1], v[14:15], v[20:21], v[0:1] op_sel:[0,1,0]
	s_wait_loadcnt 0x4
	v_pk_fma_f32 v[0:1], v[26:27], v[28:29], v[0:1] op_sel_hi:[1,0,1]
	s_wait_loadcnt 0x3
	s_delay_alu instid0(VALU_DEP_1) | instskip(SKIP_1) | instid1(VALU_DEP_1)
	v_pk_fma_f32 v[0:1], v[16:17], v[28:29], v[0:1] op_sel:[0,1,0]
	s_wait_loadcnt 0x1
	v_pk_fma_f32 v[0:1], v[30:31], v[32:33], v[0:1] op_sel_hi:[1,0,1]
	s_wait_loadcnt 0x0
	s_delay_alu instid0(VALU_DEP_1)
	v_pk_fma_f32 v[0:1], v[34:35], v[32:33], v[0:1] op_sel:[0,1,0]
	s_and_not1_b32 exec_lo, exec_lo, s4
	s_cbranch_execnz .LBB22_9
; %bb.10:
	s_or_b32 exec_lo, exec_lo, s4
.LBB22_11:
	s_delay_alu instid0(SALU_CYCLE_1)
	s_or_b32 exec_lo, exec_lo, s3
	s_cbranch_execz .LBB22_13
	s_branch .LBB22_18
.LBB22_12:
                                        ; implicit-def: $vgpr1
.LBB22_13:
	v_mov_b32_e32 v1, 0
	s_delay_alu instid0(VALU_DEP_1)
	v_mov_b32_e32 v0, v1
	s_and_saveexec_b32 s3, s2
	s_cbranch_execz .LBB22_17
; %bb.14:
	v_mad_u32 v6, v9, 12, 11
	v_mov_b32_e32 v5, 0
	s_mov_b32 s2, 0
	s_delay_alu instid0(VALU_DEP_1)
	v_dual_mov_b32 v0, v5 :: v_dual_mov_b32 v1, v5
.LBB22_15:                              ; =>This Inner Loop Header: Depth=1
	global_load_b32 v4, v9, s[6:7] scale_offset
	v_dual_mov_b32 v15, v5 :: v_dual_add_nc_u32 v18, -3, v6
	s_wait_xcnt 0x0
	v_dual_add_nc_u32 v7, -4, v6 :: v_dual_add_nc_u32 v9, 16, v9
	global_load_b32 v23, v18, s[8:9] scale_offset
	s_wait_xcnt 0x0
	v_add_nc_u32_e32 v18, -1, v6
	global_load_b32 v19, v7, s[8:9] scale_offset
	s_wait_xcnt 0x0
	v_add_nc_u32_e32 v7, -2, v6
	v_cmp_ge_i32_e32 vcc_lo, v9, v8
	global_load_b32 v25, v7, s[8:9] scale_offset
	s_or_b32 s2, vcc_lo, s2
	s_wait_loadcnt 0x3
	v_subrev_nc_u32_e32 v4, s16, v4
	s_delay_alu instid0(VALU_DEP_1) | instskip(SKIP_1) | instid1(VALU_DEP_1)
	v_mul_lo_u32 v14, v4, 6
	v_add_nc_u32_e32 v4, -11, v6
	v_lshl_add_u64 v[10:11], v[4:5], 2, s[8:9]
	v_add_nc_u32_e32 v4, -5, v6
	global_load_b128 v[10:13], v[10:11], off
	v_lshl_add_u64 v[16:17], v[14:15], 2, s[10:11]
	global_load_b32 v15, v4, s[8:9] scale_offset
	s_wait_xcnt 0x0
	v_add_nc_u32_e32 v4, 2, v14
	global_load_b64 v[16:17], v[16:17], off
	v_lshl_add_u64 v[20:21], v[4:5], 2, s[10:11]
	v_add_nc_u32_e32 v4, 4, v14
	v_add_nc_u32_e32 v14, -7, v6
	global_load_b64 v[20:21], v[20:21], off
	v_lshl_add_u64 v[26:27], v[4:5], 2, s[10:11]
	s_wait_loadcnt 0x3
	v_dual_add_nc_u32 v4, -6, v6 :: v_dual_mov_b32 v22, v12
	s_clause 0x1
	global_load_b32 v28, v14, s[8:9] scale_offset
	global_load_b32 v29, v18, s[8:9] scale_offset
	global_load_b64 v[30:31], v[26:27], off
	s_clause 0x1
	global_load_b32 v32, v4, s[8:9] scale_offset
	global_load_b32 v33, v6, s[8:9] scale_offset
	s_wait_xcnt 0x3
	v_dual_mov_b32 v14, v10 :: v_dual_mov_b32 v18, v11
	v_mov_b32_e32 v24, v13
	s_wait_xcnt 0x0
	v_add_nc_u32_e32 v6, 0xc0, v6
	s_wait_loadcnt 0x6
	v_pk_fma_f32 v[0:1], v[14:15], v[16:17], v[0:1] op_sel_hi:[1,0,1]
	s_delay_alu instid0(VALU_DEP_1) | instskip(SKIP_1) | instid1(VALU_DEP_1)
	v_pk_fma_f32 v[0:1], v[18:19], v[16:17], v[0:1] op_sel:[0,1,0]
	s_wait_loadcnt 0x5
	v_pk_fma_f32 v[0:1], v[22:23], v[20:21], v[0:1] op_sel_hi:[1,0,1]
	s_delay_alu instid0(VALU_DEP_1) | instskip(SKIP_1) | instid1(VALU_DEP_1)
	v_pk_fma_f32 v[0:1], v[24:25], v[20:21], v[0:1] op_sel:[0,1,0]
	s_wait_loadcnt 0x2
	v_pk_fma_f32 v[0:1], v[28:29], v[30:31], v[0:1] op_sel_hi:[1,0,1]
	s_wait_loadcnt 0x0
	s_delay_alu instid0(VALU_DEP_1)
	v_pk_fma_f32 v[0:1], v[32:33], v[30:31], v[0:1] op_sel:[0,1,0]
	s_and_not1_b32 exec_lo, exec_lo, s2
	s_cbranch_execnz .LBB22_15
; %bb.16:
	s_or_b32 exec_lo, exec_lo, s2
.LBB22_17:
	s_delay_alu instid0(SALU_CYCLE_1)
	s_or_b32 exec_lo, exec_lo, s3
.LBB22_18:
	v_mbcnt_lo_u32_b32 v6, -1, 0
	s_mov_b32 s2, -1
	s_delay_alu instid0(VALU_DEP_1) | instskip(SKIP_1) | instid1(VALU_DEP_1)
	v_xor_b32_e32 v7, 4, v6
	v_xor_b32_e32 v4, 8, v6
	v_cmp_gt_i32_e32 vcc_lo, 32, v4
	v_cndmask_b32_e32 v4, v6, v4, vcc_lo
	s_delay_alu instid0(VALU_DEP_4) | instskip(SKIP_1) | instid1(VALU_DEP_1)
	v_cmp_gt_i32_e32 vcc_lo, 32, v7
	v_cndmask_b32_e32 v7, v6, v7, vcc_lo
	v_dual_lshlrev_b32 v7, 2, v7 :: v_dual_lshlrev_b32 v5, 2, v4
	ds_bpermute_b32 v4, v5, v0
	ds_bpermute_b32 v5, v5, v1
	s_wait_dscnt 0x0
	v_pk_add_f32 v[0:1], v[0:1], v[4:5]
	ds_bpermute_b32 v4, v7, v0
	ds_bpermute_b32 v5, v7, v1
	v_xor_b32_e32 v7, 2, v6
	s_delay_alu instid0(VALU_DEP_1) | instskip(SKIP_1) | instid1(VALU_DEP_1)
	v_cmp_gt_i32_e32 vcc_lo, 32, v7
	v_cndmask_b32_e32 v7, v6, v7, vcc_lo
	v_lshlrev_b32_e32 v7, 2, v7
	s_wait_dscnt 0x0
	v_pk_add_f32 v[0:1], v[0:1], v[4:5]
	ds_bpermute_b32 v4, v7, v0
	ds_bpermute_b32 v5, v7, v1
	v_xor_b32_e32 v7, 1, v6
	s_delay_alu instid0(VALU_DEP_1) | instskip(SKIP_2) | instid1(VALU_DEP_2)
	v_cmp_gt_i32_e32 vcc_lo, 32, v7
	v_cndmask_b32_e32 v6, v6, v7, vcc_lo
	v_cmp_eq_u32_e32 vcc_lo, 15, v3
	v_lshlrev_b32_e32 v6, 2, v6
	s_wait_dscnt 0x0
	v_pk_add_f32 v[0:1], v[0:1], v[4:5]
	ds_bpermute_b32 v4, v6, v0
	ds_bpermute_b32 v5, v6, v1
	s_and_b32 exec_lo, exec_lo, vcc_lo
	s_cbranch_execz .LBB22_23
; %bb.19:
	s_load_b64 s[0:1], s[0:1], 0x38
	s_wait_dscnt 0x0
	v_pk_add_f32 v[0:1], v[0:1], v[4:5]
	v_lshlrev_b32_e32 v2, 1, v2
	s_cmp_eq_f32 s12, 0
	s_cbranch_scc0 .LBB22_21
; %bb.20:
	s_delay_alu instid0(VALU_DEP_1) | instskip(SKIP_3) | instid1(VALU_DEP_2)
	v_ashrrev_i32_e32 v3, 31, v2
	v_pk_mul_f32 v[6:7], s[14:15], v[0:1] op_sel_hi:[0,1]
	s_mov_b32 s2, 0
	s_wait_kmcnt 0x0
	v_lshl_add_u64 v[4:5], v[2:3], 2, s[0:1]
	global_store_b64 v[4:5], v[6:7], off
.LBB22_21:
	s_and_not1_b32 vcc_lo, exec_lo, s2
	s_cbranch_vccnz .LBB22_23
; %bb.22:
	v_ashrrev_i32_e32 v3, 31, v2
	v_pk_mul_f32 v[0:1], s[14:15], v[0:1] op_sel_hi:[0,1]
	s_wait_kmcnt 0x0
	s_delay_alu instid0(VALU_DEP_2)
	v_lshl_add_u64 v[2:3], v[2:3], 2, s[0:1]
	global_load_b64 v[4:5], v[2:3], off
	s_wait_loadcnt 0x0
	v_pk_fma_f32 v[0:1], s[12:13], v[4:5], v[0:1] op_sel_hi:[0,1,1]
	global_store_b64 v[2:3], v[0:1], off
.LBB22_23:
	s_endpgm
	.section	.rodata,"a",@progbits
	.p2align	6, 0x0
	.amdhsa_kernel _ZN9rocsparseL19gebsrmvn_2xn_kernelILj128ELj6ELj16EfEEvi20rocsparse_direction_NS_24const_host_device_scalarIT2_EEPKiS6_PKS3_S8_S4_PS3_21rocsparse_index_base_b
		.amdhsa_group_segment_fixed_size 0
		.amdhsa_private_segment_fixed_size 0
		.amdhsa_kernarg_size 72
		.amdhsa_user_sgpr_count 2
		.amdhsa_user_sgpr_dispatch_ptr 0
		.amdhsa_user_sgpr_queue_ptr 0
		.amdhsa_user_sgpr_kernarg_segment_ptr 1
		.amdhsa_user_sgpr_dispatch_id 0
		.amdhsa_user_sgpr_kernarg_preload_length 0
		.amdhsa_user_sgpr_kernarg_preload_offset 0
		.amdhsa_user_sgpr_private_segment_size 0
		.amdhsa_wavefront_size32 1
		.amdhsa_uses_dynamic_stack 0
		.amdhsa_enable_private_segment 0
		.amdhsa_system_sgpr_workgroup_id_x 1
		.amdhsa_system_sgpr_workgroup_id_y 0
		.amdhsa_system_sgpr_workgroup_id_z 0
		.amdhsa_system_sgpr_workgroup_info 0
		.amdhsa_system_vgpr_workitem_id 0
		.amdhsa_next_free_vgpr 36
		.amdhsa_next_free_sgpr 18
		.amdhsa_named_barrier_count 0
		.amdhsa_reserve_vcc 1
		.amdhsa_float_round_mode_32 0
		.amdhsa_float_round_mode_16_64 0
		.amdhsa_float_denorm_mode_32 3
		.amdhsa_float_denorm_mode_16_64 3
		.amdhsa_fp16_overflow 0
		.amdhsa_memory_ordered 1
		.amdhsa_forward_progress 1
		.amdhsa_inst_pref_size 13
		.amdhsa_round_robin_scheduling 0
		.amdhsa_exception_fp_ieee_invalid_op 0
		.amdhsa_exception_fp_denorm_src 0
		.amdhsa_exception_fp_ieee_div_zero 0
		.amdhsa_exception_fp_ieee_overflow 0
		.amdhsa_exception_fp_ieee_underflow 0
		.amdhsa_exception_fp_ieee_inexact 0
		.amdhsa_exception_int_div_zero 0
	.end_amdhsa_kernel
	.section	.text._ZN9rocsparseL19gebsrmvn_2xn_kernelILj128ELj6ELj16EfEEvi20rocsparse_direction_NS_24const_host_device_scalarIT2_EEPKiS6_PKS3_S8_S4_PS3_21rocsparse_index_base_b,"axG",@progbits,_ZN9rocsparseL19gebsrmvn_2xn_kernelILj128ELj6ELj16EfEEvi20rocsparse_direction_NS_24const_host_device_scalarIT2_EEPKiS6_PKS3_S8_S4_PS3_21rocsparse_index_base_b,comdat
.Lfunc_end22:
	.size	_ZN9rocsparseL19gebsrmvn_2xn_kernelILj128ELj6ELj16EfEEvi20rocsparse_direction_NS_24const_host_device_scalarIT2_EEPKiS6_PKS3_S8_S4_PS3_21rocsparse_index_base_b, .Lfunc_end22-_ZN9rocsparseL19gebsrmvn_2xn_kernelILj128ELj6ELj16EfEEvi20rocsparse_direction_NS_24const_host_device_scalarIT2_EEPKiS6_PKS3_S8_S4_PS3_21rocsparse_index_base_b
                                        ; -- End function
	.set _ZN9rocsparseL19gebsrmvn_2xn_kernelILj128ELj6ELj16EfEEvi20rocsparse_direction_NS_24const_host_device_scalarIT2_EEPKiS6_PKS3_S8_S4_PS3_21rocsparse_index_base_b.num_vgpr, 36
	.set _ZN9rocsparseL19gebsrmvn_2xn_kernelILj128ELj6ELj16EfEEvi20rocsparse_direction_NS_24const_host_device_scalarIT2_EEPKiS6_PKS3_S8_S4_PS3_21rocsparse_index_base_b.num_agpr, 0
	.set _ZN9rocsparseL19gebsrmvn_2xn_kernelILj128ELj6ELj16EfEEvi20rocsparse_direction_NS_24const_host_device_scalarIT2_EEPKiS6_PKS3_S8_S4_PS3_21rocsparse_index_base_b.numbered_sgpr, 18
	.set _ZN9rocsparseL19gebsrmvn_2xn_kernelILj128ELj6ELj16EfEEvi20rocsparse_direction_NS_24const_host_device_scalarIT2_EEPKiS6_PKS3_S8_S4_PS3_21rocsparse_index_base_b.num_named_barrier, 0
	.set _ZN9rocsparseL19gebsrmvn_2xn_kernelILj128ELj6ELj16EfEEvi20rocsparse_direction_NS_24const_host_device_scalarIT2_EEPKiS6_PKS3_S8_S4_PS3_21rocsparse_index_base_b.private_seg_size, 0
	.set _ZN9rocsparseL19gebsrmvn_2xn_kernelILj128ELj6ELj16EfEEvi20rocsparse_direction_NS_24const_host_device_scalarIT2_EEPKiS6_PKS3_S8_S4_PS3_21rocsparse_index_base_b.uses_vcc, 1
	.set _ZN9rocsparseL19gebsrmvn_2xn_kernelILj128ELj6ELj16EfEEvi20rocsparse_direction_NS_24const_host_device_scalarIT2_EEPKiS6_PKS3_S8_S4_PS3_21rocsparse_index_base_b.uses_flat_scratch, 0
	.set _ZN9rocsparseL19gebsrmvn_2xn_kernelILj128ELj6ELj16EfEEvi20rocsparse_direction_NS_24const_host_device_scalarIT2_EEPKiS6_PKS3_S8_S4_PS3_21rocsparse_index_base_b.has_dyn_sized_stack, 0
	.set _ZN9rocsparseL19gebsrmvn_2xn_kernelILj128ELj6ELj16EfEEvi20rocsparse_direction_NS_24const_host_device_scalarIT2_EEPKiS6_PKS3_S8_S4_PS3_21rocsparse_index_base_b.has_recursion, 0
	.set _ZN9rocsparseL19gebsrmvn_2xn_kernelILj128ELj6ELj16EfEEvi20rocsparse_direction_NS_24const_host_device_scalarIT2_EEPKiS6_PKS3_S8_S4_PS3_21rocsparse_index_base_b.has_indirect_call, 0
	.section	.AMDGPU.csdata,"",@progbits
; Kernel info:
; codeLenInByte = 1540
; TotalNumSgprs: 20
; NumVgprs: 36
; ScratchSize: 0
; MemoryBound: 0
; FloatMode: 240
; IeeeMode: 1
; LDSByteSize: 0 bytes/workgroup (compile time only)
; SGPRBlocks: 0
; VGPRBlocks: 2
; NumSGPRsForWavesPerEU: 20
; NumVGPRsForWavesPerEU: 36
; NamedBarCnt: 0
; Occupancy: 16
; WaveLimiterHint : 1
; COMPUTE_PGM_RSRC2:SCRATCH_EN: 0
; COMPUTE_PGM_RSRC2:USER_SGPR: 2
; COMPUTE_PGM_RSRC2:TRAP_HANDLER: 0
; COMPUTE_PGM_RSRC2:TGID_X_EN: 1
; COMPUTE_PGM_RSRC2:TGID_Y_EN: 0
; COMPUTE_PGM_RSRC2:TGID_Z_EN: 0
; COMPUTE_PGM_RSRC2:TIDIG_COMP_CNT: 0
	.section	.text._ZN9rocsparseL19gebsrmvn_2xn_kernelILj128ELj6ELj32EfEEvi20rocsparse_direction_NS_24const_host_device_scalarIT2_EEPKiS6_PKS3_S8_S4_PS3_21rocsparse_index_base_b,"axG",@progbits,_ZN9rocsparseL19gebsrmvn_2xn_kernelILj128ELj6ELj32EfEEvi20rocsparse_direction_NS_24const_host_device_scalarIT2_EEPKiS6_PKS3_S8_S4_PS3_21rocsparse_index_base_b,comdat
	.globl	_ZN9rocsparseL19gebsrmvn_2xn_kernelILj128ELj6ELj32EfEEvi20rocsparse_direction_NS_24const_host_device_scalarIT2_EEPKiS6_PKS3_S8_S4_PS3_21rocsparse_index_base_b ; -- Begin function _ZN9rocsparseL19gebsrmvn_2xn_kernelILj128ELj6ELj32EfEEvi20rocsparse_direction_NS_24const_host_device_scalarIT2_EEPKiS6_PKS3_S8_S4_PS3_21rocsparse_index_base_b
	.p2align	8
	.type	_ZN9rocsparseL19gebsrmvn_2xn_kernelILj128ELj6ELj32EfEEvi20rocsparse_direction_NS_24const_host_device_scalarIT2_EEPKiS6_PKS3_S8_S4_PS3_21rocsparse_index_base_b,@function
_ZN9rocsparseL19gebsrmvn_2xn_kernelILj128ELj6ELj32EfEEvi20rocsparse_direction_NS_24const_host_device_scalarIT2_EEPKiS6_PKS3_S8_S4_PS3_21rocsparse_index_base_b: ; @_ZN9rocsparseL19gebsrmvn_2xn_kernelILj128ELj6ELj32EfEEvi20rocsparse_direction_NS_24const_host_device_scalarIT2_EEPKiS6_PKS3_S8_S4_PS3_21rocsparse_index_base_b
; %bb.0:
	s_clause 0x2
	s_load_b64 s[16:17], s[0:1], 0x40
	s_load_b64 s[14:15], s[0:1], 0x8
	;; [unrolled: 1-line block ×3, first 2 shown]
	s_wait_kmcnt 0x0
	s_bitcmp1_b32 s17, 0
	s_cselect_b32 s2, -1, 0
	s_delay_alu instid0(SALU_CYCLE_1)
	s_and_b32 vcc_lo, exec_lo, s2
	s_xor_b32 s2, s2, -1
	s_cbranch_vccnz .LBB23_2
; %bb.1:
	s_load_b32 s14, s[14:15], 0x0
.LBB23_2:
	s_and_not1_b32 vcc_lo, exec_lo, s2
	s_cbranch_vccnz .LBB23_4
; %bb.3:
	s_load_b32 s12, s[12:13], 0x0
.LBB23_4:
	s_wait_kmcnt 0x0
	s_cmp_eq_f32 s14, 0
	s_cselect_b32 s2, -1, 0
	s_cmp_eq_f32 s12, 1.0
	s_cselect_b32 s3, -1, 0
	s_delay_alu instid0(SALU_CYCLE_1) | instskip(NEXT) | instid1(SALU_CYCLE_1)
	s_and_b32 s2, s2, s3
	s_and_b32 vcc_lo, exec_lo, s2
	s_cbranch_vccnz .LBB23_23
; %bb.5:
	s_load_b64 s[2:3], s[0:1], 0x0
	s_bfe_u32 s4, ttmp6, 0x4000c
	s_and_b32 s5, ttmp6, 15
	s_add_co_i32 s4, s4, 1
	s_getreg_b32 s6, hwreg(HW_REG_IB_STS2, 6, 4)
	s_mul_i32 s4, ttmp9, s4
	v_lshrrev_b32_e32 v1, 5, v0
	s_add_co_i32 s5, s5, s4
	s_cmp_eq_u32 s6, 0
	s_cselect_b32 s4, ttmp9, s5
	s_delay_alu instid0(VALU_DEP_1) | instid1(SALU_CYCLE_1)
	v_lshl_or_b32 v2, s4, 2, v1
	s_wait_kmcnt 0x0
	s_delay_alu instid0(VALU_DEP_1)
	v_cmp_gt_i32_e32 vcc_lo, s2, v2
	s_and_saveexec_b32 s2, vcc_lo
	s_cbranch_execz .LBB23_23
; %bb.6:
	s_load_b256 s[4:11], s[0:1], 0x10
	v_ashrrev_i32_e32 v3, 31, v2
	s_cmp_lg_u32 s3, 0
	s_wait_kmcnt 0x0
	s_delay_alu instid0(VALU_DEP_1)
	v_lshl_add_u64 v[4:5], v[2:3], 2, s[4:5]
	v_and_b32_e32 v3, 31, v0
	global_load_b64 v[4:5], v[4:5], off
	s_wait_loadcnt 0x0
	v_subrev_nc_u32_e32 v0, s16, v4
	v_subrev_nc_u32_e32 v8, s16, v5
	s_delay_alu instid0(VALU_DEP_2) | instskip(NEXT) | instid1(VALU_DEP_1)
	v_add_nc_u32_e32 v9, v0, v3
	v_cmp_lt_i32_e64 s2, v9, v8
	s_cbranch_scc0 .LBB23_12
; %bb.7:
	v_mov_b32_e32 v1, 0
	s_delay_alu instid0(VALU_DEP_1)
	v_mov_b32_e32 v0, v1
	s_and_saveexec_b32 s3, s2
	s_cbranch_execz .LBB23_11
; %bb.8:
	v_mad_u32 v4, v9, 12, 10
	v_dual_mov_b32 v7, 0 :: v_dual_mov_b32 v10, v9
	s_mov_b32 s4, 0
	s_delay_alu instid0(VALU_DEP_1)
	v_dual_mov_b32 v0, v7 :: v_dual_mov_b32 v1, v7
.LBB23_9:                               ; =>This Inner Loop Header: Depth=1
	global_load_b32 v5, v10, s[6:7] scale_offset
	v_dual_mov_b32 v17, v7 :: v_dual_add_nc_u32 v6, -10, v4
	s_wait_xcnt 0x0
	v_add_nc_u32_e32 v10, 32, v10
	s_delay_alu instid0(VALU_DEP_2) | instskip(SKIP_1) | instid1(VALU_DEP_3)
	v_lshl_add_u64 v[12:13], v[6:7], 2, s[8:9]
	v_add_nc_u32_e32 v6, -6, v4
	v_cmp_ge_i32_e32 vcc_lo, v10, v8
	global_load_b128 v[12:15], v[12:13], off
	s_or_b32 s4, vcc_lo, s4
	s_wait_loadcnt 0x1
	v_subrev_nc_u32_e32 v5, s16, v5
	s_delay_alu instid0(VALU_DEP_1) | instskip(SKIP_2) | instid1(VALU_DEP_3)
	v_mul_lo_u32 v16, v5, 6
	v_mov_b32_e32 v5, v7
	v_lshl_add_u64 v[18:19], v[6:7], 2, s[8:9]
	v_lshl_add_u64 v[20:21], v[16:17], 2, s[10:11]
	v_add_nc_u32_e32 v6, 2, v16
	global_load_b64 v[20:21], v[20:21], off
	v_lshl_add_u64 v[22:23], v[6:7], 2, s[10:11]
	v_add_nc_u32_e32 v6, -4, v4
	global_load_b64 v[26:27], v[18:19], off
	global_load_b64 v[28:29], v[22:23], off
	v_lshl_add_u64 v[24:25], v[6:7], 2, s[8:9]
	v_add_nc_u32_e32 v6, -2, v4
	s_wait_xcnt 0x1
	s_delay_alu instid0(VALU_DEP_1)
	v_lshl_add_u64 v[18:19], v[6:7], 2, s[8:9]
	v_add_nc_u32_e32 v6, 4, v16
	global_load_b64 v[16:17], v[24:25], off
	s_wait_xcnt 0x0
	v_lshl_add_u64 v[24:25], v[4:5], 2, s[8:9]
	v_add_nc_u32_e32 v4, 0x180, v4
	v_lshl_add_u64 v[22:23], v[6:7], 2, s[10:11]
	global_load_b64 v[30:31], v[18:19], off
	global_load_b64 v[32:33], v[22:23], off
	;; [unrolled: 1-line block ×3, first 2 shown]
	s_wait_loadcnt 0x6
	v_pk_fma_f32 v[0:1], v[12:13], v[20:21], v[0:1] op_sel_hi:[1,0,1]
	s_delay_alu instid0(VALU_DEP_1) | instskip(SKIP_1) | instid1(VALU_DEP_1)
	v_pk_fma_f32 v[0:1], v[14:15], v[20:21], v[0:1] op_sel:[0,1,0]
	s_wait_loadcnt 0x4
	v_pk_fma_f32 v[0:1], v[26:27], v[28:29], v[0:1] op_sel_hi:[1,0,1]
	s_wait_loadcnt 0x3
	s_delay_alu instid0(VALU_DEP_1) | instskip(SKIP_1) | instid1(VALU_DEP_1)
	v_pk_fma_f32 v[0:1], v[16:17], v[28:29], v[0:1] op_sel:[0,1,0]
	s_wait_loadcnt 0x1
	v_pk_fma_f32 v[0:1], v[30:31], v[32:33], v[0:1] op_sel_hi:[1,0,1]
	s_wait_loadcnt 0x0
	s_delay_alu instid0(VALU_DEP_1)
	v_pk_fma_f32 v[0:1], v[34:35], v[32:33], v[0:1] op_sel:[0,1,0]
	s_and_not1_b32 exec_lo, exec_lo, s4
	s_cbranch_execnz .LBB23_9
; %bb.10:
	s_or_b32 exec_lo, exec_lo, s4
.LBB23_11:
	s_delay_alu instid0(SALU_CYCLE_1)
	s_or_b32 exec_lo, exec_lo, s3
	s_cbranch_execz .LBB23_13
	s_branch .LBB23_18
.LBB23_12:
                                        ; implicit-def: $vgpr1
.LBB23_13:
	v_mov_b32_e32 v1, 0
	s_delay_alu instid0(VALU_DEP_1)
	v_mov_b32_e32 v0, v1
	s_and_saveexec_b32 s3, s2
	s_cbranch_execz .LBB23_17
; %bb.14:
	v_mad_u32 v6, v9, 12, 11
	v_mov_b32_e32 v5, 0
	s_mov_b32 s2, 0
	s_delay_alu instid0(VALU_DEP_1)
	v_dual_mov_b32 v0, v5 :: v_dual_mov_b32 v1, v5
.LBB23_15:                              ; =>This Inner Loop Header: Depth=1
	global_load_b32 v4, v9, s[6:7] scale_offset
	v_dual_mov_b32 v15, v5 :: v_dual_add_nc_u32 v18, -3, v6
	s_wait_xcnt 0x0
	v_dual_add_nc_u32 v7, -4, v6 :: v_dual_add_nc_u32 v9, 32, v9
	global_load_b32 v23, v18, s[8:9] scale_offset
	s_wait_xcnt 0x0
	v_add_nc_u32_e32 v18, -1, v6
	global_load_b32 v19, v7, s[8:9] scale_offset
	s_wait_xcnt 0x0
	v_add_nc_u32_e32 v7, -2, v6
	v_cmp_ge_i32_e32 vcc_lo, v9, v8
	global_load_b32 v25, v7, s[8:9] scale_offset
	s_or_b32 s2, vcc_lo, s2
	s_wait_loadcnt 0x3
	v_subrev_nc_u32_e32 v4, s16, v4
	s_delay_alu instid0(VALU_DEP_1) | instskip(SKIP_1) | instid1(VALU_DEP_1)
	v_mul_lo_u32 v14, v4, 6
	v_add_nc_u32_e32 v4, -11, v6
	v_lshl_add_u64 v[10:11], v[4:5], 2, s[8:9]
	v_add_nc_u32_e32 v4, -5, v6
	global_load_b128 v[10:13], v[10:11], off
	v_lshl_add_u64 v[16:17], v[14:15], 2, s[10:11]
	global_load_b32 v15, v4, s[8:9] scale_offset
	s_wait_xcnt 0x0
	v_add_nc_u32_e32 v4, 2, v14
	global_load_b64 v[16:17], v[16:17], off
	v_lshl_add_u64 v[20:21], v[4:5], 2, s[10:11]
	v_add_nc_u32_e32 v4, 4, v14
	v_add_nc_u32_e32 v14, -7, v6
	global_load_b64 v[20:21], v[20:21], off
	v_lshl_add_u64 v[26:27], v[4:5], 2, s[10:11]
	s_wait_loadcnt 0x3
	v_dual_add_nc_u32 v4, -6, v6 :: v_dual_mov_b32 v22, v12
	s_clause 0x1
	global_load_b32 v28, v14, s[8:9] scale_offset
	global_load_b32 v29, v18, s[8:9] scale_offset
	global_load_b64 v[30:31], v[26:27], off
	s_clause 0x1
	global_load_b32 v32, v4, s[8:9] scale_offset
	global_load_b32 v33, v6, s[8:9] scale_offset
	s_wait_xcnt 0x3
	v_dual_mov_b32 v14, v10 :: v_dual_mov_b32 v18, v11
	v_mov_b32_e32 v24, v13
	s_wait_xcnt 0x0
	v_add_nc_u32_e32 v6, 0x180, v6
	s_wait_loadcnt 0x6
	v_pk_fma_f32 v[0:1], v[14:15], v[16:17], v[0:1] op_sel_hi:[1,0,1]
	s_delay_alu instid0(VALU_DEP_1) | instskip(SKIP_1) | instid1(VALU_DEP_1)
	v_pk_fma_f32 v[0:1], v[18:19], v[16:17], v[0:1] op_sel:[0,1,0]
	s_wait_loadcnt 0x5
	v_pk_fma_f32 v[0:1], v[22:23], v[20:21], v[0:1] op_sel_hi:[1,0,1]
	s_delay_alu instid0(VALU_DEP_1) | instskip(SKIP_1) | instid1(VALU_DEP_1)
	v_pk_fma_f32 v[0:1], v[24:25], v[20:21], v[0:1] op_sel:[0,1,0]
	s_wait_loadcnt 0x2
	v_pk_fma_f32 v[0:1], v[28:29], v[30:31], v[0:1] op_sel_hi:[1,0,1]
	s_wait_loadcnt 0x0
	s_delay_alu instid0(VALU_DEP_1)
	v_pk_fma_f32 v[0:1], v[32:33], v[30:31], v[0:1] op_sel:[0,1,0]
	s_and_not1_b32 exec_lo, exec_lo, s2
	s_cbranch_execnz .LBB23_15
; %bb.16:
	s_or_b32 exec_lo, exec_lo, s2
.LBB23_17:
	s_delay_alu instid0(SALU_CYCLE_1)
	s_or_b32 exec_lo, exec_lo, s3
.LBB23_18:
	v_mbcnt_lo_u32_b32 v6, -1, 0
	s_mov_b32 s2, -1
	s_delay_alu instid0(VALU_DEP_1) | instskip(SKIP_1) | instid1(VALU_DEP_1)
	v_xor_b32_e32 v7, 8, v6
	v_xor_b32_e32 v4, 16, v6
	v_cmp_gt_i32_e32 vcc_lo, 32, v4
	v_cndmask_b32_e32 v4, v6, v4, vcc_lo
	s_delay_alu instid0(VALU_DEP_4) | instskip(SKIP_1) | instid1(VALU_DEP_1)
	v_cmp_gt_i32_e32 vcc_lo, 32, v7
	v_cndmask_b32_e32 v7, v6, v7, vcc_lo
	v_dual_lshlrev_b32 v7, 2, v7 :: v_dual_lshlrev_b32 v5, 2, v4
	ds_bpermute_b32 v4, v5, v0
	ds_bpermute_b32 v5, v5, v1
	s_wait_dscnt 0x0
	v_pk_add_f32 v[0:1], v[0:1], v[4:5]
	ds_bpermute_b32 v4, v7, v0
	ds_bpermute_b32 v5, v7, v1
	v_xor_b32_e32 v7, 4, v6
	s_delay_alu instid0(VALU_DEP_1) | instskip(SKIP_1) | instid1(VALU_DEP_1)
	v_cmp_gt_i32_e32 vcc_lo, 32, v7
	v_cndmask_b32_e32 v7, v6, v7, vcc_lo
	v_lshlrev_b32_e32 v7, 2, v7
	s_wait_dscnt 0x0
	v_pk_add_f32 v[0:1], v[0:1], v[4:5]
	ds_bpermute_b32 v4, v7, v0
	ds_bpermute_b32 v5, v7, v1
	v_xor_b32_e32 v7, 2, v6
	s_delay_alu instid0(VALU_DEP_1) | instskip(SKIP_1) | instid1(VALU_DEP_1)
	v_cmp_gt_i32_e32 vcc_lo, 32, v7
	v_cndmask_b32_e32 v7, v6, v7, vcc_lo
	v_lshlrev_b32_e32 v7, 2, v7
	s_wait_dscnt 0x0
	v_pk_add_f32 v[0:1], v[0:1], v[4:5]
	ds_bpermute_b32 v4, v7, v0
	ds_bpermute_b32 v5, v7, v1
	v_xor_b32_e32 v7, 1, v6
	s_delay_alu instid0(VALU_DEP_1) | instskip(SKIP_2) | instid1(VALU_DEP_2)
	v_cmp_gt_i32_e32 vcc_lo, 32, v7
	v_cndmask_b32_e32 v6, v6, v7, vcc_lo
	v_cmp_eq_u32_e32 vcc_lo, 31, v3
	v_lshlrev_b32_e32 v6, 2, v6
	s_wait_dscnt 0x0
	v_pk_add_f32 v[0:1], v[0:1], v[4:5]
	ds_bpermute_b32 v4, v6, v0
	ds_bpermute_b32 v5, v6, v1
	s_and_b32 exec_lo, exec_lo, vcc_lo
	s_cbranch_execz .LBB23_23
; %bb.19:
	s_load_b64 s[0:1], s[0:1], 0x38
	s_wait_dscnt 0x0
	v_pk_add_f32 v[0:1], v[0:1], v[4:5]
	v_lshlrev_b32_e32 v2, 1, v2
	s_cmp_eq_f32 s12, 0
	s_cbranch_scc0 .LBB23_21
; %bb.20:
	s_delay_alu instid0(VALU_DEP_1) | instskip(SKIP_3) | instid1(VALU_DEP_2)
	v_ashrrev_i32_e32 v3, 31, v2
	v_pk_mul_f32 v[6:7], s[14:15], v[0:1] op_sel_hi:[0,1]
	s_mov_b32 s2, 0
	s_wait_kmcnt 0x0
	v_lshl_add_u64 v[4:5], v[2:3], 2, s[0:1]
	global_store_b64 v[4:5], v[6:7], off
.LBB23_21:
	s_and_not1_b32 vcc_lo, exec_lo, s2
	s_cbranch_vccnz .LBB23_23
; %bb.22:
	v_ashrrev_i32_e32 v3, 31, v2
	v_pk_mul_f32 v[0:1], s[14:15], v[0:1] op_sel_hi:[0,1]
	s_wait_kmcnt 0x0
	s_delay_alu instid0(VALU_DEP_2)
	v_lshl_add_u64 v[2:3], v[2:3], 2, s[0:1]
	global_load_b64 v[4:5], v[2:3], off
	s_wait_loadcnt 0x0
	v_pk_fma_f32 v[0:1], s[12:13], v[4:5], v[0:1] op_sel_hi:[0,1,1]
	global_store_b64 v[2:3], v[0:1], off
.LBB23_23:
	s_endpgm
	.section	.rodata,"a",@progbits
	.p2align	6, 0x0
	.amdhsa_kernel _ZN9rocsparseL19gebsrmvn_2xn_kernelILj128ELj6ELj32EfEEvi20rocsparse_direction_NS_24const_host_device_scalarIT2_EEPKiS6_PKS3_S8_S4_PS3_21rocsparse_index_base_b
		.amdhsa_group_segment_fixed_size 0
		.amdhsa_private_segment_fixed_size 0
		.amdhsa_kernarg_size 72
		.amdhsa_user_sgpr_count 2
		.amdhsa_user_sgpr_dispatch_ptr 0
		.amdhsa_user_sgpr_queue_ptr 0
		.amdhsa_user_sgpr_kernarg_segment_ptr 1
		.amdhsa_user_sgpr_dispatch_id 0
		.amdhsa_user_sgpr_kernarg_preload_length 0
		.amdhsa_user_sgpr_kernarg_preload_offset 0
		.amdhsa_user_sgpr_private_segment_size 0
		.amdhsa_wavefront_size32 1
		.amdhsa_uses_dynamic_stack 0
		.amdhsa_enable_private_segment 0
		.amdhsa_system_sgpr_workgroup_id_x 1
		.amdhsa_system_sgpr_workgroup_id_y 0
		.amdhsa_system_sgpr_workgroup_id_z 0
		.amdhsa_system_sgpr_workgroup_info 0
		.amdhsa_system_vgpr_workitem_id 0
		.amdhsa_next_free_vgpr 36
		.amdhsa_next_free_sgpr 18
		.amdhsa_named_barrier_count 0
		.amdhsa_reserve_vcc 1
		.amdhsa_float_round_mode_32 0
		.amdhsa_float_round_mode_16_64 0
		.amdhsa_float_denorm_mode_32 3
		.amdhsa_float_denorm_mode_16_64 3
		.amdhsa_fp16_overflow 0
		.amdhsa_memory_ordered 1
		.amdhsa_forward_progress 1
		.amdhsa_inst_pref_size 13
		.amdhsa_round_robin_scheduling 0
		.amdhsa_exception_fp_ieee_invalid_op 0
		.amdhsa_exception_fp_denorm_src 0
		.amdhsa_exception_fp_ieee_div_zero 0
		.amdhsa_exception_fp_ieee_overflow 0
		.amdhsa_exception_fp_ieee_underflow 0
		.amdhsa_exception_fp_ieee_inexact 0
		.amdhsa_exception_int_div_zero 0
	.end_amdhsa_kernel
	.section	.text._ZN9rocsparseL19gebsrmvn_2xn_kernelILj128ELj6ELj32EfEEvi20rocsparse_direction_NS_24const_host_device_scalarIT2_EEPKiS6_PKS3_S8_S4_PS3_21rocsparse_index_base_b,"axG",@progbits,_ZN9rocsparseL19gebsrmvn_2xn_kernelILj128ELj6ELj32EfEEvi20rocsparse_direction_NS_24const_host_device_scalarIT2_EEPKiS6_PKS3_S8_S4_PS3_21rocsparse_index_base_b,comdat
.Lfunc_end23:
	.size	_ZN9rocsparseL19gebsrmvn_2xn_kernelILj128ELj6ELj32EfEEvi20rocsparse_direction_NS_24const_host_device_scalarIT2_EEPKiS6_PKS3_S8_S4_PS3_21rocsparse_index_base_b, .Lfunc_end23-_ZN9rocsparseL19gebsrmvn_2xn_kernelILj128ELj6ELj32EfEEvi20rocsparse_direction_NS_24const_host_device_scalarIT2_EEPKiS6_PKS3_S8_S4_PS3_21rocsparse_index_base_b
                                        ; -- End function
	.set _ZN9rocsparseL19gebsrmvn_2xn_kernelILj128ELj6ELj32EfEEvi20rocsparse_direction_NS_24const_host_device_scalarIT2_EEPKiS6_PKS3_S8_S4_PS3_21rocsparse_index_base_b.num_vgpr, 36
	.set _ZN9rocsparseL19gebsrmvn_2xn_kernelILj128ELj6ELj32EfEEvi20rocsparse_direction_NS_24const_host_device_scalarIT2_EEPKiS6_PKS3_S8_S4_PS3_21rocsparse_index_base_b.num_agpr, 0
	.set _ZN9rocsparseL19gebsrmvn_2xn_kernelILj128ELj6ELj32EfEEvi20rocsparse_direction_NS_24const_host_device_scalarIT2_EEPKiS6_PKS3_S8_S4_PS3_21rocsparse_index_base_b.numbered_sgpr, 18
	.set _ZN9rocsparseL19gebsrmvn_2xn_kernelILj128ELj6ELj32EfEEvi20rocsparse_direction_NS_24const_host_device_scalarIT2_EEPKiS6_PKS3_S8_S4_PS3_21rocsparse_index_base_b.num_named_barrier, 0
	.set _ZN9rocsparseL19gebsrmvn_2xn_kernelILj128ELj6ELj32EfEEvi20rocsparse_direction_NS_24const_host_device_scalarIT2_EEPKiS6_PKS3_S8_S4_PS3_21rocsparse_index_base_b.private_seg_size, 0
	.set _ZN9rocsparseL19gebsrmvn_2xn_kernelILj128ELj6ELj32EfEEvi20rocsparse_direction_NS_24const_host_device_scalarIT2_EEPKiS6_PKS3_S8_S4_PS3_21rocsparse_index_base_b.uses_vcc, 1
	.set _ZN9rocsparseL19gebsrmvn_2xn_kernelILj128ELj6ELj32EfEEvi20rocsparse_direction_NS_24const_host_device_scalarIT2_EEPKiS6_PKS3_S8_S4_PS3_21rocsparse_index_base_b.uses_flat_scratch, 0
	.set _ZN9rocsparseL19gebsrmvn_2xn_kernelILj128ELj6ELj32EfEEvi20rocsparse_direction_NS_24const_host_device_scalarIT2_EEPKiS6_PKS3_S8_S4_PS3_21rocsparse_index_base_b.has_dyn_sized_stack, 0
	.set _ZN9rocsparseL19gebsrmvn_2xn_kernelILj128ELj6ELj32EfEEvi20rocsparse_direction_NS_24const_host_device_scalarIT2_EEPKiS6_PKS3_S8_S4_PS3_21rocsparse_index_base_b.has_recursion, 0
	.set _ZN9rocsparseL19gebsrmvn_2xn_kernelILj128ELj6ELj32EfEEvi20rocsparse_direction_NS_24const_host_device_scalarIT2_EEPKiS6_PKS3_S8_S4_PS3_21rocsparse_index_base_b.has_indirect_call, 0
	.section	.AMDGPU.csdata,"",@progbits
; Kernel info:
; codeLenInByte = 1588
; TotalNumSgprs: 20
; NumVgprs: 36
; ScratchSize: 0
; MemoryBound: 0
; FloatMode: 240
; IeeeMode: 1
; LDSByteSize: 0 bytes/workgroup (compile time only)
; SGPRBlocks: 0
; VGPRBlocks: 2
; NumSGPRsForWavesPerEU: 20
; NumVGPRsForWavesPerEU: 36
; NamedBarCnt: 0
; Occupancy: 16
; WaveLimiterHint : 1
; COMPUTE_PGM_RSRC2:SCRATCH_EN: 0
; COMPUTE_PGM_RSRC2:USER_SGPR: 2
; COMPUTE_PGM_RSRC2:TRAP_HANDLER: 0
; COMPUTE_PGM_RSRC2:TGID_X_EN: 1
; COMPUTE_PGM_RSRC2:TGID_Y_EN: 0
; COMPUTE_PGM_RSRC2:TGID_Z_EN: 0
; COMPUTE_PGM_RSRC2:TIDIG_COMP_CNT: 0
	.section	.text._ZN9rocsparseL19gebsrmvn_2xn_kernelILj128ELj6ELj64EfEEvi20rocsparse_direction_NS_24const_host_device_scalarIT2_EEPKiS6_PKS3_S8_S4_PS3_21rocsparse_index_base_b,"axG",@progbits,_ZN9rocsparseL19gebsrmvn_2xn_kernelILj128ELj6ELj64EfEEvi20rocsparse_direction_NS_24const_host_device_scalarIT2_EEPKiS6_PKS3_S8_S4_PS3_21rocsparse_index_base_b,comdat
	.globl	_ZN9rocsparseL19gebsrmvn_2xn_kernelILj128ELj6ELj64EfEEvi20rocsparse_direction_NS_24const_host_device_scalarIT2_EEPKiS6_PKS3_S8_S4_PS3_21rocsparse_index_base_b ; -- Begin function _ZN9rocsparseL19gebsrmvn_2xn_kernelILj128ELj6ELj64EfEEvi20rocsparse_direction_NS_24const_host_device_scalarIT2_EEPKiS6_PKS3_S8_S4_PS3_21rocsparse_index_base_b
	.p2align	8
	.type	_ZN9rocsparseL19gebsrmvn_2xn_kernelILj128ELj6ELj64EfEEvi20rocsparse_direction_NS_24const_host_device_scalarIT2_EEPKiS6_PKS3_S8_S4_PS3_21rocsparse_index_base_b,@function
_ZN9rocsparseL19gebsrmvn_2xn_kernelILj128ELj6ELj64EfEEvi20rocsparse_direction_NS_24const_host_device_scalarIT2_EEPKiS6_PKS3_S8_S4_PS3_21rocsparse_index_base_b: ; @_ZN9rocsparseL19gebsrmvn_2xn_kernelILj128ELj6ELj64EfEEvi20rocsparse_direction_NS_24const_host_device_scalarIT2_EEPKiS6_PKS3_S8_S4_PS3_21rocsparse_index_base_b
; %bb.0:
	s_clause 0x2
	s_load_b64 s[16:17], s[0:1], 0x40
	s_load_b64 s[14:15], s[0:1], 0x8
	;; [unrolled: 1-line block ×3, first 2 shown]
	s_wait_kmcnt 0x0
	s_bitcmp1_b32 s17, 0
	s_cselect_b32 s2, -1, 0
	s_delay_alu instid0(SALU_CYCLE_1)
	s_and_b32 vcc_lo, exec_lo, s2
	s_xor_b32 s2, s2, -1
	s_cbranch_vccnz .LBB24_2
; %bb.1:
	s_load_b32 s14, s[14:15], 0x0
.LBB24_2:
	s_and_not1_b32 vcc_lo, exec_lo, s2
	s_cbranch_vccnz .LBB24_4
; %bb.3:
	s_load_b32 s12, s[12:13], 0x0
.LBB24_4:
	s_wait_kmcnt 0x0
	s_cmp_eq_f32 s14, 0
	s_cselect_b32 s2, -1, 0
	s_cmp_eq_f32 s12, 1.0
	s_cselect_b32 s3, -1, 0
	s_delay_alu instid0(SALU_CYCLE_1) | instskip(NEXT) | instid1(SALU_CYCLE_1)
	s_and_b32 s2, s2, s3
	s_and_b32 vcc_lo, exec_lo, s2
	s_cbranch_vccnz .LBB24_23
; %bb.5:
	s_load_b64 s[2:3], s[0:1], 0x0
	s_bfe_u32 s4, ttmp6, 0x4000c
	s_and_b32 s5, ttmp6, 15
	s_add_co_i32 s4, s4, 1
	s_getreg_b32 s6, hwreg(HW_REG_IB_STS2, 6, 4)
	s_mul_i32 s4, ttmp9, s4
	v_lshrrev_b32_e32 v1, 6, v0
	s_add_co_i32 s5, s5, s4
	s_cmp_eq_u32 s6, 0
	s_cselect_b32 s4, ttmp9, s5
	s_delay_alu instid0(VALU_DEP_1) | instid1(SALU_CYCLE_1)
	v_lshl_or_b32 v2, s4, 1, v1
	s_wait_kmcnt 0x0
	s_delay_alu instid0(VALU_DEP_1)
	v_cmp_gt_i32_e32 vcc_lo, s2, v2
	s_and_saveexec_b32 s2, vcc_lo
	s_cbranch_execz .LBB24_23
; %bb.6:
	s_load_b256 s[4:11], s[0:1], 0x10
	v_ashrrev_i32_e32 v3, 31, v2
	s_cmp_lg_u32 s3, 0
	s_wait_kmcnt 0x0
	s_delay_alu instid0(VALU_DEP_1)
	v_lshl_add_u64 v[4:5], v[2:3], 2, s[4:5]
	v_and_b32_e32 v3, 63, v0
	global_load_b64 v[4:5], v[4:5], off
	s_wait_loadcnt 0x0
	v_subrev_nc_u32_e32 v0, s16, v4
	v_subrev_nc_u32_e32 v8, s16, v5
	s_delay_alu instid0(VALU_DEP_2) | instskip(NEXT) | instid1(VALU_DEP_1)
	v_add_nc_u32_e32 v9, v0, v3
	v_cmp_lt_i32_e64 s2, v9, v8
	s_cbranch_scc0 .LBB24_12
; %bb.7:
	v_mov_b32_e32 v1, 0
	s_delay_alu instid0(VALU_DEP_1)
	v_mov_b32_e32 v0, v1
	s_and_saveexec_b32 s3, s2
	s_cbranch_execz .LBB24_11
; %bb.8:
	v_mad_u32 v4, v9, 12, 10
	v_dual_mov_b32 v7, 0 :: v_dual_mov_b32 v10, v9
	s_mov_b32 s4, 0
	s_delay_alu instid0(VALU_DEP_1)
	v_dual_mov_b32 v0, v7 :: v_dual_mov_b32 v1, v7
.LBB24_9:                               ; =>This Inner Loop Header: Depth=1
	global_load_b32 v5, v10, s[6:7] scale_offset
	v_dual_mov_b32 v17, v7 :: v_dual_add_nc_u32 v6, -10, v4
	s_wait_xcnt 0x0
	v_add_nc_u32_e32 v10, 64, v10
	s_delay_alu instid0(VALU_DEP_2) | instskip(SKIP_1) | instid1(VALU_DEP_3)
	v_lshl_add_u64 v[12:13], v[6:7], 2, s[8:9]
	v_add_nc_u32_e32 v6, -6, v4
	v_cmp_ge_i32_e32 vcc_lo, v10, v8
	global_load_b128 v[12:15], v[12:13], off
	s_or_b32 s4, vcc_lo, s4
	s_wait_loadcnt 0x1
	v_subrev_nc_u32_e32 v5, s16, v5
	s_delay_alu instid0(VALU_DEP_1) | instskip(SKIP_2) | instid1(VALU_DEP_3)
	v_mul_lo_u32 v16, v5, 6
	v_mov_b32_e32 v5, v7
	v_lshl_add_u64 v[18:19], v[6:7], 2, s[8:9]
	v_lshl_add_u64 v[20:21], v[16:17], 2, s[10:11]
	v_add_nc_u32_e32 v6, 2, v16
	global_load_b64 v[20:21], v[20:21], off
	v_lshl_add_u64 v[22:23], v[6:7], 2, s[10:11]
	v_add_nc_u32_e32 v6, -4, v4
	global_load_b64 v[26:27], v[18:19], off
	global_load_b64 v[28:29], v[22:23], off
	v_lshl_add_u64 v[24:25], v[6:7], 2, s[8:9]
	v_add_nc_u32_e32 v6, -2, v4
	s_wait_xcnt 0x1
	s_delay_alu instid0(VALU_DEP_1)
	v_lshl_add_u64 v[18:19], v[6:7], 2, s[8:9]
	v_add_nc_u32_e32 v6, 4, v16
	global_load_b64 v[16:17], v[24:25], off
	s_wait_xcnt 0x0
	v_lshl_add_u64 v[24:25], v[4:5], 2, s[8:9]
	v_add_nc_u32_e32 v4, 0x300, v4
	v_lshl_add_u64 v[22:23], v[6:7], 2, s[10:11]
	global_load_b64 v[30:31], v[18:19], off
	global_load_b64 v[32:33], v[22:23], off
	;; [unrolled: 1-line block ×3, first 2 shown]
	s_wait_loadcnt 0x6
	v_pk_fma_f32 v[0:1], v[12:13], v[20:21], v[0:1] op_sel_hi:[1,0,1]
	s_delay_alu instid0(VALU_DEP_1) | instskip(SKIP_1) | instid1(VALU_DEP_1)
	v_pk_fma_f32 v[0:1], v[14:15], v[20:21], v[0:1] op_sel:[0,1,0]
	s_wait_loadcnt 0x4
	v_pk_fma_f32 v[0:1], v[26:27], v[28:29], v[0:1] op_sel_hi:[1,0,1]
	s_wait_loadcnt 0x3
	s_delay_alu instid0(VALU_DEP_1) | instskip(SKIP_1) | instid1(VALU_DEP_1)
	v_pk_fma_f32 v[0:1], v[16:17], v[28:29], v[0:1] op_sel:[0,1,0]
	s_wait_loadcnt 0x1
	v_pk_fma_f32 v[0:1], v[30:31], v[32:33], v[0:1] op_sel_hi:[1,0,1]
	s_wait_loadcnt 0x0
	s_delay_alu instid0(VALU_DEP_1)
	v_pk_fma_f32 v[0:1], v[34:35], v[32:33], v[0:1] op_sel:[0,1,0]
	s_and_not1_b32 exec_lo, exec_lo, s4
	s_cbranch_execnz .LBB24_9
; %bb.10:
	s_or_b32 exec_lo, exec_lo, s4
.LBB24_11:
	s_delay_alu instid0(SALU_CYCLE_1)
	s_or_b32 exec_lo, exec_lo, s3
	s_cbranch_execz .LBB24_13
	s_branch .LBB24_18
.LBB24_12:
                                        ; implicit-def: $vgpr1
.LBB24_13:
	v_mov_b32_e32 v1, 0
	s_delay_alu instid0(VALU_DEP_1)
	v_mov_b32_e32 v0, v1
	s_and_saveexec_b32 s3, s2
	s_cbranch_execz .LBB24_17
; %bb.14:
	v_mad_u32 v6, v9, 12, 11
	v_mov_b32_e32 v5, 0
	s_mov_b32 s2, 0
	s_delay_alu instid0(VALU_DEP_1)
	v_dual_mov_b32 v0, v5 :: v_dual_mov_b32 v1, v5
.LBB24_15:                              ; =>This Inner Loop Header: Depth=1
	global_load_b32 v4, v9, s[6:7] scale_offset
	v_dual_mov_b32 v15, v5 :: v_dual_add_nc_u32 v18, -3, v6
	s_wait_xcnt 0x0
	v_dual_add_nc_u32 v7, -4, v6 :: v_dual_add_nc_u32 v9, 64, v9
	global_load_b32 v23, v18, s[8:9] scale_offset
	s_wait_xcnt 0x0
	v_add_nc_u32_e32 v18, -1, v6
	global_load_b32 v19, v7, s[8:9] scale_offset
	s_wait_xcnt 0x0
	v_add_nc_u32_e32 v7, -2, v6
	v_cmp_ge_i32_e32 vcc_lo, v9, v8
	global_load_b32 v25, v7, s[8:9] scale_offset
	s_or_b32 s2, vcc_lo, s2
	s_wait_loadcnt 0x3
	v_subrev_nc_u32_e32 v4, s16, v4
	s_delay_alu instid0(VALU_DEP_1) | instskip(SKIP_1) | instid1(VALU_DEP_1)
	v_mul_lo_u32 v14, v4, 6
	v_add_nc_u32_e32 v4, -11, v6
	v_lshl_add_u64 v[10:11], v[4:5], 2, s[8:9]
	v_add_nc_u32_e32 v4, -5, v6
	global_load_b128 v[10:13], v[10:11], off
	v_lshl_add_u64 v[16:17], v[14:15], 2, s[10:11]
	global_load_b32 v15, v4, s[8:9] scale_offset
	s_wait_xcnt 0x0
	v_add_nc_u32_e32 v4, 2, v14
	global_load_b64 v[16:17], v[16:17], off
	v_lshl_add_u64 v[20:21], v[4:5], 2, s[10:11]
	v_add_nc_u32_e32 v4, 4, v14
	v_add_nc_u32_e32 v14, -7, v6
	global_load_b64 v[20:21], v[20:21], off
	v_lshl_add_u64 v[26:27], v[4:5], 2, s[10:11]
	s_wait_loadcnt 0x3
	v_dual_add_nc_u32 v4, -6, v6 :: v_dual_mov_b32 v22, v12
	s_clause 0x1
	global_load_b32 v28, v14, s[8:9] scale_offset
	global_load_b32 v29, v18, s[8:9] scale_offset
	global_load_b64 v[30:31], v[26:27], off
	s_clause 0x1
	global_load_b32 v32, v4, s[8:9] scale_offset
	global_load_b32 v33, v6, s[8:9] scale_offset
	s_wait_xcnt 0x3
	v_dual_mov_b32 v14, v10 :: v_dual_mov_b32 v18, v11
	v_mov_b32_e32 v24, v13
	s_wait_xcnt 0x0
	v_add_nc_u32_e32 v6, 0x300, v6
	s_wait_loadcnt 0x6
	v_pk_fma_f32 v[0:1], v[14:15], v[16:17], v[0:1] op_sel_hi:[1,0,1]
	s_delay_alu instid0(VALU_DEP_1) | instskip(SKIP_1) | instid1(VALU_DEP_1)
	v_pk_fma_f32 v[0:1], v[18:19], v[16:17], v[0:1] op_sel:[0,1,0]
	s_wait_loadcnt 0x5
	v_pk_fma_f32 v[0:1], v[22:23], v[20:21], v[0:1] op_sel_hi:[1,0,1]
	s_delay_alu instid0(VALU_DEP_1) | instskip(SKIP_1) | instid1(VALU_DEP_1)
	v_pk_fma_f32 v[0:1], v[24:25], v[20:21], v[0:1] op_sel:[0,1,0]
	s_wait_loadcnt 0x2
	v_pk_fma_f32 v[0:1], v[28:29], v[30:31], v[0:1] op_sel_hi:[1,0,1]
	s_wait_loadcnt 0x0
	s_delay_alu instid0(VALU_DEP_1)
	v_pk_fma_f32 v[0:1], v[32:33], v[30:31], v[0:1] op_sel:[0,1,0]
	s_and_not1_b32 exec_lo, exec_lo, s2
	s_cbranch_execnz .LBB24_15
; %bb.16:
	s_or_b32 exec_lo, exec_lo, s2
.LBB24_17:
	s_delay_alu instid0(SALU_CYCLE_1)
	s_or_b32 exec_lo, exec_lo, s3
.LBB24_18:
	v_mbcnt_lo_u32_b32 v6, -1, 0
	s_mov_b32 s2, -1
	s_delay_alu instid0(VALU_DEP_1) | instskip(SKIP_1) | instid1(VALU_DEP_1)
	v_xor_b32_e32 v7, 16, v6
	v_or_b32_e32 v4, 32, v6
	v_cmp_gt_i32_e32 vcc_lo, 32, v4
	v_cndmask_b32_e32 v4, v6, v4, vcc_lo
	s_delay_alu instid0(VALU_DEP_4) | instskip(SKIP_1) | instid1(VALU_DEP_1)
	v_cmp_gt_i32_e32 vcc_lo, 32, v7
	v_cndmask_b32_e32 v7, v6, v7, vcc_lo
	v_dual_lshlrev_b32 v7, 2, v7 :: v_dual_lshlrev_b32 v5, 2, v4
	ds_bpermute_b32 v4, v5, v0
	ds_bpermute_b32 v5, v5, v1
	s_wait_dscnt 0x0
	v_pk_add_f32 v[0:1], v[0:1], v[4:5]
	ds_bpermute_b32 v4, v7, v0
	ds_bpermute_b32 v5, v7, v1
	v_xor_b32_e32 v7, 8, v6
	s_delay_alu instid0(VALU_DEP_1) | instskip(SKIP_1) | instid1(VALU_DEP_1)
	v_cmp_gt_i32_e32 vcc_lo, 32, v7
	v_cndmask_b32_e32 v7, v6, v7, vcc_lo
	v_lshlrev_b32_e32 v7, 2, v7
	s_wait_dscnt 0x0
	v_pk_add_f32 v[0:1], v[0:1], v[4:5]
	ds_bpermute_b32 v4, v7, v0
	ds_bpermute_b32 v5, v7, v1
	v_xor_b32_e32 v7, 4, v6
	s_delay_alu instid0(VALU_DEP_1) | instskip(SKIP_1) | instid1(VALU_DEP_1)
	v_cmp_gt_i32_e32 vcc_lo, 32, v7
	v_cndmask_b32_e32 v7, v6, v7, vcc_lo
	v_lshlrev_b32_e32 v7, 2, v7
	;; [unrolled: 9-line block ×3, first 2 shown]
	s_wait_dscnt 0x0
	v_pk_add_f32 v[0:1], v[0:1], v[4:5]
	ds_bpermute_b32 v4, v7, v0
	ds_bpermute_b32 v5, v7, v1
	v_xor_b32_e32 v7, 1, v6
	s_delay_alu instid0(VALU_DEP_1) | instskip(SKIP_2) | instid1(VALU_DEP_2)
	v_cmp_gt_i32_e32 vcc_lo, 32, v7
	v_cndmask_b32_e32 v6, v6, v7, vcc_lo
	v_cmp_eq_u32_e32 vcc_lo, 63, v3
	v_lshlrev_b32_e32 v6, 2, v6
	s_wait_dscnt 0x0
	v_pk_add_f32 v[0:1], v[0:1], v[4:5]
	ds_bpermute_b32 v4, v6, v0
	ds_bpermute_b32 v5, v6, v1
	s_and_b32 exec_lo, exec_lo, vcc_lo
	s_cbranch_execz .LBB24_23
; %bb.19:
	s_load_b64 s[0:1], s[0:1], 0x38
	s_wait_dscnt 0x0
	v_pk_add_f32 v[0:1], v[0:1], v[4:5]
	v_lshlrev_b32_e32 v2, 1, v2
	s_cmp_eq_f32 s12, 0
	s_cbranch_scc0 .LBB24_21
; %bb.20:
	s_delay_alu instid0(VALU_DEP_1) | instskip(SKIP_3) | instid1(VALU_DEP_2)
	v_ashrrev_i32_e32 v3, 31, v2
	v_pk_mul_f32 v[6:7], s[14:15], v[0:1] op_sel_hi:[0,1]
	s_mov_b32 s2, 0
	s_wait_kmcnt 0x0
	v_lshl_add_u64 v[4:5], v[2:3], 2, s[0:1]
	global_store_b64 v[4:5], v[6:7], off
.LBB24_21:
	s_and_not1_b32 vcc_lo, exec_lo, s2
	s_cbranch_vccnz .LBB24_23
; %bb.22:
	v_ashrrev_i32_e32 v3, 31, v2
	v_pk_mul_f32 v[0:1], s[14:15], v[0:1] op_sel_hi:[0,1]
	s_wait_kmcnt 0x0
	s_delay_alu instid0(VALU_DEP_2)
	v_lshl_add_u64 v[2:3], v[2:3], 2, s[0:1]
	global_load_b64 v[4:5], v[2:3], off
	s_wait_loadcnt 0x0
	v_pk_fma_f32 v[0:1], s[12:13], v[4:5], v[0:1] op_sel_hi:[0,1,1]
	global_store_b64 v[2:3], v[0:1], off
.LBB24_23:
	s_endpgm
	.section	.rodata,"a",@progbits
	.p2align	6, 0x0
	.amdhsa_kernel _ZN9rocsparseL19gebsrmvn_2xn_kernelILj128ELj6ELj64EfEEvi20rocsparse_direction_NS_24const_host_device_scalarIT2_EEPKiS6_PKS3_S8_S4_PS3_21rocsparse_index_base_b
		.amdhsa_group_segment_fixed_size 0
		.amdhsa_private_segment_fixed_size 0
		.amdhsa_kernarg_size 72
		.amdhsa_user_sgpr_count 2
		.amdhsa_user_sgpr_dispatch_ptr 0
		.amdhsa_user_sgpr_queue_ptr 0
		.amdhsa_user_sgpr_kernarg_segment_ptr 1
		.amdhsa_user_sgpr_dispatch_id 0
		.amdhsa_user_sgpr_kernarg_preload_length 0
		.amdhsa_user_sgpr_kernarg_preload_offset 0
		.amdhsa_user_sgpr_private_segment_size 0
		.amdhsa_wavefront_size32 1
		.amdhsa_uses_dynamic_stack 0
		.amdhsa_enable_private_segment 0
		.amdhsa_system_sgpr_workgroup_id_x 1
		.amdhsa_system_sgpr_workgroup_id_y 0
		.amdhsa_system_sgpr_workgroup_id_z 0
		.amdhsa_system_sgpr_workgroup_info 0
		.amdhsa_system_vgpr_workitem_id 0
		.amdhsa_next_free_vgpr 36
		.amdhsa_next_free_sgpr 18
		.amdhsa_named_barrier_count 0
		.amdhsa_reserve_vcc 1
		.amdhsa_float_round_mode_32 0
		.amdhsa_float_round_mode_16_64 0
		.amdhsa_float_denorm_mode_32 3
		.amdhsa_float_denorm_mode_16_64 3
		.amdhsa_fp16_overflow 0
		.amdhsa_memory_ordered 1
		.amdhsa_forward_progress 1
		.amdhsa_inst_pref_size 13
		.amdhsa_round_robin_scheduling 0
		.amdhsa_exception_fp_ieee_invalid_op 0
		.amdhsa_exception_fp_denorm_src 0
		.amdhsa_exception_fp_ieee_div_zero 0
		.amdhsa_exception_fp_ieee_overflow 0
		.amdhsa_exception_fp_ieee_underflow 0
		.amdhsa_exception_fp_ieee_inexact 0
		.amdhsa_exception_int_div_zero 0
	.end_amdhsa_kernel
	.section	.text._ZN9rocsparseL19gebsrmvn_2xn_kernelILj128ELj6ELj64EfEEvi20rocsparse_direction_NS_24const_host_device_scalarIT2_EEPKiS6_PKS3_S8_S4_PS3_21rocsparse_index_base_b,"axG",@progbits,_ZN9rocsparseL19gebsrmvn_2xn_kernelILj128ELj6ELj64EfEEvi20rocsparse_direction_NS_24const_host_device_scalarIT2_EEPKiS6_PKS3_S8_S4_PS3_21rocsparse_index_base_b,comdat
.Lfunc_end24:
	.size	_ZN9rocsparseL19gebsrmvn_2xn_kernelILj128ELj6ELj64EfEEvi20rocsparse_direction_NS_24const_host_device_scalarIT2_EEPKiS6_PKS3_S8_S4_PS3_21rocsparse_index_base_b, .Lfunc_end24-_ZN9rocsparseL19gebsrmvn_2xn_kernelILj128ELj6ELj64EfEEvi20rocsparse_direction_NS_24const_host_device_scalarIT2_EEPKiS6_PKS3_S8_S4_PS3_21rocsparse_index_base_b
                                        ; -- End function
	.set _ZN9rocsparseL19gebsrmvn_2xn_kernelILj128ELj6ELj64EfEEvi20rocsparse_direction_NS_24const_host_device_scalarIT2_EEPKiS6_PKS3_S8_S4_PS3_21rocsparse_index_base_b.num_vgpr, 36
	.set _ZN9rocsparseL19gebsrmvn_2xn_kernelILj128ELj6ELj64EfEEvi20rocsparse_direction_NS_24const_host_device_scalarIT2_EEPKiS6_PKS3_S8_S4_PS3_21rocsparse_index_base_b.num_agpr, 0
	.set _ZN9rocsparseL19gebsrmvn_2xn_kernelILj128ELj6ELj64EfEEvi20rocsparse_direction_NS_24const_host_device_scalarIT2_EEPKiS6_PKS3_S8_S4_PS3_21rocsparse_index_base_b.numbered_sgpr, 18
	.set _ZN9rocsparseL19gebsrmvn_2xn_kernelILj128ELj6ELj64EfEEvi20rocsparse_direction_NS_24const_host_device_scalarIT2_EEPKiS6_PKS3_S8_S4_PS3_21rocsparse_index_base_b.num_named_barrier, 0
	.set _ZN9rocsparseL19gebsrmvn_2xn_kernelILj128ELj6ELj64EfEEvi20rocsparse_direction_NS_24const_host_device_scalarIT2_EEPKiS6_PKS3_S8_S4_PS3_21rocsparse_index_base_b.private_seg_size, 0
	.set _ZN9rocsparseL19gebsrmvn_2xn_kernelILj128ELj6ELj64EfEEvi20rocsparse_direction_NS_24const_host_device_scalarIT2_EEPKiS6_PKS3_S8_S4_PS3_21rocsparse_index_base_b.uses_vcc, 1
	.set _ZN9rocsparseL19gebsrmvn_2xn_kernelILj128ELj6ELj64EfEEvi20rocsparse_direction_NS_24const_host_device_scalarIT2_EEPKiS6_PKS3_S8_S4_PS3_21rocsparse_index_base_b.uses_flat_scratch, 0
	.set _ZN9rocsparseL19gebsrmvn_2xn_kernelILj128ELj6ELj64EfEEvi20rocsparse_direction_NS_24const_host_device_scalarIT2_EEPKiS6_PKS3_S8_S4_PS3_21rocsparse_index_base_b.has_dyn_sized_stack, 0
	.set _ZN9rocsparseL19gebsrmvn_2xn_kernelILj128ELj6ELj64EfEEvi20rocsparse_direction_NS_24const_host_device_scalarIT2_EEPKiS6_PKS3_S8_S4_PS3_21rocsparse_index_base_b.has_recursion, 0
	.set _ZN9rocsparseL19gebsrmvn_2xn_kernelILj128ELj6ELj64EfEEvi20rocsparse_direction_NS_24const_host_device_scalarIT2_EEPKiS6_PKS3_S8_S4_PS3_21rocsparse_index_base_b.has_indirect_call, 0
	.section	.AMDGPU.csdata,"",@progbits
; Kernel info:
; codeLenInByte = 1636
; TotalNumSgprs: 20
; NumVgprs: 36
; ScratchSize: 0
; MemoryBound: 0
; FloatMode: 240
; IeeeMode: 1
; LDSByteSize: 0 bytes/workgroup (compile time only)
; SGPRBlocks: 0
; VGPRBlocks: 2
; NumSGPRsForWavesPerEU: 20
; NumVGPRsForWavesPerEU: 36
; NamedBarCnt: 0
; Occupancy: 16
; WaveLimiterHint : 1
; COMPUTE_PGM_RSRC2:SCRATCH_EN: 0
; COMPUTE_PGM_RSRC2:USER_SGPR: 2
; COMPUTE_PGM_RSRC2:TRAP_HANDLER: 0
; COMPUTE_PGM_RSRC2:TGID_X_EN: 1
; COMPUTE_PGM_RSRC2:TGID_Y_EN: 0
; COMPUTE_PGM_RSRC2:TGID_Z_EN: 0
; COMPUTE_PGM_RSRC2:TIDIG_COMP_CNT: 0
	.section	.text._ZN9rocsparseL19gebsrmvn_2xn_kernelILj128ELj7ELj4EfEEvi20rocsparse_direction_NS_24const_host_device_scalarIT2_EEPKiS6_PKS3_S8_S4_PS3_21rocsparse_index_base_b,"axG",@progbits,_ZN9rocsparseL19gebsrmvn_2xn_kernelILj128ELj7ELj4EfEEvi20rocsparse_direction_NS_24const_host_device_scalarIT2_EEPKiS6_PKS3_S8_S4_PS3_21rocsparse_index_base_b,comdat
	.globl	_ZN9rocsparseL19gebsrmvn_2xn_kernelILj128ELj7ELj4EfEEvi20rocsparse_direction_NS_24const_host_device_scalarIT2_EEPKiS6_PKS3_S8_S4_PS3_21rocsparse_index_base_b ; -- Begin function _ZN9rocsparseL19gebsrmvn_2xn_kernelILj128ELj7ELj4EfEEvi20rocsparse_direction_NS_24const_host_device_scalarIT2_EEPKiS6_PKS3_S8_S4_PS3_21rocsparse_index_base_b
	.p2align	8
	.type	_ZN9rocsparseL19gebsrmvn_2xn_kernelILj128ELj7ELj4EfEEvi20rocsparse_direction_NS_24const_host_device_scalarIT2_EEPKiS6_PKS3_S8_S4_PS3_21rocsparse_index_base_b,@function
_ZN9rocsparseL19gebsrmvn_2xn_kernelILj128ELj7ELj4EfEEvi20rocsparse_direction_NS_24const_host_device_scalarIT2_EEPKiS6_PKS3_S8_S4_PS3_21rocsparse_index_base_b: ; @_ZN9rocsparseL19gebsrmvn_2xn_kernelILj128ELj7ELj4EfEEvi20rocsparse_direction_NS_24const_host_device_scalarIT2_EEPKiS6_PKS3_S8_S4_PS3_21rocsparse_index_base_b
; %bb.0:
	s_clause 0x2
	s_load_b64 s[16:17], s[0:1], 0x40
	s_load_b64 s[14:15], s[0:1], 0x8
	;; [unrolled: 1-line block ×3, first 2 shown]
	s_wait_kmcnt 0x0
	s_bitcmp1_b32 s17, 0
	s_cselect_b32 s2, -1, 0
	s_delay_alu instid0(SALU_CYCLE_1)
	s_and_b32 vcc_lo, exec_lo, s2
	s_xor_b32 s2, s2, -1
	s_cbranch_vccnz .LBB25_2
; %bb.1:
	s_load_b32 s14, s[14:15], 0x0
.LBB25_2:
	s_and_not1_b32 vcc_lo, exec_lo, s2
	s_cbranch_vccnz .LBB25_4
; %bb.3:
	s_load_b32 s12, s[12:13], 0x0
.LBB25_4:
	s_wait_kmcnt 0x0
	s_cmp_eq_f32 s14, 0
	s_cselect_b32 s2, -1, 0
	s_cmp_eq_f32 s12, 1.0
	s_cselect_b32 s3, -1, 0
	s_delay_alu instid0(SALU_CYCLE_1) | instskip(NEXT) | instid1(SALU_CYCLE_1)
	s_and_b32 s2, s2, s3
	s_and_b32 vcc_lo, exec_lo, s2
	s_cbranch_vccnz .LBB25_23
; %bb.5:
	s_load_b64 s[2:3], s[0:1], 0x0
	s_bfe_u32 s4, ttmp6, 0x4000c
	s_and_b32 s5, ttmp6, 15
	s_add_co_i32 s4, s4, 1
	s_getreg_b32 s6, hwreg(HW_REG_IB_STS2, 6, 4)
	s_mul_i32 s4, ttmp9, s4
	v_lshrrev_b32_e32 v1, 2, v0
	s_add_co_i32 s5, s5, s4
	s_cmp_eq_u32 s6, 0
	s_cselect_b32 s4, ttmp9, s5
	s_delay_alu instid0(VALU_DEP_1) | instid1(SALU_CYCLE_1)
	v_lshl_or_b32 v2, s4, 5, v1
	s_wait_kmcnt 0x0
	s_delay_alu instid0(VALU_DEP_1)
	v_cmp_gt_i32_e32 vcc_lo, s2, v2
	s_and_saveexec_b32 s2, vcc_lo
	s_cbranch_execz .LBB25_23
; %bb.6:
	s_load_b256 s[4:11], s[0:1], 0x10
	v_ashrrev_i32_e32 v3, 31, v2
	s_cmp_lg_u32 s3, 0
	s_wait_kmcnt 0x0
	s_delay_alu instid0(VALU_DEP_1)
	v_lshl_add_u64 v[4:5], v[2:3], 2, s[4:5]
	v_and_b32_e32 v3, 3, v0
	global_load_b64 v[4:5], v[4:5], off
	s_wait_loadcnt 0x0
	v_subrev_nc_u32_e32 v0, s16, v4
	v_subrev_nc_u32_e32 v8, s16, v5
	s_delay_alu instid0(VALU_DEP_2) | instskip(NEXT) | instid1(VALU_DEP_1)
	v_add_nc_u32_e32 v9, v0, v3
	v_cmp_lt_i32_e64 s2, v9, v8
	s_cbranch_scc0 .LBB25_12
; %bb.7:
	v_mov_b32_e32 v1, 0
	s_delay_alu instid0(VALU_DEP_1)
	v_mov_b32_e32 v0, v1
	s_and_saveexec_b32 s3, s2
	s_cbranch_execz .LBB25_11
; %bb.8:
	v_mad_u32 v4, v9, 14, 12
	v_dual_mov_b32 v7, 0 :: v_dual_mov_b32 v10, v9
	s_mov_b32 s4, 0
	s_delay_alu instid0(VALU_DEP_1)
	v_dual_mov_b32 v0, v7 :: v_dual_mov_b32 v1, v7
.LBB25_9:                               ; =>This Inner Loop Header: Depth=1
	global_load_b32 v5, v10, s[6:7] scale_offset
	s_wait_xcnt 0x0
	v_add_nc_u32_e32 v10, 4, v10
	s_delay_alu instid0(VALU_DEP_1) | instskip(SKIP_3) | instid1(VALU_DEP_1)
	v_cmp_ge_i32_e32 vcc_lo, v10, v8
	s_or_b32 s4, vcc_lo, s4
	s_wait_loadcnt 0x0
	v_subrev_nc_u32_e32 v5, s16, v5
	v_mul_lo_u32 v11, v5, 7
	s_delay_alu instid0(VALU_DEP_1) | instskip(NEXT) | instid1(VALU_DEP_1)
	v_dual_add_nc_u32 v6, -12, v4 :: v_dual_add_nc_u32 v5, 1, v11
	v_lshl_add_u64 v[12:13], v[6:7], 2, s[8:9]
	v_dual_add_nc_u32 v6, -10, v4 :: v_dual_add_nc_u32 v19, 2, v11
	s_clause 0x1
	global_load_b32 v18, v11, s[10:11] scale_offset
	global_load_b32 v20, v5, s[10:11] scale_offset
	global_load_b64 v[12:13], v[12:13], off
	v_lshl_add_u64 v[14:15], v[6:7], 2, s[8:9]
	s_wait_xcnt 0x1
	v_dual_add_nc_u32 v6, -8, v4 :: v_dual_add_nc_u32 v5, 3, v11
	v_add_nc_u32_e32 v21, 5, v11
	global_load_b64 v[14:15], v[14:15], off
	v_lshl_add_u64 v[16:17], v[6:7], 2, s[8:9]
	v_add_nc_u32_e32 v6, -6, v4
	global_load_b64 v[16:17], v[16:17], off
	v_lshl_add_u64 v[22:23], v[6:7], 2, s[8:9]
	v_add_nc_u32_e32 v6, -4, v4
	global_load_b32 v24, v19, s[10:11] scale_offset
	global_load_b64 v[26:27], v[22:23], off
	s_wait_xcnt 0x1
	v_add_nc_u32_e32 v19, 4, v11
	s_wait_xcnt 0x0
	v_lshl_add_u64 v[22:23], v[6:7], 2, s[8:9]
	v_add_nc_u32_e32 v6, -2, v4
	global_load_b32 v28, v5, s[10:11] scale_offset
	global_load_b64 v[22:23], v[22:23], off
	v_lshl_add_u64 v[30:31], v[6:7], 2, s[8:9]
	global_load_b32 v6, v19, s[10:11] scale_offset
	s_wait_xcnt 0x2
	v_mov_b32_e32 v5, v7
	global_load_b64 v[30:31], v[30:31], off
	v_lshl_add_u64 v[32:33], v[4:5], 2, s[8:9]
	v_add_nc_u32_e32 v5, 6, v11
	global_load_b32 v34, v21, s[10:11] scale_offset
	global_load_b64 v[36:37], v[32:33], off
	global_load_b32 v38, v5, s[10:11] scale_offset
	v_add_nc_u32_e32 v4, 56, v4
	s_wait_loadcnt 0xb
	v_pk_fma_f32 v[0:1], v[12:13], v[18:19], v[0:1] op_sel_hi:[1,0,1]
	s_wait_loadcnt 0xa
	s_delay_alu instid0(VALU_DEP_1) | instskip(SKIP_1) | instid1(VALU_DEP_1)
	v_pk_fma_f32 v[0:1], v[14:15], v[20:21], v[0:1] op_sel_hi:[1,0,1]
	s_wait_loadcnt 0x8
	v_pk_fma_f32 v[0:1], v[16:17], v[24:25], v[0:1] op_sel_hi:[1,0,1]
	s_wait_loadcnt 0x6
	s_delay_alu instid0(VALU_DEP_1) | instskip(SKIP_1) | instid1(VALU_DEP_1)
	v_pk_fma_f32 v[0:1], v[26:27], v[28:29], v[0:1] op_sel_hi:[1,0,1]
	;; [unrolled: 5-line block ×3, first 2 shown]
	s_wait_loadcnt 0x0
	v_pk_fma_f32 v[0:1], v[36:37], v[38:39], v[0:1] op_sel_hi:[1,0,1]
	s_and_not1_b32 exec_lo, exec_lo, s4
	s_cbranch_execnz .LBB25_9
; %bb.10:
	s_or_b32 exec_lo, exec_lo, s4
.LBB25_11:
	s_delay_alu instid0(SALU_CYCLE_1)
	s_or_b32 exec_lo, exec_lo, s3
	s_cbranch_execz .LBB25_13
	s_branch .LBB25_18
.LBB25_12:
                                        ; implicit-def: $vgpr1
.LBB25_13:
	v_mov_b32_e32 v1, 0
	s_delay_alu instid0(VALU_DEP_1)
	v_mov_b32_e32 v0, v1
	s_and_saveexec_b32 s3, s2
	s_cbranch_execz .LBB25_17
; %bb.14:
	v_mad_u32 v6, v9, 14, 13
	v_mov_b32_e32 v5, 0
	s_mov_b32 s2, 0
	s_delay_alu instid0(VALU_DEP_1)
	v_dual_mov_b32 v0, v5 :: v_dual_mov_b32 v1, v5
.LBB25_15:                              ; =>This Inner Loop Header: Depth=1
	global_load_b32 v4, v9, s[6:7] scale_offset
	v_dual_add_nc_u32 v14, -5, v6 :: v_dual_add_nc_u32 v17, -11, v6
	v_dual_add_nc_u32 v20, -4, v6 :: v_dual_add_nc_u32 v21, -10, v6
	s_wait_xcnt 0x0
	v_dual_add_nc_u32 v9, 4, v9 :: v_dual_add_nc_u32 v12, -6, v6
	v_add_nc_u32_e32 v24, -3, v6
	s_wait_loadcnt 0x0
	v_subrev_nc_u32_e32 v7, s16, v4
	v_add_nc_u32_e32 v4, -13, v6
	s_delay_alu instid0(VALU_DEP_2) | instskip(NEXT) | instid1(VALU_DEP_2)
	v_mul_lo_u32 v7, v7, 7
	v_lshl_add_u64 v[10:11], v[4:5], 2, s[8:9]
	v_add_nc_u32_e32 v25, -9, v6
	s_clause 0x1
	global_load_b64 v[10:11], v[10:11], off
	global_load_b32 v13, v12, s[8:9] scale_offset
	global_load_b32 v4, v7, s[10:11] scale_offset
	s_wait_xcnt 0x1
	v_add_nc_u32_e32 v12, 1, v7
	global_load_b32 v15, v14, s[8:9] scale_offset
	s_wait_xcnt 0x0
	v_add_nc_u32_e32 v14, 2, v7
	global_load_b32 v16, v12, s[10:11] scale_offset
	s_wait_xcnt 0x0
	v_add_nc_u32_e32 v12, -2, v6
	s_clause 0x1
	global_load_b32 v18, v17, s[8:9] scale_offset
	global_load_b32 v19, v20, s[8:9] scale_offset
	s_wait_xcnt 0x1
	v_add_nc_u32_e32 v17, 3, v7
	global_load_b32 v20, v14, s[10:11] scale_offset
	s_wait_xcnt 0x0
	v_add_nc_u32_e32 v14, -8, v6
	s_clause 0x1
	global_load_b32 v22, v21, s[8:9] scale_offset
	global_load_b32 v23, v24, s[8:9] scale_offset
	s_wait_xcnt 0x1
	v_add_nc_u32_e32 v21, 4, v7
	global_load_b32 v24, v17, s[10:11] scale_offset
	s_clause 0x1
	global_load_b32 v26, v25, s[8:9] scale_offset
	global_load_b32 v27, v12, s[8:9] scale_offset
	s_wait_xcnt 0x0
	v_dual_add_nc_u32 v17, -1, v6 :: v_dual_add_nc_u32 v12, 5, v7
	global_load_b32 v28, v21, s[10:11] scale_offset
	s_wait_xcnt 0x0
	v_dual_add_nc_u32 v21, -7, v6 :: v_dual_add_nc_u32 v7, 6, v7
	s_clause 0x1
	global_load_b32 v30, v14, s[8:9] scale_offset
	global_load_b32 v31, v17, s[8:9] scale_offset
	;; [unrolled: 1-line block ×3, first 2 shown]
	s_clause 0x1
	global_load_b32 v35, v6, s[8:9] scale_offset
	global_load_b32 v34, v21, s[8:9] scale_offset
	;; [unrolled: 1-line block ×3, first 2 shown]
	s_wait_xcnt 0x2
	v_add_nc_u32_e32 v6, 56, v6
	v_cmp_ge_i32_e32 vcc_lo, v9, v8
	s_or_b32 s2, vcc_lo, s2
	s_wait_loadcnt 0x13
	v_dual_mov_b32 v12, v10 :: v_dual_mov_b32 v14, v11
	s_wait_loadcnt 0x11
	s_delay_alu instid0(VALU_DEP_1) | instskip(SKIP_1) | instid1(VALU_DEP_1)
	v_pk_fma_f32 v[0:1], v[12:13], v[4:5], v[0:1] op_sel_hi:[1,0,1]
	s_wait_loadcnt 0xf
	v_pk_fma_f32 v[0:1], v[14:15], v[16:17], v[0:1] op_sel_hi:[1,0,1]
	s_wait_loadcnt 0xc
	s_delay_alu instid0(VALU_DEP_1) | instskip(SKIP_1) | instid1(VALU_DEP_1)
	v_pk_fma_f32 v[0:1], v[18:19], v[20:21], v[0:1] op_sel_hi:[1,0,1]
	s_wait_loadcnt 0x9
	v_pk_fma_f32 v[0:1], v[22:23], v[24:25], v[0:1] op_sel_hi:[1,0,1]
	s_wait_loadcnt 0x6
	s_delay_alu instid0(VALU_DEP_1) | instskip(SKIP_1) | instid1(VALU_DEP_1)
	v_pk_fma_f32 v[0:1], v[26:27], v[28:29], v[0:1] op_sel_hi:[1,0,1]
	s_wait_loadcnt 0x3
	v_pk_fma_f32 v[0:1], v[30:31], v[32:33], v[0:1] op_sel_hi:[1,0,1]
	s_wait_loadcnt 0x0
	s_delay_alu instid0(VALU_DEP_1)
	v_pk_fma_f32 v[0:1], v[34:35], v[36:37], v[0:1] op_sel_hi:[1,0,1]
	s_and_not1_b32 exec_lo, exec_lo, s2
	s_cbranch_execnz .LBB25_15
; %bb.16:
	s_or_b32 exec_lo, exec_lo, s2
.LBB25_17:
	s_delay_alu instid0(SALU_CYCLE_1)
	s_or_b32 exec_lo, exec_lo, s3
.LBB25_18:
	v_mbcnt_lo_u32_b32 v6, -1, 0
	s_mov_b32 s2, -1
	s_delay_alu instid0(VALU_DEP_1) | instskip(SKIP_1) | instid1(VALU_DEP_1)
	v_xor_b32_e32 v7, 1, v6
	v_xor_b32_e32 v4, 2, v6
	v_cmp_gt_i32_e32 vcc_lo, 32, v4
	v_cndmask_b32_e32 v4, v6, v4, vcc_lo
	s_delay_alu instid0(VALU_DEP_4) | instskip(SKIP_2) | instid1(VALU_DEP_2)
	v_cmp_gt_i32_e32 vcc_lo, 32, v7
	v_cndmask_b32_e32 v6, v6, v7, vcc_lo
	v_cmp_eq_u32_e32 vcc_lo, 3, v3
	v_dual_lshlrev_b32 v6, 2, v6 :: v_dual_lshlrev_b32 v5, 2, v4
	ds_bpermute_b32 v4, v5, v0
	ds_bpermute_b32 v5, v5, v1
	s_wait_dscnt 0x0
	v_pk_add_f32 v[0:1], v[0:1], v[4:5]
	ds_bpermute_b32 v4, v6, v0
	ds_bpermute_b32 v5, v6, v1
	s_and_b32 exec_lo, exec_lo, vcc_lo
	s_cbranch_execz .LBB25_23
; %bb.19:
	s_load_b64 s[0:1], s[0:1], 0x38
	s_wait_dscnt 0x0
	v_pk_add_f32 v[0:1], v[0:1], v[4:5]
	v_lshlrev_b32_e32 v2, 1, v2
	s_cmp_eq_f32 s12, 0
	s_cbranch_scc0 .LBB25_21
; %bb.20:
	s_delay_alu instid0(VALU_DEP_1) | instskip(SKIP_3) | instid1(VALU_DEP_2)
	v_ashrrev_i32_e32 v3, 31, v2
	v_pk_mul_f32 v[6:7], s[14:15], v[0:1] op_sel_hi:[0,1]
	s_mov_b32 s2, 0
	s_wait_kmcnt 0x0
	v_lshl_add_u64 v[4:5], v[2:3], 2, s[0:1]
	global_store_b64 v[4:5], v[6:7], off
.LBB25_21:
	s_and_not1_b32 vcc_lo, exec_lo, s2
	s_cbranch_vccnz .LBB25_23
; %bb.22:
	v_ashrrev_i32_e32 v3, 31, v2
	v_pk_mul_f32 v[0:1], s[14:15], v[0:1] op_sel_hi:[0,1]
	s_wait_kmcnt 0x0
	s_delay_alu instid0(VALU_DEP_2)
	v_lshl_add_u64 v[2:3], v[2:3], 2, s[0:1]
	global_load_b64 v[4:5], v[2:3], off
	s_wait_loadcnt 0x0
	v_pk_fma_f32 v[0:1], s[12:13], v[4:5], v[0:1] op_sel_hi:[0,1,1]
	global_store_b64 v[2:3], v[0:1], off
.LBB25_23:
	s_endpgm
	.section	.rodata,"a",@progbits
	.p2align	6, 0x0
	.amdhsa_kernel _ZN9rocsparseL19gebsrmvn_2xn_kernelILj128ELj7ELj4EfEEvi20rocsparse_direction_NS_24const_host_device_scalarIT2_EEPKiS6_PKS3_S8_S4_PS3_21rocsparse_index_base_b
		.amdhsa_group_segment_fixed_size 0
		.amdhsa_private_segment_fixed_size 0
		.amdhsa_kernarg_size 72
		.amdhsa_user_sgpr_count 2
		.amdhsa_user_sgpr_dispatch_ptr 0
		.amdhsa_user_sgpr_queue_ptr 0
		.amdhsa_user_sgpr_kernarg_segment_ptr 1
		.amdhsa_user_sgpr_dispatch_id 0
		.amdhsa_user_sgpr_kernarg_preload_length 0
		.amdhsa_user_sgpr_kernarg_preload_offset 0
		.amdhsa_user_sgpr_private_segment_size 0
		.amdhsa_wavefront_size32 1
		.amdhsa_uses_dynamic_stack 0
		.amdhsa_enable_private_segment 0
		.amdhsa_system_sgpr_workgroup_id_x 1
		.amdhsa_system_sgpr_workgroup_id_y 0
		.amdhsa_system_sgpr_workgroup_id_z 0
		.amdhsa_system_sgpr_workgroup_info 0
		.amdhsa_system_vgpr_workitem_id 0
		.amdhsa_next_free_vgpr 40
		.amdhsa_next_free_sgpr 18
		.amdhsa_named_barrier_count 0
		.amdhsa_reserve_vcc 1
		.amdhsa_float_round_mode_32 0
		.amdhsa_float_round_mode_16_64 0
		.amdhsa_float_denorm_mode_32 3
		.amdhsa_float_denorm_mode_16_64 3
		.amdhsa_fp16_overflow 0
		.amdhsa_memory_ordered 1
		.amdhsa_forward_progress 1
		.amdhsa_inst_pref_size 14
		.amdhsa_round_robin_scheduling 0
		.amdhsa_exception_fp_ieee_invalid_op 0
		.amdhsa_exception_fp_denorm_src 0
		.amdhsa_exception_fp_ieee_div_zero 0
		.amdhsa_exception_fp_ieee_overflow 0
		.amdhsa_exception_fp_ieee_underflow 0
		.amdhsa_exception_fp_ieee_inexact 0
		.amdhsa_exception_int_div_zero 0
	.end_amdhsa_kernel
	.section	.text._ZN9rocsparseL19gebsrmvn_2xn_kernelILj128ELj7ELj4EfEEvi20rocsparse_direction_NS_24const_host_device_scalarIT2_EEPKiS6_PKS3_S8_S4_PS3_21rocsparse_index_base_b,"axG",@progbits,_ZN9rocsparseL19gebsrmvn_2xn_kernelILj128ELj7ELj4EfEEvi20rocsparse_direction_NS_24const_host_device_scalarIT2_EEPKiS6_PKS3_S8_S4_PS3_21rocsparse_index_base_b,comdat
.Lfunc_end25:
	.size	_ZN9rocsparseL19gebsrmvn_2xn_kernelILj128ELj7ELj4EfEEvi20rocsparse_direction_NS_24const_host_device_scalarIT2_EEPKiS6_PKS3_S8_S4_PS3_21rocsparse_index_base_b, .Lfunc_end25-_ZN9rocsparseL19gebsrmvn_2xn_kernelILj128ELj7ELj4EfEEvi20rocsparse_direction_NS_24const_host_device_scalarIT2_EEPKiS6_PKS3_S8_S4_PS3_21rocsparse_index_base_b
                                        ; -- End function
	.set _ZN9rocsparseL19gebsrmvn_2xn_kernelILj128ELj7ELj4EfEEvi20rocsparse_direction_NS_24const_host_device_scalarIT2_EEPKiS6_PKS3_S8_S4_PS3_21rocsparse_index_base_b.num_vgpr, 40
	.set _ZN9rocsparseL19gebsrmvn_2xn_kernelILj128ELj7ELj4EfEEvi20rocsparse_direction_NS_24const_host_device_scalarIT2_EEPKiS6_PKS3_S8_S4_PS3_21rocsparse_index_base_b.num_agpr, 0
	.set _ZN9rocsparseL19gebsrmvn_2xn_kernelILj128ELj7ELj4EfEEvi20rocsparse_direction_NS_24const_host_device_scalarIT2_EEPKiS6_PKS3_S8_S4_PS3_21rocsparse_index_base_b.numbered_sgpr, 18
	.set _ZN9rocsparseL19gebsrmvn_2xn_kernelILj128ELj7ELj4EfEEvi20rocsparse_direction_NS_24const_host_device_scalarIT2_EEPKiS6_PKS3_S8_S4_PS3_21rocsparse_index_base_b.num_named_barrier, 0
	.set _ZN9rocsparseL19gebsrmvn_2xn_kernelILj128ELj7ELj4EfEEvi20rocsparse_direction_NS_24const_host_device_scalarIT2_EEPKiS6_PKS3_S8_S4_PS3_21rocsparse_index_base_b.private_seg_size, 0
	.set _ZN9rocsparseL19gebsrmvn_2xn_kernelILj128ELj7ELj4EfEEvi20rocsparse_direction_NS_24const_host_device_scalarIT2_EEPKiS6_PKS3_S8_S4_PS3_21rocsparse_index_base_b.uses_vcc, 1
	.set _ZN9rocsparseL19gebsrmvn_2xn_kernelILj128ELj7ELj4EfEEvi20rocsparse_direction_NS_24const_host_device_scalarIT2_EEPKiS6_PKS3_S8_S4_PS3_21rocsparse_index_base_b.uses_flat_scratch, 0
	.set _ZN9rocsparseL19gebsrmvn_2xn_kernelILj128ELj7ELj4EfEEvi20rocsparse_direction_NS_24const_host_device_scalarIT2_EEPKiS6_PKS3_S8_S4_PS3_21rocsparse_index_base_b.has_dyn_sized_stack, 0
	.set _ZN9rocsparseL19gebsrmvn_2xn_kernelILj128ELj7ELj4EfEEvi20rocsparse_direction_NS_24const_host_device_scalarIT2_EEPKiS6_PKS3_S8_S4_PS3_21rocsparse_index_base_b.has_recursion, 0
	.set _ZN9rocsparseL19gebsrmvn_2xn_kernelILj128ELj7ELj4EfEEvi20rocsparse_direction_NS_24const_host_device_scalarIT2_EEPKiS6_PKS3_S8_S4_PS3_21rocsparse_index_base_b.has_indirect_call, 0
	.section	.AMDGPU.csdata,"",@progbits
; Kernel info:
; codeLenInByte = 1716
; TotalNumSgprs: 20
; NumVgprs: 40
; ScratchSize: 0
; MemoryBound: 0
; FloatMode: 240
; IeeeMode: 1
; LDSByteSize: 0 bytes/workgroup (compile time only)
; SGPRBlocks: 0
; VGPRBlocks: 2
; NumSGPRsForWavesPerEU: 20
; NumVGPRsForWavesPerEU: 40
; NamedBarCnt: 0
; Occupancy: 16
; WaveLimiterHint : 1
; COMPUTE_PGM_RSRC2:SCRATCH_EN: 0
; COMPUTE_PGM_RSRC2:USER_SGPR: 2
; COMPUTE_PGM_RSRC2:TRAP_HANDLER: 0
; COMPUTE_PGM_RSRC2:TGID_X_EN: 1
; COMPUTE_PGM_RSRC2:TGID_Y_EN: 0
; COMPUTE_PGM_RSRC2:TGID_Z_EN: 0
; COMPUTE_PGM_RSRC2:TIDIG_COMP_CNT: 0
	.section	.text._ZN9rocsparseL19gebsrmvn_2xn_kernelILj128ELj7ELj8EfEEvi20rocsparse_direction_NS_24const_host_device_scalarIT2_EEPKiS6_PKS3_S8_S4_PS3_21rocsparse_index_base_b,"axG",@progbits,_ZN9rocsparseL19gebsrmvn_2xn_kernelILj128ELj7ELj8EfEEvi20rocsparse_direction_NS_24const_host_device_scalarIT2_EEPKiS6_PKS3_S8_S4_PS3_21rocsparse_index_base_b,comdat
	.globl	_ZN9rocsparseL19gebsrmvn_2xn_kernelILj128ELj7ELj8EfEEvi20rocsparse_direction_NS_24const_host_device_scalarIT2_EEPKiS6_PKS3_S8_S4_PS3_21rocsparse_index_base_b ; -- Begin function _ZN9rocsparseL19gebsrmvn_2xn_kernelILj128ELj7ELj8EfEEvi20rocsparse_direction_NS_24const_host_device_scalarIT2_EEPKiS6_PKS3_S8_S4_PS3_21rocsparse_index_base_b
	.p2align	8
	.type	_ZN9rocsparseL19gebsrmvn_2xn_kernelILj128ELj7ELj8EfEEvi20rocsparse_direction_NS_24const_host_device_scalarIT2_EEPKiS6_PKS3_S8_S4_PS3_21rocsparse_index_base_b,@function
_ZN9rocsparseL19gebsrmvn_2xn_kernelILj128ELj7ELj8EfEEvi20rocsparse_direction_NS_24const_host_device_scalarIT2_EEPKiS6_PKS3_S8_S4_PS3_21rocsparse_index_base_b: ; @_ZN9rocsparseL19gebsrmvn_2xn_kernelILj128ELj7ELj8EfEEvi20rocsparse_direction_NS_24const_host_device_scalarIT2_EEPKiS6_PKS3_S8_S4_PS3_21rocsparse_index_base_b
; %bb.0:
	s_clause 0x2
	s_load_b64 s[16:17], s[0:1], 0x40
	s_load_b64 s[14:15], s[0:1], 0x8
	;; [unrolled: 1-line block ×3, first 2 shown]
	s_wait_kmcnt 0x0
	s_bitcmp1_b32 s17, 0
	s_cselect_b32 s2, -1, 0
	s_delay_alu instid0(SALU_CYCLE_1)
	s_and_b32 vcc_lo, exec_lo, s2
	s_xor_b32 s2, s2, -1
	s_cbranch_vccnz .LBB26_2
; %bb.1:
	s_load_b32 s14, s[14:15], 0x0
.LBB26_2:
	s_and_not1_b32 vcc_lo, exec_lo, s2
	s_cbranch_vccnz .LBB26_4
; %bb.3:
	s_load_b32 s12, s[12:13], 0x0
.LBB26_4:
	s_wait_kmcnt 0x0
	s_cmp_eq_f32 s14, 0
	s_cselect_b32 s2, -1, 0
	s_cmp_eq_f32 s12, 1.0
	s_cselect_b32 s3, -1, 0
	s_delay_alu instid0(SALU_CYCLE_1) | instskip(NEXT) | instid1(SALU_CYCLE_1)
	s_and_b32 s2, s2, s3
	s_and_b32 vcc_lo, exec_lo, s2
	s_cbranch_vccnz .LBB26_23
; %bb.5:
	s_load_b64 s[2:3], s[0:1], 0x0
	s_bfe_u32 s4, ttmp6, 0x4000c
	s_and_b32 s5, ttmp6, 15
	s_add_co_i32 s4, s4, 1
	s_getreg_b32 s6, hwreg(HW_REG_IB_STS2, 6, 4)
	s_mul_i32 s4, ttmp9, s4
	v_lshrrev_b32_e32 v1, 3, v0
	s_add_co_i32 s5, s5, s4
	s_cmp_eq_u32 s6, 0
	s_cselect_b32 s4, ttmp9, s5
	s_delay_alu instid0(VALU_DEP_1) | instid1(SALU_CYCLE_1)
	v_lshl_or_b32 v2, s4, 4, v1
	s_wait_kmcnt 0x0
	s_delay_alu instid0(VALU_DEP_1)
	v_cmp_gt_i32_e32 vcc_lo, s2, v2
	s_and_saveexec_b32 s2, vcc_lo
	s_cbranch_execz .LBB26_23
; %bb.6:
	s_load_b256 s[4:11], s[0:1], 0x10
	v_ashrrev_i32_e32 v3, 31, v2
	s_cmp_lg_u32 s3, 0
	s_wait_kmcnt 0x0
	s_delay_alu instid0(VALU_DEP_1)
	v_lshl_add_u64 v[4:5], v[2:3], 2, s[4:5]
	v_and_b32_e32 v3, 7, v0
	global_load_b64 v[4:5], v[4:5], off
	s_wait_loadcnt 0x0
	v_subrev_nc_u32_e32 v0, s16, v4
	v_subrev_nc_u32_e32 v8, s16, v5
	s_delay_alu instid0(VALU_DEP_2) | instskip(NEXT) | instid1(VALU_DEP_1)
	v_add_nc_u32_e32 v9, v0, v3
	v_cmp_lt_i32_e64 s2, v9, v8
	s_cbranch_scc0 .LBB26_12
; %bb.7:
	v_mov_b32_e32 v1, 0
	s_delay_alu instid0(VALU_DEP_1)
	v_mov_b32_e32 v0, v1
	s_and_saveexec_b32 s3, s2
	s_cbranch_execz .LBB26_11
; %bb.8:
	v_mad_u32 v4, v9, 14, 12
	v_dual_mov_b32 v7, 0 :: v_dual_mov_b32 v10, v9
	s_mov_b32 s4, 0
	s_delay_alu instid0(VALU_DEP_1)
	v_dual_mov_b32 v0, v7 :: v_dual_mov_b32 v1, v7
.LBB26_9:                               ; =>This Inner Loop Header: Depth=1
	global_load_b32 v5, v10, s[6:7] scale_offset
	s_wait_xcnt 0x0
	v_add_nc_u32_e32 v10, 8, v10
	s_delay_alu instid0(VALU_DEP_1) | instskip(SKIP_3) | instid1(VALU_DEP_1)
	v_cmp_ge_i32_e32 vcc_lo, v10, v8
	s_or_b32 s4, vcc_lo, s4
	s_wait_loadcnt 0x0
	v_subrev_nc_u32_e32 v5, s16, v5
	v_mul_lo_u32 v11, v5, 7
	s_delay_alu instid0(VALU_DEP_1) | instskip(NEXT) | instid1(VALU_DEP_1)
	v_dual_add_nc_u32 v6, -12, v4 :: v_dual_add_nc_u32 v5, 1, v11
	v_lshl_add_u64 v[12:13], v[6:7], 2, s[8:9]
	v_dual_add_nc_u32 v6, -10, v4 :: v_dual_add_nc_u32 v19, 2, v11
	s_clause 0x1
	global_load_b32 v18, v11, s[10:11] scale_offset
	global_load_b32 v20, v5, s[10:11] scale_offset
	global_load_b64 v[12:13], v[12:13], off
	v_lshl_add_u64 v[14:15], v[6:7], 2, s[8:9]
	s_wait_xcnt 0x1
	v_dual_add_nc_u32 v6, -8, v4 :: v_dual_add_nc_u32 v5, 3, v11
	v_add_nc_u32_e32 v21, 5, v11
	global_load_b64 v[14:15], v[14:15], off
	v_lshl_add_u64 v[16:17], v[6:7], 2, s[8:9]
	v_add_nc_u32_e32 v6, -6, v4
	global_load_b64 v[16:17], v[16:17], off
	v_lshl_add_u64 v[22:23], v[6:7], 2, s[8:9]
	v_add_nc_u32_e32 v6, -4, v4
	global_load_b32 v24, v19, s[10:11] scale_offset
	global_load_b64 v[26:27], v[22:23], off
	s_wait_xcnt 0x1
	v_add_nc_u32_e32 v19, 4, v11
	s_wait_xcnt 0x0
	v_lshl_add_u64 v[22:23], v[6:7], 2, s[8:9]
	v_add_nc_u32_e32 v6, -2, v4
	global_load_b32 v28, v5, s[10:11] scale_offset
	global_load_b64 v[22:23], v[22:23], off
	v_lshl_add_u64 v[30:31], v[6:7], 2, s[8:9]
	global_load_b32 v6, v19, s[10:11] scale_offset
	s_wait_xcnt 0x2
	v_mov_b32_e32 v5, v7
	global_load_b64 v[30:31], v[30:31], off
	v_lshl_add_u64 v[32:33], v[4:5], 2, s[8:9]
	v_add_nc_u32_e32 v5, 6, v11
	global_load_b32 v34, v21, s[10:11] scale_offset
	global_load_b64 v[36:37], v[32:33], off
	global_load_b32 v38, v5, s[10:11] scale_offset
	v_add_nc_u32_e32 v4, 0x70, v4
	s_wait_loadcnt 0xb
	v_pk_fma_f32 v[0:1], v[12:13], v[18:19], v[0:1] op_sel_hi:[1,0,1]
	s_wait_loadcnt 0xa
	s_delay_alu instid0(VALU_DEP_1) | instskip(SKIP_1) | instid1(VALU_DEP_1)
	v_pk_fma_f32 v[0:1], v[14:15], v[20:21], v[0:1] op_sel_hi:[1,0,1]
	s_wait_loadcnt 0x8
	v_pk_fma_f32 v[0:1], v[16:17], v[24:25], v[0:1] op_sel_hi:[1,0,1]
	s_wait_loadcnt 0x6
	s_delay_alu instid0(VALU_DEP_1) | instskip(SKIP_1) | instid1(VALU_DEP_1)
	v_pk_fma_f32 v[0:1], v[26:27], v[28:29], v[0:1] op_sel_hi:[1,0,1]
	;; [unrolled: 5-line block ×3, first 2 shown]
	s_wait_loadcnt 0x0
	v_pk_fma_f32 v[0:1], v[36:37], v[38:39], v[0:1] op_sel_hi:[1,0,1]
	s_and_not1_b32 exec_lo, exec_lo, s4
	s_cbranch_execnz .LBB26_9
; %bb.10:
	s_or_b32 exec_lo, exec_lo, s4
.LBB26_11:
	s_delay_alu instid0(SALU_CYCLE_1)
	s_or_b32 exec_lo, exec_lo, s3
	s_cbranch_execz .LBB26_13
	s_branch .LBB26_18
.LBB26_12:
                                        ; implicit-def: $vgpr1
.LBB26_13:
	v_mov_b32_e32 v1, 0
	s_delay_alu instid0(VALU_DEP_1)
	v_mov_b32_e32 v0, v1
	s_and_saveexec_b32 s3, s2
	s_cbranch_execz .LBB26_17
; %bb.14:
	v_mad_u32 v6, v9, 14, 13
	v_mov_b32_e32 v5, 0
	s_mov_b32 s2, 0
	s_delay_alu instid0(VALU_DEP_1)
	v_dual_mov_b32 v0, v5 :: v_dual_mov_b32 v1, v5
.LBB26_15:                              ; =>This Inner Loop Header: Depth=1
	global_load_b32 v4, v9, s[6:7] scale_offset
	v_dual_add_nc_u32 v14, -5, v6 :: v_dual_add_nc_u32 v17, -11, v6
	v_dual_add_nc_u32 v20, -4, v6 :: v_dual_add_nc_u32 v21, -10, v6
	s_wait_xcnt 0x0
	v_dual_add_nc_u32 v9, 8, v9 :: v_dual_add_nc_u32 v12, -6, v6
	v_add_nc_u32_e32 v24, -3, v6
	s_delay_alu instid0(VALU_DEP_2) | instskip(SKIP_4) | instid1(VALU_DEP_2)
	v_cmp_ge_i32_e32 vcc_lo, v9, v8
	s_or_b32 s2, vcc_lo, s2
	s_wait_loadcnt 0x0
	v_subrev_nc_u32_e32 v7, s16, v4
	v_add_nc_u32_e32 v4, -13, v6
	v_mul_lo_u32 v7, v7, 7
	s_delay_alu instid0(VALU_DEP_2)
	v_lshl_add_u64 v[10:11], v[4:5], 2, s[8:9]
	v_add_nc_u32_e32 v25, -9, v6
	s_clause 0x1
	global_load_b64 v[10:11], v[10:11], off
	global_load_b32 v13, v12, s[8:9] scale_offset
	global_load_b32 v4, v7, s[10:11] scale_offset
	s_wait_xcnt 0x1
	v_add_nc_u32_e32 v12, 1, v7
	global_load_b32 v15, v14, s[8:9] scale_offset
	s_wait_xcnt 0x0
	v_add_nc_u32_e32 v14, 2, v7
	global_load_b32 v16, v12, s[10:11] scale_offset
	s_wait_xcnt 0x0
	v_add_nc_u32_e32 v12, -2, v6
	s_clause 0x1
	global_load_b32 v18, v17, s[8:9] scale_offset
	global_load_b32 v19, v20, s[8:9] scale_offset
	s_wait_xcnt 0x1
	v_add_nc_u32_e32 v17, 3, v7
	global_load_b32 v20, v14, s[10:11] scale_offset
	s_wait_xcnt 0x0
	v_add_nc_u32_e32 v14, -8, v6
	s_clause 0x1
	global_load_b32 v22, v21, s[8:9] scale_offset
	global_load_b32 v23, v24, s[8:9] scale_offset
	s_wait_xcnt 0x1
	v_add_nc_u32_e32 v21, 4, v7
	global_load_b32 v24, v17, s[10:11] scale_offset
	s_clause 0x1
	global_load_b32 v26, v25, s[8:9] scale_offset
	global_load_b32 v27, v12, s[8:9] scale_offset
	s_wait_xcnt 0x0
	v_dual_add_nc_u32 v17, -1, v6 :: v_dual_add_nc_u32 v12, 5, v7
	global_load_b32 v28, v21, s[10:11] scale_offset
	s_wait_xcnt 0x0
	v_dual_add_nc_u32 v21, -7, v6 :: v_dual_add_nc_u32 v7, 6, v7
	s_clause 0x1
	global_load_b32 v30, v14, s[8:9] scale_offset
	global_load_b32 v31, v17, s[8:9] scale_offset
	;; [unrolled: 1-line block ×3, first 2 shown]
	s_clause 0x1
	global_load_b32 v35, v6, s[8:9] scale_offset
	global_load_b32 v34, v21, s[8:9] scale_offset
	;; [unrolled: 1-line block ×3, first 2 shown]
	s_wait_xcnt 0x2
	v_add_nc_u32_e32 v6, 0x70, v6
	s_wait_loadcnt 0x13
	v_dual_mov_b32 v12, v10 :: v_dual_mov_b32 v14, v11
	s_wait_loadcnt 0x11
	s_delay_alu instid0(VALU_DEP_1) | instskip(SKIP_1) | instid1(VALU_DEP_1)
	v_pk_fma_f32 v[0:1], v[12:13], v[4:5], v[0:1] op_sel_hi:[1,0,1]
	s_wait_loadcnt 0xf
	v_pk_fma_f32 v[0:1], v[14:15], v[16:17], v[0:1] op_sel_hi:[1,0,1]
	s_wait_loadcnt 0xc
	s_delay_alu instid0(VALU_DEP_1) | instskip(SKIP_1) | instid1(VALU_DEP_1)
	v_pk_fma_f32 v[0:1], v[18:19], v[20:21], v[0:1] op_sel_hi:[1,0,1]
	s_wait_loadcnt 0x9
	v_pk_fma_f32 v[0:1], v[22:23], v[24:25], v[0:1] op_sel_hi:[1,0,1]
	;; [unrolled: 5-line block ×3, first 2 shown]
	s_wait_loadcnt 0x0
	s_delay_alu instid0(VALU_DEP_1)
	v_pk_fma_f32 v[0:1], v[34:35], v[36:37], v[0:1] op_sel_hi:[1,0,1]
	s_and_not1_b32 exec_lo, exec_lo, s2
	s_cbranch_execnz .LBB26_15
; %bb.16:
	s_or_b32 exec_lo, exec_lo, s2
.LBB26_17:
	s_delay_alu instid0(SALU_CYCLE_1)
	s_or_b32 exec_lo, exec_lo, s3
.LBB26_18:
	v_mbcnt_lo_u32_b32 v6, -1, 0
	s_mov_b32 s2, -1
	s_delay_alu instid0(VALU_DEP_1) | instskip(SKIP_1) | instid1(VALU_DEP_1)
	v_xor_b32_e32 v7, 2, v6
	v_xor_b32_e32 v4, 4, v6
	v_cmp_gt_i32_e32 vcc_lo, 32, v4
	v_cndmask_b32_e32 v4, v6, v4, vcc_lo
	s_delay_alu instid0(VALU_DEP_4) | instskip(SKIP_1) | instid1(VALU_DEP_1)
	v_cmp_gt_i32_e32 vcc_lo, 32, v7
	v_cndmask_b32_e32 v7, v6, v7, vcc_lo
	v_dual_lshlrev_b32 v7, 2, v7 :: v_dual_lshlrev_b32 v5, 2, v4
	ds_bpermute_b32 v4, v5, v0
	ds_bpermute_b32 v5, v5, v1
	s_wait_dscnt 0x0
	v_pk_add_f32 v[0:1], v[0:1], v[4:5]
	ds_bpermute_b32 v4, v7, v0
	ds_bpermute_b32 v5, v7, v1
	v_xor_b32_e32 v7, 1, v6
	s_delay_alu instid0(VALU_DEP_1) | instskip(SKIP_2) | instid1(VALU_DEP_2)
	v_cmp_gt_i32_e32 vcc_lo, 32, v7
	v_cndmask_b32_e32 v6, v6, v7, vcc_lo
	v_cmp_eq_u32_e32 vcc_lo, 7, v3
	v_lshlrev_b32_e32 v6, 2, v6
	s_wait_dscnt 0x0
	v_pk_add_f32 v[0:1], v[0:1], v[4:5]
	ds_bpermute_b32 v4, v6, v0
	ds_bpermute_b32 v5, v6, v1
	s_and_b32 exec_lo, exec_lo, vcc_lo
	s_cbranch_execz .LBB26_23
; %bb.19:
	s_load_b64 s[0:1], s[0:1], 0x38
	s_wait_dscnt 0x0
	v_pk_add_f32 v[0:1], v[0:1], v[4:5]
	v_lshlrev_b32_e32 v2, 1, v2
	s_cmp_eq_f32 s12, 0
	s_cbranch_scc0 .LBB26_21
; %bb.20:
	s_delay_alu instid0(VALU_DEP_1) | instskip(SKIP_3) | instid1(VALU_DEP_2)
	v_ashrrev_i32_e32 v3, 31, v2
	v_pk_mul_f32 v[6:7], s[14:15], v[0:1] op_sel_hi:[0,1]
	s_mov_b32 s2, 0
	s_wait_kmcnt 0x0
	v_lshl_add_u64 v[4:5], v[2:3], 2, s[0:1]
	global_store_b64 v[4:5], v[6:7], off
.LBB26_21:
	s_and_not1_b32 vcc_lo, exec_lo, s2
	s_cbranch_vccnz .LBB26_23
; %bb.22:
	v_ashrrev_i32_e32 v3, 31, v2
	v_pk_mul_f32 v[0:1], s[14:15], v[0:1] op_sel_hi:[0,1]
	s_wait_kmcnt 0x0
	s_delay_alu instid0(VALU_DEP_2)
	v_lshl_add_u64 v[2:3], v[2:3], 2, s[0:1]
	global_load_b64 v[4:5], v[2:3], off
	s_wait_loadcnt 0x0
	v_pk_fma_f32 v[0:1], s[12:13], v[4:5], v[0:1] op_sel_hi:[0,1,1]
	global_store_b64 v[2:3], v[0:1], off
.LBB26_23:
	s_endpgm
	.section	.rodata,"a",@progbits
	.p2align	6, 0x0
	.amdhsa_kernel _ZN9rocsparseL19gebsrmvn_2xn_kernelILj128ELj7ELj8EfEEvi20rocsparse_direction_NS_24const_host_device_scalarIT2_EEPKiS6_PKS3_S8_S4_PS3_21rocsparse_index_base_b
		.amdhsa_group_segment_fixed_size 0
		.amdhsa_private_segment_fixed_size 0
		.amdhsa_kernarg_size 72
		.amdhsa_user_sgpr_count 2
		.amdhsa_user_sgpr_dispatch_ptr 0
		.amdhsa_user_sgpr_queue_ptr 0
		.amdhsa_user_sgpr_kernarg_segment_ptr 1
		.amdhsa_user_sgpr_dispatch_id 0
		.amdhsa_user_sgpr_kernarg_preload_length 0
		.amdhsa_user_sgpr_kernarg_preload_offset 0
		.amdhsa_user_sgpr_private_segment_size 0
		.amdhsa_wavefront_size32 1
		.amdhsa_uses_dynamic_stack 0
		.amdhsa_enable_private_segment 0
		.amdhsa_system_sgpr_workgroup_id_x 1
		.amdhsa_system_sgpr_workgroup_id_y 0
		.amdhsa_system_sgpr_workgroup_id_z 0
		.amdhsa_system_sgpr_workgroup_info 0
		.amdhsa_system_vgpr_workitem_id 0
		.amdhsa_next_free_vgpr 40
		.amdhsa_next_free_sgpr 18
		.amdhsa_named_barrier_count 0
		.amdhsa_reserve_vcc 1
		.amdhsa_float_round_mode_32 0
		.amdhsa_float_round_mode_16_64 0
		.amdhsa_float_denorm_mode_32 3
		.amdhsa_float_denorm_mode_16_64 3
		.amdhsa_fp16_overflow 0
		.amdhsa_memory_ordered 1
		.amdhsa_forward_progress 1
		.amdhsa_inst_pref_size 14
		.amdhsa_round_robin_scheduling 0
		.amdhsa_exception_fp_ieee_invalid_op 0
		.amdhsa_exception_fp_denorm_src 0
		.amdhsa_exception_fp_ieee_div_zero 0
		.amdhsa_exception_fp_ieee_overflow 0
		.amdhsa_exception_fp_ieee_underflow 0
		.amdhsa_exception_fp_ieee_inexact 0
		.amdhsa_exception_int_div_zero 0
	.end_amdhsa_kernel
	.section	.text._ZN9rocsparseL19gebsrmvn_2xn_kernelILj128ELj7ELj8EfEEvi20rocsparse_direction_NS_24const_host_device_scalarIT2_EEPKiS6_PKS3_S8_S4_PS3_21rocsparse_index_base_b,"axG",@progbits,_ZN9rocsparseL19gebsrmvn_2xn_kernelILj128ELj7ELj8EfEEvi20rocsparse_direction_NS_24const_host_device_scalarIT2_EEPKiS6_PKS3_S8_S4_PS3_21rocsparse_index_base_b,comdat
.Lfunc_end26:
	.size	_ZN9rocsparseL19gebsrmvn_2xn_kernelILj128ELj7ELj8EfEEvi20rocsparse_direction_NS_24const_host_device_scalarIT2_EEPKiS6_PKS3_S8_S4_PS3_21rocsparse_index_base_b, .Lfunc_end26-_ZN9rocsparseL19gebsrmvn_2xn_kernelILj128ELj7ELj8EfEEvi20rocsparse_direction_NS_24const_host_device_scalarIT2_EEPKiS6_PKS3_S8_S4_PS3_21rocsparse_index_base_b
                                        ; -- End function
	.set _ZN9rocsparseL19gebsrmvn_2xn_kernelILj128ELj7ELj8EfEEvi20rocsparse_direction_NS_24const_host_device_scalarIT2_EEPKiS6_PKS3_S8_S4_PS3_21rocsparse_index_base_b.num_vgpr, 40
	.set _ZN9rocsparseL19gebsrmvn_2xn_kernelILj128ELj7ELj8EfEEvi20rocsparse_direction_NS_24const_host_device_scalarIT2_EEPKiS6_PKS3_S8_S4_PS3_21rocsparse_index_base_b.num_agpr, 0
	.set _ZN9rocsparseL19gebsrmvn_2xn_kernelILj128ELj7ELj8EfEEvi20rocsparse_direction_NS_24const_host_device_scalarIT2_EEPKiS6_PKS3_S8_S4_PS3_21rocsparse_index_base_b.numbered_sgpr, 18
	.set _ZN9rocsparseL19gebsrmvn_2xn_kernelILj128ELj7ELj8EfEEvi20rocsparse_direction_NS_24const_host_device_scalarIT2_EEPKiS6_PKS3_S8_S4_PS3_21rocsparse_index_base_b.num_named_barrier, 0
	.set _ZN9rocsparseL19gebsrmvn_2xn_kernelILj128ELj7ELj8EfEEvi20rocsparse_direction_NS_24const_host_device_scalarIT2_EEPKiS6_PKS3_S8_S4_PS3_21rocsparse_index_base_b.private_seg_size, 0
	.set _ZN9rocsparseL19gebsrmvn_2xn_kernelILj128ELj7ELj8EfEEvi20rocsparse_direction_NS_24const_host_device_scalarIT2_EEPKiS6_PKS3_S8_S4_PS3_21rocsparse_index_base_b.uses_vcc, 1
	.set _ZN9rocsparseL19gebsrmvn_2xn_kernelILj128ELj7ELj8EfEEvi20rocsparse_direction_NS_24const_host_device_scalarIT2_EEPKiS6_PKS3_S8_S4_PS3_21rocsparse_index_base_b.uses_flat_scratch, 0
	.set _ZN9rocsparseL19gebsrmvn_2xn_kernelILj128ELj7ELj8EfEEvi20rocsparse_direction_NS_24const_host_device_scalarIT2_EEPKiS6_PKS3_S8_S4_PS3_21rocsparse_index_base_b.has_dyn_sized_stack, 0
	.set _ZN9rocsparseL19gebsrmvn_2xn_kernelILj128ELj7ELj8EfEEvi20rocsparse_direction_NS_24const_host_device_scalarIT2_EEPKiS6_PKS3_S8_S4_PS3_21rocsparse_index_base_b.has_recursion, 0
	.set _ZN9rocsparseL19gebsrmvn_2xn_kernelILj128ELj7ELj8EfEEvi20rocsparse_direction_NS_24const_host_device_scalarIT2_EEPKiS6_PKS3_S8_S4_PS3_21rocsparse_index_base_b.has_indirect_call, 0
	.section	.AMDGPU.csdata,"",@progbits
; Kernel info:
; codeLenInByte = 1776
; TotalNumSgprs: 20
; NumVgprs: 40
; ScratchSize: 0
; MemoryBound: 0
; FloatMode: 240
; IeeeMode: 1
; LDSByteSize: 0 bytes/workgroup (compile time only)
; SGPRBlocks: 0
; VGPRBlocks: 2
; NumSGPRsForWavesPerEU: 20
; NumVGPRsForWavesPerEU: 40
; NamedBarCnt: 0
; Occupancy: 16
; WaveLimiterHint : 1
; COMPUTE_PGM_RSRC2:SCRATCH_EN: 0
; COMPUTE_PGM_RSRC2:USER_SGPR: 2
; COMPUTE_PGM_RSRC2:TRAP_HANDLER: 0
; COMPUTE_PGM_RSRC2:TGID_X_EN: 1
; COMPUTE_PGM_RSRC2:TGID_Y_EN: 0
; COMPUTE_PGM_RSRC2:TGID_Z_EN: 0
; COMPUTE_PGM_RSRC2:TIDIG_COMP_CNT: 0
	.section	.text._ZN9rocsparseL19gebsrmvn_2xn_kernelILj128ELj7ELj16EfEEvi20rocsparse_direction_NS_24const_host_device_scalarIT2_EEPKiS6_PKS3_S8_S4_PS3_21rocsparse_index_base_b,"axG",@progbits,_ZN9rocsparseL19gebsrmvn_2xn_kernelILj128ELj7ELj16EfEEvi20rocsparse_direction_NS_24const_host_device_scalarIT2_EEPKiS6_PKS3_S8_S4_PS3_21rocsparse_index_base_b,comdat
	.globl	_ZN9rocsparseL19gebsrmvn_2xn_kernelILj128ELj7ELj16EfEEvi20rocsparse_direction_NS_24const_host_device_scalarIT2_EEPKiS6_PKS3_S8_S4_PS3_21rocsparse_index_base_b ; -- Begin function _ZN9rocsparseL19gebsrmvn_2xn_kernelILj128ELj7ELj16EfEEvi20rocsparse_direction_NS_24const_host_device_scalarIT2_EEPKiS6_PKS3_S8_S4_PS3_21rocsparse_index_base_b
	.p2align	8
	.type	_ZN9rocsparseL19gebsrmvn_2xn_kernelILj128ELj7ELj16EfEEvi20rocsparse_direction_NS_24const_host_device_scalarIT2_EEPKiS6_PKS3_S8_S4_PS3_21rocsparse_index_base_b,@function
_ZN9rocsparseL19gebsrmvn_2xn_kernelILj128ELj7ELj16EfEEvi20rocsparse_direction_NS_24const_host_device_scalarIT2_EEPKiS6_PKS3_S8_S4_PS3_21rocsparse_index_base_b: ; @_ZN9rocsparseL19gebsrmvn_2xn_kernelILj128ELj7ELj16EfEEvi20rocsparse_direction_NS_24const_host_device_scalarIT2_EEPKiS6_PKS3_S8_S4_PS3_21rocsparse_index_base_b
; %bb.0:
	s_clause 0x2
	s_load_b64 s[16:17], s[0:1], 0x40
	s_load_b64 s[14:15], s[0:1], 0x8
	;; [unrolled: 1-line block ×3, first 2 shown]
	s_wait_kmcnt 0x0
	s_bitcmp1_b32 s17, 0
	s_cselect_b32 s2, -1, 0
	s_delay_alu instid0(SALU_CYCLE_1)
	s_and_b32 vcc_lo, exec_lo, s2
	s_xor_b32 s2, s2, -1
	s_cbranch_vccnz .LBB27_2
; %bb.1:
	s_load_b32 s14, s[14:15], 0x0
.LBB27_2:
	s_and_not1_b32 vcc_lo, exec_lo, s2
	s_cbranch_vccnz .LBB27_4
; %bb.3:
	s_load_b32 s12, s[12:13], 0x0
.LBB27_4:
	s_wait_kmcnt 0x0
	s_cmp_eq_f32 s14, 0
	s_cselect_b32 s2, -1, 0
	s_cmp_eq_f32 s12, 1.0
	s_cselect_b32 s3, -1, 0
	s_delay_alu instid0(SALU_CYCLE_1) | instskip(NEXT) | instid1(SALU_CYCLE_1)
	s_and_b32 s2, s2, s3
	s_and_b32 vcc_lo, exec_lo, s2
	s_cbranch_vccnz .LBB27_23
; %bb.5:
	s_load_b64 s[2:3], s[0:1], 0x0
	s_bfe_u32 s4, ttmp6, 0x4000c
	s_and_b32 s5, ttmp6, 15
	s_add_co_i32 s4, s4, 1
	s_getreg_b32 s6, hwreg(HW_REG_IB_STS2, 6, 4)
	s_mul_i32 s4, ttmp9, s4
	v_lshrrev_b32_e32 v1, 4, v0
	s_add_co_i32 s5, s5, s4
	s_cmp_eq_u32 s6, 0
	s_cselect_b32 s4, ttmp9, s5
	s_delay_alu instid0(VALU_DEP_1) | instid1(SALU_CYCLE_1)
	v_lshl_or_b32 v2, s4, 3, v1
	s_wait_kmcnt 0x0
	s_delay_alu instid0(VALU_DEP_1)
	v_cmp_gt_i32_e32 vcc_lo, s2, v2
	s_and_saveexec_b32 s2, vcc_lo
	s_cbranch_execz .LBB27_23
; %bb.6:
	s_load_b256 s[4:11], s[0:1], 0x10
	v_ashrrev_i32_e32 v3, 31, v2
	s_cmp_lg_u32 s3, 0
	s_wait_kmcnt 0x0
	s_delay_alu instid0(VALU_DEP_1)
	v_lshl_add_u64 v[4:5], v[2:3], 2, s[4:5]
	v_and_b32_e32 v3, 15, v0
	global_load_b64 v[4:5], v[4:5], off
	s_wait_loadcnt 0x0
	v_subrev_nc_u32_e32 v0, s16, v4
	v_subrev_nc_u32_e32 v8, s16, v5
	s_delay_alu instid0(VALU_DEP_2) | instskip(NEXT) | instid1(VALU_DEP_1)
	v_add_nc_u32_e32 v9, v0, v3
	v_cmp_lt_i32_e64 s2, v9, v8
	s_cbranch_scc0 .LBB27_12
; %bb.7:
	v_mov_b32_e32 v1, 0
	s_delay_alu instid0(VALU_DEP_1)
	v_mov_b32_e32 v0, v1
	s_and_saveexec_b32 s3, s2
	s_cbranch_execz .LBB27_11
; %bb.8:
	v_mad_u32 v4, v9, 14, 12
	v_dual_mov_b32 v7, 0 :: v_dual_mov_b32 v10, v9
	s_mov_b32 s4, 0
	s_delay_alu instid0(VALU_DEP_1)
	v_dual_mov_b32 v0, v7 :: v_dual_mov_b32 v1, v7
.LBB27_9:                               ; =>This Inner Loop Header: Depth=1
	global_load_b32 v5, v10, s[6:7] scale_offset
	s_wait_xcnt 0x0
	v_add_nc_u32_e32 v10, 16, v10
	s_delay_alu instid0(VALU_DEP_1) | instskip(SKIP_3) | instid1(VALU_DEP_1)
	v_cmp_ge_i32_e32 vcc_lo, v10, v8
	s_or_b32 s4, vcc_lo, s4
	s_wait_loadcnt 0x0
	v_subrev_nc_u32_e32 v5, s16, v5
	v_mul_lo_u32 v11, v5, 7
	s_delay_alu instid0(VALU_DEP_1) | instskip(NEXT) | instid1(VALU_DEP_1)
	v_dual_add_nc_u32 v6, -12, v4 :: v_dual_add_nc_u32 v5, 1, v11
	v_lshl_add_u64 v[12:13], v[6:7], 2, s[8:9]
	v_dual_add_nc_u32 v6, -10, v4 :: v_dual_add_nc_u32 v19, 2, v11
	s_clause 0x1
	global_load_b32 v18, v11, s[10:11] scale_offset
	global_load_b32 v20, v5, s[10:11] scale_offset
	global_load_b64 v[12:13], v[12:13], off
	v_lshl_add_u64 v[14:15], v[6:7], 2, s[8:9]
	s_wait_xcnt 0x1
	v_dual_add_nc_u32 v6, -8, v4 :: v_dual_add_nc_u32 v5, 3, v11
	v_add_nc_u32_e32 v21, 5, v11
	global_load_b64 v[14:15], v[14:15], off
	v_lshl_add_u64 v[16:17], v[6:7], 2, s[8:9]
	v_add_nc_u32_e32 v6, -6, v4
	global_load_b64 v[16:17], v[16:17], off
	v_lshl_add_u64 v[22:23], v[6:7], 2, s[8:9]
	v_add_nc_u32_e32 v6, -4, v4
	global_load_b32 v24, v19, s[10:11] scale_offset
	global_load_b64 v[26:27], v[22:23], off
	s_wait_xcnt 0x1
	v_add_nc_u32_e32 v19, 4, v11
	s_wait_xcnt 0x0
	v_lshl_add_u64 v[22:23], v[6:7], 2, s[8:9]
	v_add_nc_u32_e32 v6, -2, v4
	global_load_b32 v28, v5, s[10:11] scale_offset
	global_load_b64 v[22:23], v[22:23], off
	v_lshl_add_u64 v[30:31], v[6:7], 2, s[8:9]
	global_load_b32 v6, v19, s[10:11] scale_offset
	s_wait_xcnt 0x2
	v_mov_b32_e32 v5, v7
	global_load_b64 v[30:31], v[30:31], off
	v_lshl_add_u64 v[32:33], v[4:5], 2, s[8:9]
	v_add_nc_u32_e32 v5, 6, v11
	global_load_b32 v34, v21, s[10:11] scale_offset
	global_load_b64 v[36:37], v[32:33], off
	global_load_b32 v38, v5, s[10:11] scale_offset
	v_add_nc_u32_e32 v4, 0xe0, v4
	s_wait_loadcnt 0xb
	v_pk_fma_f32 v[0:1], v[12:13], v[18:19], v[0:1] op_sel_hi:[1,0,1]
	s_wait_loadcnt 0xa
	s_delay_alu instid0(VALU_DEP_1) | instskip(SKIP_1) | instid1(VALU_DEP_1)
	v_pk_fma_f32 v[0:1], v[14:15], v[20:21], v[0:1] op_sel_hi:[1,0,1]
	s_wait_loadcnt 0x8
	v_pk_fma_f32 v[0:1], v[16:17], v[24:25], v[0:1] op_sel_hi:[1,0,1]
	s_wait_loadcnt 0x6
	s_delay_alu instid0(VALU_DEP_1) | instskip(SKIP_1) | instid1(VALU_DEP_1)
	v_pk_fma_f32 v[0:1], v[26:27], v[28:29], v[0:1] op_sel_hi:[1,0,1]
	;; [unrolled: 5-line block ×3, first 2 shown]
	s_wait_loadcnt 0x0
	v_pk_fma_f32 v[0:1], v[36:37], v[38:39], v[0:1] op_sel_hi:[1,0,1]
	s_and_not1_b32 exec_lo, exec_lo, s4
	s_cbranch_execnz .LBB27_9
; %bb.10:
	s_or_b32 exec_lo, exec_lo, s4
.LBB27_11:
	s_delay_alu instid0(SALU_CYCLE_1)
	s_or_b32 exec_lo, exec_lo, s3
	s_cbranch_execz .LBB27_13
	s_branch .LBB27_18
.LBB27_12:
                                        ; implicit-def: $vgpr1
.LBB27_13:
	v_mov_b32_e32 v1, 0
	s_delay_alu instid0(VALU_DEP_1)
	v_mov_b32_e32 v0, v1
	s_and_saveexec_b32 s3, s2
	s_cbranch_execz .LBB27_17
; %bb.14:
	v_mad_u32 v6, v9, 14, 13
	v_mov_b32_e32 v5, 0
	s_mov_b32 s2, 0
	s_delay_alu instid0(VALU_DEP_1)
	v_dual_mov_b32 v0, v5 :: v_dual_mov_b32 v1, v5
.LBB27_15:                              ; =>This Inner Loop Header: Depth=1
	global_load_b32 v4, v9, s[6:7] scale_offset
	v_dual_add_nc_u32 v14, -5, v6 :: v_dual_add_nc_u32 v17, -11, v6
	v_dual_add_nc_u32 v20, -4, v6 :: v_dual_add_nc_u32 v21, -10, v6
	s_wait_xcnt 0x0
	v_dual_add_nc_u32 v9, 16, v9 :: v_dual_add_nc_u32 v12, -6, v6
	v_add_nc_u32_e32 v24, -3, v6
	s_delay_alu instid0(VALU_DEP_2) | instskip(SKIP_4) | instid1(VALU_DEP_2)
	v_cmp_ge_i32_e32 vcc_lo, v9, v8
	s_or_b32 s2, vcc_lo, s2
	s_wait_loadcnt 0x0
	v_subrev_nc_u32_e32 v7, s16, v4
	v_add_nc_u32_e32 v4, -13, v6
	v_mul_lo_u32 v7, v7, 7
	s_delay_alu instid0(VALU_DEP_2)
	v_lshl_add_u64 v[10:11], v[4:5], 2, s[8:9]
	v_add_nc_u32_e32 v25, -9, v6
	s_clause 0x1
	global_load_b64 v[10:11], v[10:11], off
	global_load_b32 v13, v12, s[8:9] scale_offset
	global_load_b32 v4, v7, s[10:11] scale_offset
	s_wait_xcnt 0x1
	v_add_nc_u32_e32 v12, 1, v7
	global_load_b32 v15, v14, s[8:9] scale_offset
	s_wait_xcnt 0x0
	v_add_nc_u32_e32 v14, 2, v7
	global_load_b32 v16, v12, s[10:11] scale_offset
	s_wait_xcnt 0x0
	v_add_nc_u32_e32 v12, -2, v6
	s_clause 0x1
	global_load_b32 v18, v17, s[8:9] scale_offset
	global_load_b32 v19, v20, s[8:9] scale_offset
	s_wait_xcnt 0x1
	v_add_nc_u32_e32 v17, 3, v7
	global_load_b32 v20, v14, s[10:11] scale_offset
	s_wait_xcnt 0x0
	v_add_nc_u32_e32 v14, -8, v6
	s_clause 0x1
	global_load_b32 v22, v21, s[8:9] scale_offset
	global_load_b32 v23, v24, s[8:9] scale_offset
	s_wait_xcnt 0x1
	v_add_nc_u32_e32 v21, 4, v7
	global_load_b32 v24, v17, s[10:11] scale_offset
	s_clause 0x1
	global_load_b32 v26, v25, s[8:9] scale_offset
	global_load_b32 v27, v12, s[8:9] scale_offset
	s_wait_xcnt 0x0
	v_dual_add_nc_u32 v17, -1, v6 :: v_dual_add_nc_u32 v12, 5, v7
	global_load_b32 v28, v21, s[10:11] scale_offset
	s_wait_xcnt 0x0
	v_dual_add_nc_u32 v21, -7, v6 :: v_dual_add_nc_u32 v7, 6, v7
	s_clause 0x1
	global_load_b32 v30, v14, s[8:9] scale_offset
	global_load_b32 v31, v17, s[8:9] scale_offset
	global_load_b32 v32, v12, s[10:11] scale_offset
	s_clause 0x1
	global_load_b32 v35, v6, s[8:9] scale_offset
	global_load_b32 v34, v21, s[8:9] scale_offset
	;; [unrolled: 1-line block ×3, first 2 shown]
	s_wait_xcnt 0x2
	v_add_nc_u32_e32 v6, 0xe0, v6
	s_wait_loadcnt 0x13
	v_dual_mov_b32 v12, v10 :: v_dual_mov_b32 v14, v11
	s_wait_loadcnt 0x11
	s_delay_alu instid0(VALU_DEP_1) | instskip(SKIP_1) | instid1(VALU_DEP_1)
	v_pk_fma_f32 v[0:1], v[12:13], v[4:5], v[0:1] op_sel_hi:[1,0,1]
	s_wait_loadcnt 0xf
	v_pk_fma_f32 v[0:1], v[14:15], v[16:17], v[0:1] op_sel_hi:[1,0,1]
	s_wait_loadcnt 0xc
	s_delay_alu instid0(VALU_DEP_1) | instskip(SKIP_1) | instid1(VALU_DEP_1)
	v_pk_fma_f32 v[0:1], v[18:19], v[20:21], v[0:1] op_sel_hi:[1,0,1]
	s_wait_loadcnt 0x9
	v_pk_fma_f32 v[0:1], v[22:23], v[24:25], v[0:1] op_sel_hi:[1,0,1]
	;; [unrolled: 5-line block ×3, first 2 shown]
	s_wait_loadcnt 0x0
	s_delay_alu instid0(VALU_DEP_1)
	v_pk_fma_f32 v[0:1], v[34:35], v[36:37], v[0:1] op_sel_hi:[1,0,1]
	s_and_not1_b32 exec_lo, exec_lo, s2
	s_cbranch_execnz .LBB27_15
; %bb.16:
	s_or_b32 exec_lo, exec_lo, s2
.LBB27_17:
	s_delay_alu instid0(SALU_CYCLE_1)
	s_or_b32 exec_lo, exec_lo, s3
.LBB27_18:
	v_mbcnt_lo_u32_b32 v6, -1, 0
	s_mov_b32 s2, -1
	s_delay_alu instid0(VALU_DEP_1) | instskip(SKIP_1) | instid1(VALU_DEP_1)
	v_xor_b32_e32 v7, 4, v6
	v_xor_b32_e32 v4, 8, v6
	v_cmp_gt_i32_e32 vcc_lo, 32, v4
	v_cndmask_b32_e32 v4, v6, v4, vcc_lo
	s_delay_alu instid0(VALU_DEP_4) | instskip(SKIP_1) | instid1(VALU_DEP_1)
	v_cmp_gt_i32_e32 vcc_lo, 32, v7
	v_cndmask_b32_e32 v7, v6, v7, vcc_lo
	v_dual_lshlrev_b32 v7, 2, v7 :: v_dual_lshlrev_b32 v5, 2, v4
	ds_bpermute_b32 v4, v5, v0
	ds_bpermute_b32 v5, v5, v1
	s_wait_dscnt 0x0
	v_pk_add_f32 v[0:1], v[0:1], v[4:5]
	ds_bpermute_b32 v4, v7, v0
	ds_bpermute_b32 v5, v7, v1
	v_xor_b32_e32 v7, 2, v6
	s_delay_alu instid0(VALU_DEP_1) | instskip(SKIP_1) | instid1(VALU_DEP_1)
	v_cmp_gt_i32_e32 vcc_lo, 32, v7
	v_cndmask_b32_e32 v7, v6, v7, vcc_lo
	v_lshlrev_b32_e32 v7, 2, v7
	s_wait_dscnt 0x0
	v_pk_add_f32 v[0:1], v[0:1], v[4:5]
	ds_bpermute_b32 v4, v7, v0
	ds_bpermute_b32 v5, v7, v1
	v_xor_b32_e32 v7, 1, v6
	s_delay_alu instid0(VALU_DEP_1) | instskip(SKIP_2) | instid1(VALU_DEP_2)
	v_cmp_gt_i32_e32 vcc_lo, 32, v7
	v_cndmask_b32_e32 v6, v6, v7, vcc_lo
	v_cmp_eq_u32_e32 vcc_lo, 15, v3
	v_lshlrev_b32_e32 v6, 2, v6
	s_wait_dscnt 0x0
	v_pk_add_f32 v[0:1], v[0:1], v[4:5]
	ds_bpermute_b32 v4, v6, v0
	ds_bpermute_b32 v5, v6, v1
	s_and_b32 exec_lo, exec_lo, vcc_lo
	s_cbranch_execz .LBB27_23
; %bb.19:
	s_load_b64 s[0:1], s[0:1], 0x38
	s_wait_dscnt 0x0
	v_pk_add_f32 v[0:1], v[0:1], v[4:5]
	v_lshlrev_b32_e32 v2, 1, v2
	s_cmp_eq_f32 s12, 0
	s_cbranch_scc0 .LBB27_21
; %bb.20:
	s_delay_alu instid0(VALU_DEP_1) | instskip(SKIP_3) | instid1(VALU_DEP_2)
	v_ashrrev_i32_e32 v3, 31, v2
	v_pk_mul_f32 v[6:7], s[14:15], v[0:1] op_sel_hi:[0,1]
	s_mov_b32 s2, 0
	s_wait_kmcnt 0x0
	v_lshl_add_u64 v[4:5], v[2:3], 2, s[0:1]
	global_store_b64 v[4:5], v[6:7], off
.LBB27_21:
	s_and_not1_b32 vcc_lo, exec_lo, s2
	s_cbranch_vccnz .LBB27_23
; %bb.22:
	v_ashrrev_i32_e32 v3, 31, v2
	v_pk_mul_f32 v[0:1], s[14:15], v[0:1] op_sel_hi:[0,1]
	s_wait_kmcnt 0x0
	s_delay_alu instid0(VALU_DEP_2)
	v_lshl_add_u64 v[2:3], v[2:3], 2, s[0:1]
	global_load_b64 v[4:5], v[2:3], off
	s_wait_loadcnt 0x0
	v_pk_fma_f32 v[0:1], s[12:13], v[4:5], v[0:1] op_sel_hi:[0,1,1]
	global_store_b64 v[2:3], v[0:1], off
.LBB27_23:
	s_endpgm
	.section	.rodata,"a",@progbits
	.p2align	6, 0x0
	.amdhsa_kernel _ZN9rocsparseL19gebsrmvn_2xn_kernelILj128ELj7ELj16EfEEvi20rocsparse_direction_NS_24const_host_device_scalarIT2_EEPKiS6_PKS3_S8_S4_PS3_21rocsparse_index_base_b
		.amdhsa_group_segment_fixed_size 0
		.amdhsa_private_segment_fixed_size 0
		.amdhsa_kernarg_size 72
		.amdhsa_user_sgpr_count 2
		.amdhsa_user_sgpr_dispatch_ptr 0
		.amdhsa_user_sgpr_queue_ptr 0
		.amdhsa_user_sgpr_kernarg_segment_ptr 1
		.amdhsa_user_sgpr_dispatch_id 0
		.amdhsa_user_sgpr_kernarg_preload_length 0
		.amdhsa_user_sgpr_kernarg_preload_offset 0
		.amdhsa_user_sgpr_private_segment_size 0
		.amdhsa_wavefront_size32 1
		.amdhsa_uses_dynamic_stack 0
		.amdhsa_enable_private_segment 0
		.amdhsa_system_sgpr_workgroup_id_x 1
		.amdhsa_system_sgpr_workgroup_id_y 0
		.amdhsa_system_sgpr_workgroup_id_z 0
		.amdhsa_system_sgpr_workgroup_info 0
		.amdhsa_system_vgpr_workitem_id 0
		.amdhsa_next_free_vgpr 40
		.amdhsa_next_free_sgpr 18
		.amdhsa_named_barrier_count 0
		.amdhsa_reserve_vcc 1
		.amdhsa_float_round_mode_32 0
		.amdhsa_float_round_mode_16_64 0
		.amdhsa_float_denorm_mode_32 3
		.amdhsa_float_denorm_mode_16_64 3
		.amdhsa_fp16_overflow 0
		.amdhsa_memory_ordered 1
		.amdhsa_forward_progress 1
		.amdhsa_inst_pref_size 15
		.amdhsa_round_robin_scheduling 0
		.amdhsa_exception_fp_ieee_invalid_op 0
		.amdhsa_exception_fp_denorm_src 0
		.amdhsa_exception_fp_ieee_div_zero 0
		.amdhsa_exception_fp_ieee_overflow 0
		.amdhsa_exception_fp_ieee_underflow 0
		.amdhsa_exception_fp_ieee_inexact 0
		.amdhsa_exception_int_div_zero 0
	.end_amdhsa_kernel
	.section	.text._ZN9rocsparseL19gebsrmvn_2xn_kernelILj128ELj7ELj16EfEEvi20rocsparse_direction_NS_24const_host_device_scalarIT2_EEPKiS6_PKS3_S8_S4_PS3_21rocsparse_index_base_b,"axG",@progbits,_ZN9rocsparseL19gebsrmvn_2xn_kernelILj128ELj7ELj16EfEEvi20rocsparse_direction_NS_24const_host_device_scalarIT2_EEPKiS6_PKS3_S8_S4_PS3_21rocsparse_index_base_b,comdat
.Lfunc_end27:
	.size	_ZN9rocsparseL19gebsrmvn_2xn_kernelILj128ELj7ELj16EfEEvi20rocsparse_direction_NS_24const_host_device_scalarIT2_EEPKiS6_PKS3_S8_S4_PS3_21rocsparse_index_base_b, .Lfunc_end27-_ZN9rocsparseL19gebsrmvn_2xn_kernelILj128ELj7ELj16EfEEvi20rocsparse_direction_NS_24const_host_device_scalarIT2_EEPKiS6_PKS3_S8_S4_PS3_21rocsparse_index_base_b
                                        ; -- End function
	.set _ZN9rocsparseL19gebsrmvn_2xn_kernelILj128ELj7ELj16EfEEvi20rocsparse_direction_NS_24const_host_device_scalarIT2_EEPKiS6_PKS3_S8_S4_PS3_21rocsparse_index_base_b.num_vgpr, 40
	.set _ZN9rocsparseL19gebsrmvn_2xn_kernelILj128ELj7ELj16EfEEvi20rocsparse_direction_NS_24const_host_device_scalarIT2_EEPKiS6_PKS3_S8_S4_PS3_21rocsparse_index_base_b.num_agpr, 0
	.set _ZN9rocsparseL19gebsrmvn_2xn_kernelILj128ELj7ELj16EfEEvi20rocsparse_direction_NS_24const_host_device_scalarIT2_EEPKiS6_PKS3_S8_S4_PS3_21rocsparse_index_base_b.numbered_sgpr, 18
	.set _ZN9rocsparseL19gebsrmvn_2xn_kernelILj128ELj7ELj16EfEEvi20rocsparse_direction_NS_24const_host_device_scalarIT2_EEPKiS6_PKS3_S8_S4_PS3_21rocsparse_index_base_b.num_named_barrier, 0
	.set _ZN9rocsparseL19gebsrmvn_2xn_kernelILj128ELj7ELj16EfEEvi20rocsparse_direction_NS_24const_host_device_scalarIT2_EEPKiS6_PKS3_S8_S4_PS3_21rocsparse_index_base_b.private_seg_size, 0
	.set _ZN9rocsparseL19gebsrmvn_2xn_kernelILj128ELj7ELj16EfEEvi20rocsparse_direction_NS_24const_host_device_scalarIT2_EEPKiS6_PKS3_S8_S4_PS3_21rocsparse_index_base_b.uses_vcc, 1
	.set _ZN9rocsparseL19gebsrmvn_2xn_kernelILj128ELj7ELj16EfEEvi20rocsparse_direction_NS_24const_host_device_scalarIT2_EEPKiS6_PKS3_S8_S4_PS3_21rocsparse_index_base_b.uses_flat_scratch, 0
	.set _ZN9rocsparseL19gebsrmvn_2xn_kernelILj128ELj7ELj16EfEEvi20rocsparse_direction_NS_24const_host_device_scalarIT2_EEPKiS6_PKS3_S8_S4_PS3_21rocsparse_index_base_b.has_dyn_sized_stack, 0
	.set _ZN9rocsparseL19gebsrmvn_2xn_kernelILj128ELj7ELj16EfEEvi20rocsparse_direction_NS_24const_host_device_scalarIT2_EEPKiS6_PKS3_S8_S4_PS3_21rocsparse_index_base_b.has_recursion, 0
	.set _ZN9rocsparseL19gebsrmvn_2xn_kernelILj128ELj7ELj16EfEEvi20rocsparse_direction_NS_24const_host_device_scalarIT2_EEPKiS6_PKS3_S8_S4_PS3_21rocsparse_index_base_b.has_indirect_call, 0
	.section	.AMDGPU.csdata,"",@progbits
; Kernel info:
; codeLenInByte = 1824
; TotalNumSgprs: 20
; NumVgprs: 40
; ScratchSize: 0
; MemoryBound: 0
; FloatMode: 240
; IeeeMode: 1
; LDSByteSize: 0 bytes/workgroup (compile time only)
; SGPRBlocks: 0
; VGPRBlocks: 2
; NumSGPRsForWavesPerEU: 20
; NumVGPRsForWavesPerEU: 40
; NamedBarCnt: 0
; Occupancy: 16
; WaveLimiterHint : 1
; COMPUTE_PGM_RSRC2:SCRATCH_EN: 0
; COMPUTE_PGM_RSRC2:USER_SGPR: 2
; COMPUTE_PGM_RSRC2:TRAP_HANDLER: 0
; COMPUTE_PGM_RSRC2:TGID_X_EN: 1
; COMPUTE_PGM_RSRC2:TGID_Y_EN: 0
; COMPUTE_PGM_RSRC2:TGID_Z_EN: 0
; COMPUTE_PGM_RSRC2:TIDIG_COMP_CNT: 0
	.section	.text._ZN9rocsparseL19gebsrmvn_2xn_kernelILj128ELj7ELj32EfEEvi20rocsparse_direction_NS_24const_host_device_scalarIT2_EEPKiS6_PKS3_S8_S4_PS3_21rocsparse_index_base_b,"axG",@progbits,_ZN9rocsparseL19gebsrmvn_2xn_kernelILj128ELj7ELj32EfEEvi20rocsparse_direction_NS_24const_host_device_scalarIT2_EEPKiS6_PKS3_S8_S4_PS3_21rocsparse_index_base_b,comdat
	.globl	_ZN9rocsparseL19gebsrmvn_2xn_kernelILj128ELj7ELj32EfEEvi20rocsparse_direction_NS_24const_host_device_scalarIT2_EEPKiS6_PKS3_S8_S4_PS3_21rocsparse_index_base_b ; -- Begin function _ZN9rocsparseL19gebsrmvn_2xn_kernelILj128ELj7ELj32EfEEvi20rocsparse_direction_NS_24const_host_device_scalarIT2_EEPKiS6_PKS3_S8_S4_PS3_21rocsparse_index_base_b
	.p2align	8
	.type	_ZN9rocsparseL19gebsrmvn_2xn_kernelILj128ELj7ELj32EfEEvi20rocsparse_direction_NS_24const_host_device_scalarIT2_EEPKiS6_PKS3_S8_S4_PS3_21rocsparse_index_base_b,@function
_ZN9rocsparseL19gebsrmvn_2xn_kernelILj128ELj7ELj32EfEEvi20rocsparse_direction_NS_24const_host_device_scalarIT2_EEPKiS6_PKS3_S8_S4_PS3_21rocsparse_index_base_b: ; @_ZN9rocsparseL19gebsrmvn_2xn_kernelILj128ELj7ELj32EfEEvi20rocsparse_direction_NS_24const_host_device_scalarIT2_EEPKiS6_PKS3_S8_S4_PS3_21rocsparse_index_base_b
; %bb.0:
	s_clause 0x2
	s_load_b64 s[16:17], s[0:1], 0x40
	s_load_b64 s[14:15], s[0:1], 0x8
	s_load_b64 s[12:13], s[0:1], 0x30
	s_wait_kmcnt 0x0
	s_bitcmp1_b32 s17, 0
	s_cselect_b32 s2, -1, 0
	s_delay_alu instid0(SALU_CYCLE_1)
	s_and_b32 vcc_lo, exec_lo, s2
	s_xor_b32 s2, s2, -1
	s_cbranch_vccnz .LBB28_2
; %bb.1:
	s_load_b32 s14, s[14:15], 0x0
.LBB28_2:
	s_and_not1_b32 vcc_lo, exec_lo, s2
	s_cbranch_vccnz .LBB28_4
; %bb.3:
	s_load_b32 s12, s[12:13], 0x0
.LBB28_4:
	s_wait_kmcnt 0x0
	s_cmp_eq_f32 s14, 0
	s_cselect_b32 s2, -1, 0
	s_cmp_eq_f32 s12, 1.0
	s_cselect_b32 s3, -1, 0
	s_delay_alu instid0(SALU_CYCLE_1) | instskip(NEXT) | instid1(SALU_CYCLE_1)
	s_and_b32 s2, s2, s3
	s_and_b32 vcc_lo, exec_lo, s2
	s_cbranch_vccnz .LBB28_23
; %bb.5:
	s_load_b64 s[2:3], s[0:1], 0x0
	s_bfe_u32 s4, ttmp6, 0x4000c
	s_and_b32 s5, ttmp6, 15
	s_add_co_i32 s4, s4, 1
	s_getreg_b32 s6, hwreg(HW_REG_IB_STS2, 6, 4)
	s_mul_i32 s4, ttmp9, s4
	v_lshrrev_b32_e32 v1, 5, v0
	s_add_co_i32 s5, s5, s4
	s_cmp_eq_u32 s6, 0
	s_cselect_b32 s4, ttmp9, s5
	s_delay_alu instid0(VALU_DEP_1) | instid1(SALU_CYCLE_1)
	v_lshl_or_b32 v2, s4, 2, v1
	s_wait_kmcnt 0x0
	s_delay_alu instid0(VALU_DEP_1)
	v_cmp_gt_i32_e32 vcc_lo, s2, v2
	s_and_saveexec_b32 s2, vcc_lo
	s_cbranch_execz .LBB28_23
; %bb.6:
	s_load_b256 s[4:11], s[0:1], 0x10
	v_ashrrev_i32_e32 v3, 31, v2
	s_cmp_lg_u32 s3, 0
	s_wait_kmcnt 0x0
	s_delay_alu instid0(VALU_DEP_1)
	v_lshl_add_u64 v[4:5], v[2:3], 2, s[4:5]
	v_and_b32_e32 v3, 31, v0
	global_load_b64 v[4:5], v[4:5], off
	s_wait_loadcnt 0x0
	v_subrev_nc_u32_e32 v0, s16, v4
	v_subrev_nc_u32_e32 v8, s16, v5
	s_delay_alu instid0(VALU_DEP_2) | instskip(NEXT) | instid1(VALU_DEP_1)
	v_add_nc_u32_e32 v9, v0, v3
	v_cmp_lt_i32_e64 s2, v9, v8
	s_cbranch_scc0 .LBB28_12
; %bb.7:
	v_mov_b32_e32 v1, 0
	s_delay_alu instid0(VALU_DEP_1)
	v_mov_b32_e32 v0, v1
	s_and_saveexec_b32 s3, s2
	s_cbranch_execz .LBB28_11
; %bb.8:
	v_mad_u32 v4, v9, 14, 12
	v_dual_mov_b32 v7, 0 :: v_dual_mov_b32 v10, v9
	s_mov_b32 s4, 0
	s_delay_alu instid0(VALU_DEP_1)
	v_dual_mov_b32 v0, v7 :: v_dual_mov_b32 v1, v7
.LBB28_9:                               ; =>This Inner Loop Header: Depth=1
	global_load_b32 v5, v10, s[6:7] scale_offset
	s_wait_xcnt 0x0
	v_add_nc_u32_e32 v10, 32, v10
	s_delay_alu instid0(VALU_DEP_1) | instskip(SKIP_3) | instid1(VALU_DEP_1)
	v_cmp_ge_i32_e32 vcc_lo, v10, v8
	s_or_b32 s4, vcc_lo, s4
	s_wait_loadcnt 0x0
	v_subrev_nc_u32_e32 v5, s16, v5
	v_mul_lo_u32 v11, v5, 7
	s_delay_alu instid0(VALU_DEP_1) | instskip(NEXT) | instid1(VALU_DEP_1)
	v_dual_add_nc_u32 v6, -12, v4 :: v_dual_add_nc_u32 v5, 1, v11
	v_lshl_add_u64 v[12:13], v[6:7], 2, s[8:9]
	v_dual_add_nc_u32 v6, -10, v4 :: v_dual_add_nc_u32 v19, 2, v11
	s_clause 0x1
	global_load_b32 v18, v11, s[10:11] scale_offset
	global_load_b32 v20, v5, s[10:11] scale_offset
	global_load_b64 v[12:13], v[12:13], off
	v_lshl_add_u64 v[14:15], v[6:7], 2, s[8:9]
	s_wait_xcnt 0x1
	v_dual_add_nc_u32 v6, -8, v4 :: v_dual_add_nc_u32 v5, 3, v11
	v_add_nc_u32_e32 v21, 5, v11
	global_load_b64 v[14:15], v[14:15], off
	v_lshl_add_u64 v[16:17], v[6:7], 2, s[8:9]
	v_add_nc_u32_e32 v6, -6, v4
	global_load_b64 v[16:17], v[16:17], off
	v_lshl_add_u64 v[22:23], v[6:7], 2, s[8:9]
	v_add_nc_u32_e32 v6, -4, v4
	global_load_b32 v24, v19, s[10:11] scale_offset
	global_load_b64 v[26:27], v[22:23], off
	s_wait_xcnt 0x1
	v_add_nc_u32_e32 v19, 4, v11
	s_wait_xcnt 0x0
	v_lshl_add_u64 v[22:23], v[6:7], 2, s[8:9]
	v_add_nc_u32_e32 v6, -2, v4
	global_load_b32 v28, v5, s[10:11] scale_offset
	global_load_b64 v[22:23], v[22:23], off
	v_lshl_add_u64 v[30:31], v[6:7], 2, s[8:9]
	global_load_b32 v6, v19, s[10:11] scale_offset
	s_wait_xcnt 0x2
	v_mov_b32_e32 v5, v7
	global_load_b64 v[30:31], v[30:31], off
	v_lshl_add_u64 v[32:33], v[4:5], 2, s[8:9]
	v_add_nc_u32_e32 v5, 6, v11
	global_load_b32 v34, v21, s[10:11] scale_offset
	global_load_b64 v[36:37], v[32:33], off
	global_load_b32 v38, v5, s[10:11] scale_offset
	v_add_nc_u32_e32 v4, 0x1c0, v4
	s_wait_loadcnt 0xb
	v_pk_fma_f32 v[0:1], v[12:13], v[18:19], v[0:1] op_sel_hi:[1,0,1]
	s_wait_loadcnt 0xa
	s_delay_alu instid0(VALU_DEP_1) | instskip(SKIP_1) | instid1(VALU_DEP_1)
	v_pk_fma_f32 v[0:1], v[14:15], v[20:21], v[0:1] op_sel_hi:[1,0,1]
	s_wait_loadcnt 0x8
	v_pk_fma_f32 v[0:1], v[16:17], v[24:25], v[0:1] op_sel_hi:[1,0,1]
	s_wait_loadcnt 0x6
	s_delay_alu instid0(VALU_DEP_1) | instskip(SKIP_1) | instid1(VALU_DEP_1)
	v_pk_fma_f32 v[0:1], v[26:27], v[28:29], v[0:1] op_sel_hi:[1,0,1]
	;; [unrolled: 5-line block ×3, first 2 shown]
	s_wait_loadcnt 0x0
	v_pk_fma_f32 v[0:1], v[36:37], v[38:39], v[0:1] op_sel_hi:[1,0,1]
	s_and_not1_b32 exec_lo, exec_lo, s4
	s_cbranch_execnz .LBB28_9
; %bb.10:
	s_or_b32 exec_lo, exec_lo, s4
.LBB28_11:
	s_delay_alu instid0(SALU_CYCLE_1)
	s_or_b32 exec_lo, exec_lo, s3
	s_cbranch_execz .LBB28_13
	s_branch .LBB28_18
.LBB28_12:
                                        ; implicit-def: $vgpr1
.LBB28_13:
	v_mov_b32_e32 v1, 0
	s_delay_alu instid0(VALU_DEP_1)
	v_mov_b32_e32 v0, v1
	s_and_saveexec_b32 s3, s2
	s_cbranch_execz .LBB28_17
; %bb.14:
	v_mad_u32 v6, v9, 14, 13
	v_mov_b32_e32 v5, 0
	s_mov_b32 s2, 0
	s_delay_alu instid0(VALU_DEP_1)
	v_dual_mov_b32 v0, v5 :: v_dual_mov_b32 v1, v5
.LBB28_15:                              ; =>This Inner Loop Header: Depth=1
	global_load_b32 v4, v9, s[6:7] scale_offset
	v_dual_add_nc_u32 v14, -5, v6 :: v_dual_add_nc_u32 v17, -11, v6
	v_dual_add_nc_u32 v20, -4, v6 :: v_dual_add_nc_u32 v21, -10, v6
	s_wait_xcnt 0x0
	v_dual_add_nc_u32 v9, 32, v9 :: v_dual_add_nc_u32 v12, -6, v6
	v_add_nc_u32_e32 v24, -3, v6
	s_delay_alu instid0(VALU_DEP_2) | instskip(SKIP_4) | instid1(VALU_DEP_2)
	v_cmp_ge_i32_e32 vcc_lo, v9, v8
	s_or_b32 s2, vcc_lo, s2
	s_wait_loadcnt 0x0
	v_subrev_nc_u32_e32 v7, s16, v4
	v_add_nc_u32_e32 v4, -13, v6
	v_mul_lo_u32 v7, v7, 7
	s_delay_alu instid0(VALU_DEP_2)
	v_lshl_add_u64 v[10:11], v[4:5], 2, s[8:9]
	v_add_nc_u32_e32 v25, -9, v6
	s_clause 0x1
	global_load_b64 v[10:11], v[10:11], off
	global_load_b32 v13, v12, s[8:9] scale_offset
	global_load_b32 v4, v7, s[10:11] scale_offset
	s_wait_xcnt 0x1
	v_add_nc_u32_e32 v12, 1, v7
	global_load_b32 v15, v14, s[8:9] scale_offset
	s_wait_xcnt 0x0
	v_add_nc_u32_e32 v14, 2, v7
	global_load_b32 v16, v12, s[10:11] scale_offset
	s_wait_xcnt 0x0
	v_add_nc_u32_e32 v12, -2, v6
	s_clause 0x1
	global_load_b32 v18, v17, s[8:9] scale_offset
	global_load_b32 v19, v20, s[8:9] scale_offset
	s_wait_xcnt 0x1
	v_add_nc_u32_e32 v17, 3, v7
	global_load_b32 v20, v14, s[10:11] scale_offset
	s_wait_xcnt 0x0
	v_add_nc_u32_e32 v14, -8, v6
	s_clause 0x1
	global_load_b32 v22, v21, s[8:9] scale_offset
	global_load_b32 v23, v24, s[8:9] scale_offset
	s_wait_xcnt 0x1
	v_add_nc_u32_e32 v21, 4, v7
	global_load_b32 v24, v17, s[10:11] scale_offset
	s_clause 0x1
	global_load_b32 v26, v25, s[8:9] scale_offset
	global_load_b32 v27, v12, s[8:9] scale_offset
	s_wait_xcnt 0x0
	v_dual_add_nc_u32 v17, -1, v6 :: v_dual_add_nc_u32 v12, 5, v7
	global_load_b32 v28, v21, s[10:11] scale_offset
	s_wait_xcnt 0x0
	v_dual_add_nc_u32 v21, -7, v6 :: v_dual_add_nc_u32 v7, 6, v7
	s_clause 0x1
	global_load_b32 v30, v14, s[8:9] scale_offset
	global_load_b32 v31, v17, s[8:9] scale_offset
	;; [unrolled: 1-line block ×3, first 2 shown]
	s_clause 0x1
	global_load_b32 v35, v6, s[8:9] scale_offset
	global_load_b32 v34, v21, s[8:9] scale_offset
	global_load_b32 v36, v7, s[10:11] scale_offset
	s_wait_xcnt 0x2
	v_add_nc_u32_e32 v6, 0x1c0, v6
	s_wait_loadcnt 0x13
	v_dual_mov_b32 v12, v10 :: v_dual_mov_b32 v14, v11
	s_wait_loadcnt 0x11
	s_delay_alu instid0(VALU_DEP_1) | instskip(SKIP_1) | instid1(VALU_DEP_1)
	v_pk_fma_f32 v[0:1], v[12:13], v[4:5], v[0:1] op_sel_hi:[1,0,1]
	s_wait_loadcnt 0xf
	v_pk_fma_f32 v[0:1], v[14:15], v[16:17], v[0:1] op_sel_hi:[1,0,1]
	s_wait_loadcnt 0xc
	s_delay_alu instid0(VALU_DEP_1) | instskip(SKIP_1) | instid1(VALU_DEP_1)
	v_pk_fma_f32 v[0:1], v[18:19], v[20:21], v[0:1] op_sel_hi:[1,0,1]
	s_wait_loadcnt 0x9
	v_pk_fma_f32 v[0:1], v[22:23], v[24:25], v[0:1] op_sel_hi:[1,0,1]
	;; [unrolled: 5-line block ×3, first 2 shown]
	s_wait_loadcnt 0x0
	s_delay_alu instid0(VALU_DEP_1)
	v_pk_fma_f32 v[0:1], v[34:35], v[36:37], v[0:1] op_sel_hi:[1,0,1]
	s_and_not1_b32 exec_lo, exec_lo, s2
	s_cbranch_execnz .LBB28_15
; %bb.16:
	s_or_b32 exec_lo, exec_lo, s2
.LBB28_17:
	s_delay_alu instid0(SALU_CYCLE_1)
	s_or_b32 exec_lo, exec_lo, s3
.LBB28_18:
	v_mbcnt_lo_u32_b32 v6, -1, 0
	s_mov_b32 s2, -1
	s_delay_alu instid0(VALU_DEP_1) | instskip(SKIP_1) | instid1(VALU_DEP_1)
	v_xor_b32_e32 v7, 8, v6
	v_xor_b32_e32 v4, 16, v6
	v_cmp_gt_i32_e32 vcc_lo, 32, v4
	v_cndmask_b32_e32 v4, v6, v4, vcc_lo
	s_delay_alu instid0(VALU_DEP_4) | instskip(SKIP_1) | instid1(VALU_DEP_1)
	v_cmp_gt_i32_e32 vcc_lo, 32, v7
	v_cndmask_b32_e32 v7, v6, v7, vcc_lo
	v_dual_lshlrev_b32 v7, 2, v7 :: v_dual_lshlrev_b32 v5, 2, v4
	ds_bpermute_b32 v4, v5, v0
	ds_bpermute_b32 v5, v5, v1
	s_wait_dscnt 0x0
	v_pk_add_f32 v[0:1], v[0:1], v[4:5]
	ds_bpermute_b32 v4, v7, v0
	ds_bpermute_b32 v5, v7, v1
	v_xor_b32_e32 v7, 4, v6
	s_delay_alu instid0(VALU_DEP_1) | instskip(SKIP_1) | instid1(VALU_DEP_1)
	v_cmp_gt_i32_e32 vcc_lo, 32, v7
	v_cndmask_b32_e32 v7, v6, v7, vcc_lo
	v_lshlrev_b32_e32 v7, 2, v7
	s_wait_dscnt 0x0
	v_pk_add_f32 v[0:1], v[0:1], v[4:5]
	ds_bpermute_b32 v4, v7, v0
	ds_bpermute_b32 v5, v7, v1
	v_xor_b32_e32 v7, 2, v6
	s_delay_alu instid0(VALU_DEP_1) | instskip(SKIP_1) | instid1(VALU_DEP_1)
	v_cmp_gt_i32_e32 vcc_lo, 32, v7
	v_cndmask_b32_e32 v7, v6, v7, vcc_lo
	v_lshlrev_b32_e32 v7, 2, v7
	s_wait_dscnt 0x0
	v_pk_add_f32 v[0:1], v[0:1], v[4:5]
	ds_bpermute_b32 v4, v7, v0
	ds_bpermute_b32 v5, v7, v1
	v_xor_b32_e32 v7, 1, v6
	s_delay_alu instid0(VALU_DEP_1) | instskip(SKIP_2) | instid1(VALU_DEP_2)
	v_cmp_gt_i32_e32 vcc_lo, 32, v7
	v_cndmask_b32_e32 v6, v6, v7, vcc_lo
	v_cmp_eq_u32_e32 vcc_lo, 31, v3
	v_lshlrev_b32_e32 v6, 2, v6
	s_wait_dscnt 0x0
	v_pk_add_f32 v[0:1], v[0:1], v[4:5]
	ds_bpermute_b32 v4, v6, v0
	ds_bpermute_b32 v5, v6, v1
	s_and_b32 exec_lo, exec_lo, vcc_lo
	s_cbranch_execz .LBB28_23
; %bb.19:
	s_load_b64 s[0:1], s[0:1], 0x38
	s_wait_dscnt 0x0
	v_pk_add_f32 v[0:1], v[0:1], v[4:5]
	v_lshlrev_b32_e32 v2, 1, v2
	s_cmp_eq_f32 s12, 0
	s_cbranch_scc0 .LBB28_21
; %bb.20:
	s_delay_alu instid0(VALU_DEP_1) | instskip(SKIP_3) | instid1(VALU_DEP_2)
	v_ashrrev_i32_e32 v3, 31, v2
	v_pk_mul_f32 v[6:7], s[14:15], v[0:1] op_sel_hi:[0,1]
	s_mov_b32 s2, 0
	s_wait_kmcnt 0x0
	v_lshl_add_u64 v[4:5], v[2:3], 2, s[0:1]
	global_store_b64 v[4:5], v[6:7], off
.LBB28_21:
	s_and_not1_b32 vcc_lo, exec_lo, s2
	s_cbranch_vccnz .LBB28_23
; %bb.22:
	v_ashrrev_i32_e32 v3, 31, v2
	v_pk_mul_f32 v[0:1], s[14:15], v[0:1] op_sel_hi:[0,1]
	s_wait_kmcnt 0x0
	s_delay_alu instid0(VALU_DEP_2)
	v_lshl_add_u64 v[2:3], v[2:3], 2, s[0:1]
	global_load_b64 v[4:5], v[2:3], off
	s_wait_loadcnt 0x0
	v_pk_fma_f32 v[0:1], s[12:13], v[4:5], v[0:1] op_sel_hi:[0,1,1]
	global_store_b64 v[2:3], v[0:1], off
.LBB28_23:
	s_endpgm
	.section	.rodata,"a",@progbits
	.p2align	6, 0x0
	.amdhsa_kernel _ZN9rocsparseL19gebsrmvn_2xn_kernelILj128ELj7ELj32EfEEvi20rocsparse_direction_NS_24const_host_device_scalarIT2_EEPKiS6_PKS3_S8_S4_PS3_21rocsparse_index_base_b
		.amdhsa_group_segment_fixed_size 0
		.amdhsa_private_segment_fixed_size 0
		.amdhsa_kernarg_size 72
		.amdhsa_user_sgpr_count 2
		.amdhsa_user_sgpr_dispatch_ptr 0
		.amdhsa_user_sgpr_queue_ptr 0
		.amdhsa_user_sgpr_kernarg_segment_ptr 1
		.amdhsa_user_sgpr_dispatch_id 0
		.amdhsa_user_sgpr_kernarg_preload_length 0
		.amdhsa_user_sgpr_kernarg_preload_offset 0
		.amdhsa_user_sgpr_private_segment_size 0
		.amdhsa_wavefront_size32 1
		.amdhsa_uses_dynamic_stack 0
		.amdhsa_enable_private_segment 0
		.amdhsa_system_sgpr_workgroup_id_x 1
		.amdhsa_system_sgpr_workgroup_id_y 0
		.amdhsa_system_sgpr_workgroup_id_z 0
		.amdhsa_system_sgpr_workgroup_info 0
		.amdhsa_system_vgpr_workitem_id 0
		.amdhsa_next_free_vgpr 40
		.amdhsa_next_free_sgpr 18
		.amdhsa_named_barrier_count 0
		.amdhsa_reserve_vcc 1
		.amdhsa_float_round_mode_32 0
		.amdhsa_float_round_mode_16_64 0
		.amdhsa_float_denorm_mode_32 3
		.amdhsa_float_denorm_mode_16_64 3
		.amdhsa_fp16_overflow 0
		.amdhsa_memory_ordered 1
		.amdhsa_forward_progress 1
		.amdhsa_inst_pref_size 15
		.amdhsa_round_robin_scheduling 0
		.amdhsa_exception_fp_ieee_invalid_op 0
		.amdhsa_exception_fp_denorm_src 0
		.amdhsa_exception_fp_ieee_div_zero 0
		.amdhsa_exception_fp_ieee_overflow 0
		.amdhsa_exception_fp_ieee_underflow 0
		.amdhsa_exception_fp_ieee_inexact 0
		.amdhsa_exception_int_div_zero 0
	.end_amdhsa_kernel
	.section	.text._ZN9rocsparseL19gebsrmvn_2xn_kernelILj128ELj7ELj32EfEEvi20rocsparse_direction_NS_24const_host_device_scalarIT2_EEPKiS6_PKS3_S8_S4_PS3_21rocsparse_index_base_b,"axG",@progbits,_ZN9rocsparseL19gebsrmvn_2xn_kernelILj128ELj7ELj32EfEEvi20rocsparse_direction_NS_24const_host_device_scalarIT2_EEPKiS6_PKS3_S8_S4_PS3_21rocsparse_index_base_b,comdat
.Lfunc_end28:
	.size	_ZN9rocsparseL19gebsrmvn_2xn_kernelILj128ELj7ELj32EfEEvi20rocsparse_direction_NS_24const_host_device_scalarIT2_EEPKiS6_PKS3_S8_S4_PS3_21rocsparse_index_base_b, .Lfunc_end28-_ZN9rocsparseL19gebsrmvn_2xn_kernelILj128ELj7ELj32EfEEvi20rocsparse_direction_NS_24const_host_device_scalarIT2_EEPKiS6_PKS3_S8_S4_PS3_21rocsparse_index_base_b
                                        ; -- End function
	.set _ZN9rocsparseL19gebsrmvn_2xn_kernelILj128ELj7ELj32EfEEvi20rocsparse_direction_NS_24const_host_device_scalarIT2_EEPKiS6_PKS3_S8_S4_PS3_21rocsparse_index_base_b.num_vgpr, 40
	.set _ZN9rocsparseL19gebsrmvn_2xn_kernelILj128ELj7ELj32EfEEvi20rocsparse_direction_NS_24const_host_device_scalarIT2_EEPKiS6_PKS3_S8_S4_PS3_21rocsparse_index_base_b.num_agpr, 0
	.set _ZN9rocsparseL19gebsrmvn_2xn_kernelILj128ELj7ELj32EfEEvi20rocsparse_direction_NS_24const_host_device_scalarIT2_EEPKiS6_PKS3_S8_S4_PS3_21rocsparse_index_base_b.numbered_sgpr, 18
	.set _ZN9rocsparseL19gebsrmvn_2xn_kernelILj128ELj7ELj32EfEEvi20rocsparse_direction_NS_24const_host_device_scalarIT2_EEPKiS6_PKS3_S8_S4_PS3_21rocsparse_index_base_b.num_named_barrier, 0
	.set _ZN9rocsparseL19gebsrmvn_2xn_kernelILj128ELj7ELj32EfEEvi20rocsparse_direction_NS_24const_host_device_scalarIT2_EEPKiS6_PKS3_S8_S4_PS3_21rocsparse_index_base_b.private_seg_size, 0
	.set _ZN9rocsparseL19gebsrmvn_2xn_kernelILj128ELj7ELj32EfEEvi20rocsparse_direction_NS_24const_host_device_scalarIT2_EEPKiS6_PKS3_S8_S4_PS3_21rocsparse_index_base_b.uses_vcc, 1
	.set _ZN9rocsparseL19gebsrmvn_2xn_kernelILj128ELj7ELj32EfEEvi20rocsparse_direction_NS_24const_host_device_scalarIT2_EEPKiS6_PKS3_S8_S4_PS3_21rocsparse_index_base_b.uses_flat_scratch, 0
	.set _ZN9rocsparseL19gebsrmvn_2xn_kernelILj128ELj7ELj32EfEEvi20rocsparse_direction_NS_24const_host_device_scalarIT2_EEPKiS6_PKS3_S8_S4_PS3_21rocsparse_index_base_b.has_dyn_sized_stack, 0
	.set _ZN9rocsparseL19gebsrmvn_2xn_kernelILj128ELj7ELj32EfEEvi20rocsparse_direction_NS_24const_host_device_scalarIT2_EEPKiS6_PKS3_S8_S4_PS3_21rocsparse_index_base_b.has_recursion, 0
	.set _ZN9rocsparseL19gebsrmvn_2xn_kernelILj128ELj7ELj32EfEEvi20rocsparse_direction_NS_24const_host_device_scalarIT2_EEPKiS6_PKS3_S8_S4_PS3_21rocsparse_index_base_b.has_indirect_call, 0
	.section	.AMDGPU.csdata,"",@progbits
; Kernel info:
; codeLenInByte = 1872
; TotalNumSgprs: 20
; NumVgprs: 40
; ScratchSize: 0
; MemoryBound: 0
; FloatMode: 240
; IeeeMode: 1
; LDSByteSize: 0 bytes/workgroup (compile time only)
; SGPRBlocks: 0
; VGPRBlocks: 2
; NumSGPRsForWavesPerEU: 20
; NumVGPRsForWavesPerEU: 40
; NamedBarCnt: 0
; Occupancy: 16
; WaveLimiterHint : 1
; COMPUTE_PGM_RSRC2:SCRATCH_EN: 0
; COMPUTE_PGM_RSRC2:USER_SGPR: 2
; COMPUTE_PGM_RSRC2:TRAP_HANDLER: 0
; COMPUTE_PGM_RSRC2:TGID_X_EN: 1
; COMPUTE_PGM_RSRC2:TGID_Y_EN: 0
; COMPUTE_PGM_RSRC2:TGID_Z_EN: 0
; COMPUTE_PGM_RSRC2:TIDIG_COMP_CNT: 0
	.section	.text._ZN9rocsparseL19gebsrmvn_2xn_kernelILj128ELj7ELj64EfEEvi20rocsparse_direction_NS_24const_host_device_scalarIT2_EEPKiS6_PKS3_S8_S4_PS3_21rocsparse_index_base_b,"axG",@progbits,_ZN9rocsparseL19gebsrmvn_2xn_kernelILj128ELj7ELj64EfEEvi20rocsparse_direction_NS_24const_host_device_scalarIT2_EEPKiS6_PKS3_S8_S4_PS3_21rocsparse_index_base_b,comdat
	.globl	_ZN9rocsparseL19gebsrmvn_2xn_kernelILj128ELj7ELj64EfEEvi20rocsparse_direction_NS_24const_host_device_scalarIT2_EEPKiS6_PKS3_S8_S4_PS3_21rocsparse_index_base_b ; -- Begin function _ZN9rocsparseL19gebsrmvn_2xn_kernelILj128ELj7ELj64EfEEvi20rocsparse_direction_NS_24const_host_device_scalarIT2_EEPKiS6_PKS3_S8_S4_PS3_21rocsparse_index_base_b
	.p2align	8
	.type	_ZN9rocsparseL19gebsrmvn_2xn_kernelILj128ELj7ELj64EfEEvi20rocsparse_direction_NS_24const_host_device_scalarIT2_EEPKiS6_PKS3_S8_S4_PS3_21rocsparse_index_base_b,@function
_ZN9rocsparseL19gebsrmvn_2xn_kernelILj128ELj7ELj64EfEEvi20rocsparse_direction_NS_24const_host_device_scalarIT2_EEPKiS6_PKS3_S8_S4_PS3_21rocsparse_index_base_b: ; @_ZN9rocsparseL19gebsrmvn_2xn_kernelILj128ELj7ELj64EfEEvi20rocsparse_direction_NS_24const_host_device_scalarIT2_EEPKiS6_PKS3_S8_S4_PS3_21rocsparse_index_base_b
; %bb.0:
	s_clause 0x2
	s_load_b64 s[16:17], s[0:1], 0x40
	s_load_b64 s[14:15], s[0:1], 0x8
	;; [unrolled: 1-line block ×3, first 2 shown]
	s_wait_kmcnt 0x0
	s_bitcmp1_b32 s17, 0
	s_cselect_b32 s2, -1, 0
	s_delay_alu instid0(SALU_CYCLE_1)
	s_and_b32 vcc_lo, exec_lo, s2
	s_xor_b32 s2, s2, -1
	s_cbranch_vccnz .LBB29_2
; %bb.1:
	s_load_b32 s14, s[14:15], 0x0
.LBB29_2:
	s_and_not1_b32 vcc_lo, exec_lo, s2
	s_cbranch_vccnz .LBB29_4
; %bb.3:
	s_load_b32 s12, s[12:13], 0x0
.LBB29_4:
	s_wait_kmcnt 0x0
	s_cmp_eq_f32 s14, 0
	s_cselect_b32 s2, -1, 0
	s_cmp_eq_f32 s12, 1.0
	s_cselect_b32 s3, -1, 0
	s_delay_alu instid0(SALU_CYCLE_1) | instskip(NEXT) | instid1(SALU_CYCLE_1)
	s_and_b32 s2, s2, s3
	s_and_b32 vcc_lo, exec_lo, s2
	s_cbranch_vccnz .LBB29_23
; %bb.5:
	s_load_b64 s[2:3], s[0:1], 0x0
	s_bfe_u32 s4, ttmp6, 0x4000c
	s_and_b32 s5, ttmp6, 15
	s_add_co_i32 s4, s4, 1
	s_getreg_b32 s6, hwreg(HW_REG_IB_STS2, 6, 4)
	s_mul_i32 s4, ttmp9, s4
	v_lshrrev_b32_e32 v1, 6, v0
	s_add_co_i32 s5, s5, s4
	s_cmp_eq_u32 s6, 0
	s_cselect_b32 s4, ttmp9, s5
	s_delay_alu instid0(VALU_DEP_1) | instid1(SALU_CYCLE_1)
	v_lshl_or_b32 v2, s4, 1, v1
	s_wait_kmcnt 0x0
	s_delay_alu instid0(VALU_DEP_1)
	v_cmp_gt_i32_e32 vcc_lo, s2, v2
	s_and_saveexec_b32 s2, vcc_lo
	s_cbranch_execz .LBB29_23
; %bb.6:
	s_load_b256 s[4:11], s[0:1], 0x10
	v_ashrrev_i32_e32 v3, 31, v2
	s_cmp_lg_u32 s3, 0
	s_wait_kmcnt 0x0
	s_delay_alu instid0(VALU_DEP_1)
	v_lshl_add_u64 v[4:5], v[2:3], 2, s[4:5]
	v_and_b32_e32 v3, 63, v0
	global_load_b64 v[4:5], v[4:5], off
	s_wait_loadcnt 0x0
	v_subrev_nc_u32_e32 v0, s16, v4
	v_subrev_nc_u32_e32 v8, s16, v5
	s_delay_alu instid0(VALU_DEP_2) | instskip(NEXT) | instid1(VALU_DEP_1)
	v_add_nc_u32_e32 v9, v0, v3
	v_cmp_lt_i32_e64 s2, v9, v8
	s_cbranch_scc0 .LBB29_12
; %bb.7:
	v_mov_b32_e32 v1, 0
	s_delay_alu instid0(VALU_DEP_1)
	v_mov_b32_e32 v0, v1
	s_and_saveexec_b32 s3, s2
	s_cbranch_execz .LBB29_11
; %bb.8:
	v_mad_u32 v4, v9, 14, 12
	v_dual_mov_b32 v7, 0 :: v_dual_mov_b32 v10, v9
	s_mov_b32 s4, 0
	s_delay_alu instid0(VALU_DEP_1)
	v_dual_mov_b32 v0, v7 :: v_dual_mov_b32 v1, v7
.LBB29_9:                               ; =>This Inner Loop Header: Depth=1
	global_load_b32 v5, v10, s[6:7] scale_offset
	s_wait_xcnt 0x0
	v_add_nc_u32_e32 v10, 64, v10
	s_delay_alu instid0(VALU_DEP_1) | instskip(SKIP_3) | instid1(VALU_DEP_1)
	v_cmp_ge_i32_e32 vcc_lo, v10, v8
	s_or_b32 s4, vcc_lo, s4
	s_wait_loadcnt 0x0
	v_subrev_nc_u32_e32 v5, s16, v5
	v_mul_lo_u32 v11, v5, 7
	s_delay_alu instid0(VALU_DEP_1) | instskip(NEXT) | instid1(VALU_DEP_1)
	v_dual_add_nc_u32 v6, -12, v4 :: v_dual_add_nc_u32 v5, 1, v11
	v_lshl_add_u64 v[12:13], v[6:7], 2, s[8:9]
	v_dual_add_nc_u32 v6, -10, v4 :: v_dual_add_nc_u32 v19, 2, v11
	s_clause 0x1
	global_load_b32 v18, v11, s[10:11] scale_offset
	global_load_b32 v20, v5, s[10:11] scale_offset
	global_load_b64 v[12:13], v[12:13], off
	v_lshl_add_u64 v[14:15], v[6:7], 2, s[8:9]
	s_wait_xcnt 0x1
	v_dual_add_nc_u32 v6, -8, v4 :: v_dual_add_nc_u32 v5, 3, v11
	v_add_nc_u32_e32 v21, 5, v11
	global_load_b64 v[14:15], v[14:15], off
	v_lshl_add_u64 v[16:17], v[6:7], 2, s[8:9]
	v_add_nc_u32_e32 v6, -6, v4
	global_load_b64 v[16:17], v[16:17], off
	v_lshl_add_u64 v[22:23], v[6:7], 2, s[8:9]
	v_add_nc_u32_e32 v6, -4, v4
	global_load_b32 v24, v19, s[10:11] scale_offset
	global_load_b64 v[26:27], v[22:23], off
	s_wait_xcnt 0x1
	v_add_nc_u32_e32 v19, 4, v11
	s_wait_xcnt 0x0
	v_lshl_add_u64 v[22:23], v[6:7], 2, s[8:9]
	v_add_nc_u32_e32 v6, -2, v4
	global_load_b32 v28, v5, s[10:11] scale_offset
	global_load_b64 v[22:23], v[22:23], off
	v_lshl_add_u64 v[30:31], v[6:7], 2, s[8:9]
	global_load_b32 v6, v19, s[10:11] scale_offset
	s_wait_xcnt 0x2
	v_mov_b32_e32 v5, v7
	global_load_b64 v[30:31], v[30:31], off
	v_lshl_add_u64 v[32:33], v[4:5], 2, s[8:9]
	v_add_nc_u32_e32 v5, 6, v11
	global_load_b32 v34, v21, s[10:11] scale_offset
	global_load_b64 v[36:37], v[32:33], off
	global_load_b32 v38, v5, s[10:11] scale_offset
	v_add_nc_u32_e32 v4, 0x380, v4
	s_wait_loadcnt 0xb
	v_pk_fma_f32 v[0:1], v[12:13], v[18:19], v[0:1] op_sel_hi:[1,0,1]
	s_wait_loadcnt 0xa
	s_delay_alu instid0(VALU_DEP_1) | instskip(SKIP_1) | instid1(VALU_DEP_1)
	v_pk_fma_f32 v[0:1], v[14:15], v[20:21], v[0:1] op_sel_hi:[1,0,1]
	s_wait_loadcnt 0x8
	v_pk_fma_f32 v[0:1], v[16:17], v[24:25], v[0:1] op_sel_hi:[1,0,1]
	s_wait_loadcnt 0x6
	s_delay_alu instid0(VALU_DEP_1) | instskip(SKIP_1) | instid1(VALU_DEP_1)
	v_pk_fma_f32 v[0:1], v[26:27], v[28:29], v[0:1] op_sel_hi:[1,0,1]
	;; [unrolled: 5-line block ×3, first 2 shown]
	s_wait_loadcnt 0x0
	v_pk_fma_f32 v[0:1], v[36:37], v[38:39], v[0:1] op_sel_hi:[1,0,1]
	s_and_not1_b32 exec_lo, exec_lo, s4
	s_cbranch_execnz .LBB29_9
; %bb.10:
	s_or_b32 exec_lo, exec_lo, s4
.LBB29_11:
	s_delay_alu instid0(SALU_CYCLE_1)
	s_or_b32 exec_lo, exec_lo, s3
	s_cbranch_execz .LBB29_13
	s_branch .LBB29_18
.LBB29_12:
                                        ; implicit-def: $vgpr1
.LBB29_13:
	v_mov_b32_e32 v1, 0
	s_delay_alu instid0(VALU_DEP_1)
	v_mov_b32_e32 v0, v1
	s_and_saveexec_b32 s3, s2
	s_cbranch_execz .LBB29_17
; %bb.14:
	v_mad_u32 v6, v9, 14, 13
	v_mov_b32_e32 v5, 0
	s_mov_b32 s2, 0
	s_delay_alu instid0(VALU_DEP_1)
	v_dual_mov_b32 v0, v5 :: v_dual_mov_b32 v1, v5
.LBB29_15:                              ; =>This Inner Loop Header: Depth=1
	global_load_b32 v4, v9, s[6:7] scale_offset
	v_dual_add_nc_u32 v14, -5, v6 :: v_dual_add_nc_u32 v17, -11, v6
	v_dual_add_nc_u32 v20, -4, v6 :: v_dual_add_nc_u32 v21, -10, v6
	s_wait_xcnt 0x0
	v_dual_add_nc_u32 v9, 64, v9 :: v_dual_add_nc_u32 v12, -6, v6
	v_add_nc_u32_e32 v24, -3, v6
	s_delay_alu instid0(VALU_DEP_2) | instskip(SKIP_4) | instid1(VALU_DEP_2)
	v_cmp_ge_i32_e32 vcc_lo, v9, v8
	s_or_b32 s2, vcc_lo, s2
	s_wait_loadcnt 0x0
	v_subrev_nc_u32_e32 v7, s16, v4
	v_add_nc_u32_e32 v4, -13, v6
	v_mul_lo_u32 v7, v7, 7
	s_delay_alu instid0(VALU_DEP_2)
	v_lshl_add_u64 v[10:11], v[4:5], 2, s[8:9]
	v_add_nc_u32_e32 v25, -9, v6
	s_clause 0x1
	global_load_b64 v[10:11], v[10:11], off
	global_load_b32 v13, v12, s[8:9] scale_offset
	global_load_b32 v4, v7, s[10:11] scale_offset
	s_wait_xcnt 0x1
	v_add_nc_u32_e32 v12, 1, v7
	global_load_b32 v15, v14, s[8:9] scale_offset
	s_wait_xcnt 0x0
	v_add_nc_u32_e32 v14, 2, v7
	global_load_b32 v16, v12, s[10:11] scale_offset
	s_wait_xcnt 0x0
	v_add_nc_u32_e32 v12, -2, v6
	s_clause 0x1
	global_load_b32 v18, v17, s[8:9] scale_offset
	global_load_b32 v19, v20, s[8:9] scale_offset
	s_wait_xcnt 0x1
	v_add_nc_u32_e32 v17, 3, v7
	global_load_b32 v20, v14, s[10:11] scale_offset
	s_wait_xcnt 0x0
	v_add_nc_u32_e32 v14, -8, v6
	s_clause 0x1
	global_load_b32 v22, v21, s[8:9] scale_offset
	global_load_b32 v23, v24, s[8:9] scale_offset
	s_wait_xcnt 0x1
	v_add_nc_u32_e32 v21, 4, v7
	global_load_b32 v24, v17, s[10:11] scale_offset
	s_clause 0x1
	global_load_b32 v26, v25, s[8:9] scale_offset
	global_load_b32 v27, v12, s[8:9] scale_offset
	s_wait_xcnt 0x0
	v_dual_add_nc_u32 v17, -1, v6 :: v_dual_add_nc_u32 v12, 5, v7
	global_load_b32 v28, v21, s[10:11] scale_offset
	s_wait_xcnt 0x0
	v_dual_add_nc_u32 v21, -7, v6 :: v_dual_add_nc_u32 v7, 6, v7
	s_clause 0x1
	global_load_b32 v30, v14, s[8:9] scale_offset
	global_load_b32 v31, v17, s[8:9] scale_offset
	;; [unrolled: 1-line block ×3, first 2 shown]
	s_clause 0x1
	global_load_b32 v35, v6, s[8:9] scale_offset
	global_load_b32 v34, v21, s[8:9] scale_offset
	;; [unrolled: 1-line block ×3, first 2 shown]
	s_wait_xcnt 0x2
	v_add_nc_u32_e32 v6, 0x380, v6
	s_wait_loadcnt 0x13
	v_dual_mov_b32 v12, v10 :: v_dual_mov_b32 v14, v11
	s_wait_loadcnt 0x11
	s_delay_alu instid0(VALU_DEP_1) | instskip(SKIP_1) | instid1(VALU_DEP_1)
	v_pk_fma_f32 v[0:1], v[12:13], v[4:5], v[0:1] op_sel_hi:[1,0,1]
	s_wait_loadcnt 0xf
	v_pk_fma_f32 v[0:1], v[14:15], v[16:17], v[0:1] op_sel_hi:[1,0,1]
	s_wait_loadcnt 0xc
	s_delay_alu instid0(VALU_DEP_1) | instskip(SKIP_1) | instid1(VALU_DEP_1)
	v_pk_fma_f32 v[0:1], v[18:19], v[20:21], v[0:1] op_sel_hi:[1,0,1]
	s_wait_loadcnt 0x9
	v_pk_fma_f32 v[0:1], v[22:23], v[24:25], v[0:1] op_sel_hi:[1,0,1]
	s_wait_loadcnt 0x6
	s_delay_alu instid0(VALU_DEP_1) | instskip(SKIP_1) | instid1(VALU_DEP_1)
	v_pk_fma_f32 v[0:1], v[26:27], v[28:29], v[0:1] op_sel_hi:[1,0,1]
	s_wait_loadcnt 0x3
	v_pk_fma_f32 v[0:1], v[30:31], v[32:33], v[0:1] op_sel_hi:[1,0,1]
	s_wait_loadcnt 0x0
	s_delay_alu instid0(VALU_DEP_1)
	v_pk_fma_f32 v[0:1], v[34:35], v[36:37], v[0:1] op_sel_hi:[1,0,1]
	s_and_not1_b32 exec_lo, exec_lo, s2
	s_cbranch_execnz .LBB29_15
; %bb.16:
	s_or_b32 exec_lo, exec_lo, s2
.LBB29_17:
	s_delay_alu instid0(SALU_CYCLE_1)
	s_or_b32 exec_lo, exec_lo, s3
.LBB29_18:
	v_mbcnt_lo_u32_b32 v6, -1, 0
	s_mov_b32 s2, -1
	s_delay_alu instid0(VALU_DEP_1) | instskip(SKIP_1) | instid1(VALU_DEP_1)
	v_xor_b32_e32 v7, 16, v6
	v_or_b32_e32 v4, 32, v6
	v_cmp_gt_i32_e32 vcc_lo, 32, v4
	v_cndmask_b32_e32 v4, v6, v4, vcc_lo
	s_delay_alu instid0(VALU_DEP_4) | instskip(SKIP_1) | instid1(VALU_DEP_1)
	v_cmp_gt_i32_e32 vcc_lo, 32, v7
	v_cndmask_b32_e32 v7, v6, v7, vcc_lo
	v_dual_lshlrev_b32 v7, 2, v7 :: v_dual_lshlrev_b32 v5, 2, v4
	ds_bpermute_b32 v4, v5, v0
	ds_bpermute_b32 v5, v5, v1
	s_wait_dscnt 0x0
	v_pk_add_f32 v[0:1], v[0:1], v[4:5]
	ds_bpermute_b32 v4, v7, v0
	ds_bpermute_b32 v5, v7, v1
	v_xor_b32_e32 v7, 8, v6
	s_delay_alu instid0(VALU_DEP_1) | instskip(SKIP_1) | instid1(VALU_DEP_1)
	v_cmp_gt_i32_e32 vcc_lo, 32, v7
	v_cndmask_b32_e32 v7, v6, v7, vcc_lo
	v_lshlrev_b32_e32 v7, 2, v7
	s_wait_dscnt 0x0
	v_pk_add_f32 v[0:1], v[0:1], v[4:5]
	ds_bpermute_b32 v4, v7, v0
	ds_bpermute_b32 v5, v7, v1
	v_xor_b32_e32 v7, 4, v6
	s_delay_alu instid0(VALU_DEP_1) | instskip(SKIP_1) | instid1(VALU_DEP_1)
	v_cmp_gt_i32_e32 vcc_lo, 32, v7
	v_cndmask_b32_e32 v7, v6, v7, vcc_lo
	v_lshlrev_b32_e32 v7, 2, v7
	s_wait_dscnt 0x0
	v_pk_add_f32 v[0:1], v[0:1], v[4:5]
	ds_bpermute_b32 v4, v7, v0
	ds_bpermute_b32 v5, v7, v1
	v_xor_b32_e32 v7, 2, v6
	s_delay_alu instid0(VALU_DEP_1) | instskip(SKIP_1) | instid1(VALU_DEP_1)
	v_cmp_gt_i32_e32 vcc_lo, 32, v7
	v_cndmask_b32_e32 v7, v6, v7, vcc_lo
	v_lshlrev_b32_e32 v7, 2, v7
	s_wait_dscnt 0x0
	v_pk_add_f32 v[0:1], v[0:1], v[4:5]
	ds_bpermute_b32 v4, v7, v0
	ds_bpermute_b32 v5, v7, v1
	v_xor_b32_e32 v7, 1, v6
	s_delay_alu instid0(VALU_DEP_1) | instskip(SKIP_2) | instid1(VALU_DEP_2)
	v_cmp_gt_i32_e32 vcc_lo, 32, v7
	v_cndmask_b32_e32 v6, v6, v7, vcc_lo
	v_cmp_eq_u32_e32 vcc_lo, 63, v3
	v_lshlrev_b32_e32 v6, 2, v6
	s_wait_dscnt 0x0
	v_pk_add_f32 v[0:1], v[0:1], v[4:5]
	ds_bpermute_b32 v4, v6, v0
	ds_bpermute_b32 v5, v6, v1
	s_and_b32 exec_lo, exec_lo, vcc_lo
	s_cbranch_execz .LBB29_23
; %bb.19:
	s_load_b64 s[0:1], s[0:1], 0x38
	s_wait_dscnt 0x0
	v_pk_add_f32 v[0:1], v[0:1], v[4:5]
	v_lshlrev_b32_e32 v2, 1, v2
	s_cmp_eq_f32 s12, 0
	s_cbranch_scc0 .LBB29_21
; %bb.20:
	s_delay_alu instid0(VALU_DEP_1) | instskip(SKIP_3) | instid1(VALU_DEP_2)
	v_ashrrev_i32_e32 v3, 31, v2
	v_pk_mul_f32 v[6:7], s[14:15], v[0:1] op_sel_hi:[0,1]
	s_mov_b32 s2, 0
	s_wait_kmcnt 0x0
	v_lshl_add_u64 v[4:5], v[2:3], 2, s[0:1]
	global_store_b64 v[4:5], v[6:7], off
.LBB29_21:
	s_and_not1_b32 vcc_lo, exec_lo, s2
	s_cbranch_vccnz .LBB29_23
; %bb.22:
	v_ashrrev_i32_e32 v3, 31, v2
	v_pk_mul_f32 v[0:1], s[14:15], v[0:1] op_sel_hi:[0,1]
	s_wait_kmcnt 0x0
	s_delay_alu instid0(VALU_DEP_2)
	v_lshl_add_u64 v[2:3], v[2:3], 2, s[0:1]
	global_load_b64 v[4:5], v[2:3], off
	s_wait_loadcnt 0x0
	v_pk_fma_f32 v[0:1], s[12:13], v[4:5], v[0:1] op_sel_hi:[0,1,1]
	global_store_b64 v[2:3], v[0:1], off
.LBB29_23:
	s_endpgm
	.section	.rodata,"a",@progbits
	.p2align	6, 0x0
	.amdhsa_kernel _ZN9rocsparseL19gebsrmvn_2xn_kernelILj128ELj7ELj64EfEEvi20rocsparse_direction_NS_24const_host_device_scalarIT2_EEPKiS6_PKS3_S8_S4_PS3_21rocsparse_index_base_b
		.amdhsa_group_segment_fixed_size 0
		.amdhsa_private_segment_fixed_size 0
		.amdhsa_kernarg_size 72
		.amdhsa_user_sgpr_count 2
		.amdhsa_user_sgpr_dispatch_ptr 0
		.amdhsa_user_sgpr_queue_ptr 0
		.amdhsa_user_sgpr_kernarg_segment_ptr 1
		.amdhsa_user_sgpr_dispatch_id 0
		.amdhsa_user_sgpr_kernarg_preload_length 0
		.amdhsa_user_sgpr_kernarg_preload_offset 0
		.amdhsa_user_sgpr_private_segment_size 0
		.amdhsa_wavefront_size32 1
		.amdhsa_uses_dynamic_stack 0
		.amdhsa_enable_private_segment 0
		.amdhsa_system_sgpr_workgroup_id_x 1
		.amdhsa_system_sgpr_workgroup_id_y 0
		.amdhsa_system_sgpr_workgroup_id_z 0
		.amdhsa_system_sgpr_workgroup_info 0
		.amdhsa_system_vgpr_workitem_id 0
		.amdhsa_next_free_vgpr 40
		.amdhsa_next_free_sgpr 18
		.amdhsa_named_barrier_count 0
		.amdhsa_reserve_vcc 1
		.amdhsa_float_round_mode_32 0
		.amdhsa_float_round_mode_16_64 0
		.amdhsa_float_denorm_mode_32 3
		.amdhsa_float_denorm_mode_16_64 3
		.amdhsa_fp16_overflow 0
		.amdhsa_memory_ordered 1
		.amdhsa_forward_progress 1
		.amdhsa_inst_pref_size 15
		.amdhsa_round_robin_scheduling 0
		.amdhsa_exception_fp_ieee_invalid_op 0
		.amdhsa_exception_fp_denorm_src 0
		.amdhsa_exception_fp_ieee_div_zero 0
		.amdhsa_exception_fp_ieee_overflow 0
		.amdhsa_exception_fp_ieee_underflow 0
		.amdhsa_exception_fp_ieee_inexact 0
		.amdhsa_exception_int_div_zero 0
	.end_amdhsa_kernel
	.section	.text._ZN9rocsparseL19gebsrmvn_2xn_kernelILj128ELj7ELj64EfEEvi20rocsparse_direction_NS_24const_host_device_scalarIT2_EEPKiS6_PKS3_S8_S4_PS3_21rocsparse_index_base_b,"axG",@progbits,_ZN9rocsparseL19gebsrmvn_2xn_kernelILj128ELj7ELj64EfEEvi20rocsparse_direction_NS_24const_host_device_scalarIT2_EEPKiS6_PKS3_S8_S4_PS3_21rocsparse_index_base_b,comdat
.Lfunc_end29:
	.size	_ZN9rocsparseL19gebsrmvn_2xn_kernelILj128ELj7ELj64EfEEvi20rocsparse_direction_NS_24const_host_device_scalarIT2_EEPKiS6_PKS3_S8_S4_PS3_21rocsparse_index_base_b, .Lfunc_end29-_ZN9rocsparseL19gebsrmvn_2xn_kernelILj128ELj7ELj64EfEEvi20rocsparse_direction_NS_24const_host_device_scalarIT2_EEPKiS6_PKS3_S8_S4_PS3_21rocsparse_index_base_b
                                        ; -- End function
	.set _ZN9rocsparseL19gebsrmvn_2xn_kernelILj128ELj7ELj64EfEEvi20rocsparse_direction_NS_24const_host_device_scalarIT2_EEPKiS6_PKS3_S8_S4_PS3_21rocsparse_index_base_b.num_vgpr, 40
	.set _ZN9rocsparseL19gebsrmvn_2xn_kernelILj128ELj7ELj64EfEEvi20rocsparse_direction_NS_24const_host_device_scalarIT2_EEPKiS6_PKS3_S8_S4_PS3_21rocsparse_index_base_b.num_agpr, 0
	.set _ZN9rocsparseL19gebsrmvn_2xn_kernelILj128ELj7ELj64EfEEvi20rocsparse_direction_NS_24const_host_device_scalarIT2_EEPKiS6_PKS3_S8_S4_PS3_21rocsparse_index_base_b.numbered_sgpr, 18
	.set _ZN9rocsparseL19gebsrmvn_2xn_kernelILj128ELj7ELj64EfEEvi20rocsparse_direction_NS_24const_host_device_scalarIT2_EEPKiS6_PKS3_S8_S4_PS3_21rocsparse_index_base_b.num_named_barrier, 0
	.set _ZN9rocsparseL19gebsrmvn_2xn_kernelILj128ELj7ELj64EfEEvi20rocsparse_direction_NS_24const_host_device_scalarIT2_EEPKiS6_PKS3_S8_S4_PS3_21rocsparse_index_base_b.private_seg_size, 0
	.set _ZN9rocsparseL19gebsrmvn_2xn_kernelILj128ELj7ELj64EfEEvi20rocsparse_direction_NS_24const_host_device_scalarIT2_EEPKiS6_PKS3_S8_S4_PS3_21rocsparse_index_base_b.uses_vcc, 1
	.set _ZN9rocsparseL19gebsrmvn_2xn_kernelILj128ELj7ELj64EfEEvi20rocsparse_direction_NS_24const_host_device_scalarIT2_EEPKiS6_PKS3_S8_S4_PS3_21rocsparse_index_base_b.uses_flat_scratch, 0
	.set _ZN9rocsparseL19gebsrmvn_2xn_kernelILj128ELj7ELj64EfEEvi20rocsparse_direction_NS_24const_host_device_scalarIT2_EEPKiS6_PKS3_S8_S4_PS3_21rocsparse_index_base_b.has_dyn_sized_stack, 0
	.set _ZN9rocsparseL19gebsrmvn_2xn_kernelILj128ELj7ELj64EfEEvi20rocsparse_direction_NS_24const_host_device_scalarIT2_EEPKiS6_PKS3_S8_S4_PS3_21rocsparse_index_base_b.has_recursion, 0
	.set _ZN9rocsparseL19gebsrmvn_2xn_kernelILj128ELj7ELj64EfEEvi20rocsparse_direction_NS_24const_host_device_scalarIT2_EEPKiS6_PKS3_S8_S4_PS3_21rocsparse_index_base_b.has_indirect_call, 0
	.section	.AMDGPU.csdata,"",@progbits
; Kernel info:
; codeLenInByte = 1920
; TotalNumSgprs: 20
; NumVgprs: 40
; ScratchSize: 0
; MemoryBound: 0
; FloatMode: 240
; IeeeMode: 1
; LDSByteSize: 0 bytes/workgroup (compile time only)
; SGPRBlocks: 0
; VGPRBlocks: 2
; NumSGPRsForWavesPerEU: 20
; NumVGPRsForWavesPerEU: 40
; NamedBarCnt: 0
; Occupancy: 16
; WaveLimiterHint : 1
; COMPUTE_PGM_RSRC2:SCRATCH_EN: 0
; COMPUTE_PGM_RSRC2:USER_SGPR: 2
; COMPUTE_PGM_RSRC2:TRAP_HANDLER: 0
; COMPUTE_PGM_RSRC2:TGID_X_EN: 1
; COMPUTE_PGM_RSRC2:TGID_Y_EN: 0
; COMPUTE_PGM_RSRC2:TGID_Z_EN: 0
; COMPUTE_PGM_RSRC2:TIDIG_COMP_CNT: 0
	.section	.text._ZN9rocsparseL19gebsrmvn_2xn_kernelILj128ELj8ELj4EfEEvi20rocsparse_direction_NS_24const_host_device_scalarIT2_EEPKiS6_PKS3_S8_S4_PS3_21rocsparse_index_base_b,"axG",@progbits,_ZN9rocsparseL19gebsrmvn_2xn_kernelILj128ELj8ELj4EfEEvi20rocsparse_direction_NS_24const_host_device_scalarIT2_EEPKiS6_PKS3_S8_S4_PS3_21rocsparse_index_base_b,comdat
	.globl	_ZN9rocsparseL19gebsrmvn_2xn_kernelILj128ELj8ELj4EfEEvi20rocsparse_direction_NS_24const_host_device_scalarIT2_EEPKiS6_PKS3_S8_S4_PS3_21rocsparse_index_base_b ; -- Begin function _ZN9rocsparseL19gebsrmvn_2xn_kernelILj128ELj8ELj4EfEEvi20rocsparse_direction_NS_24const_host_device_scalarIT2_EEPKiS6_PKS3_S8_S4_PS3_21rocsparse_index_base_b
	.p2align	8
	.type	_ZN9rocsparseL19gebsrmvn_2xn_kernelILj128ELj8ELj4EfEEvi20rocsparse_direction_NS_24const_host_device_scalarIT2_EEPKiS6_PKS3_S8_S4_PS3_21rocsparse_index_base_b,@function
_ZN9rocsparseL19gebsrmvn_2xn_kernelILj128ELj8ELj4EfEEvi20rocsparse_direction_NS_24const_host_device_scalarIT2_EEPKiS6_PKS3_S8_S4_PS3_21rocsparse_index_base_b: ; @_ZN9rocsparseL19gebsrmvn_2xn_kernelILj128ELj8ELj4EfEEvi20rocsparse_direction_NS_24const_host_device_scalarIT2_EEPKiS6_PKS3_S8_S4_PS3_21rocsparse_index_base_b
; %bb.0:
	s_clause 0x2
	s_load_b64 s[16:17], s[0:1], 0x40
	s_load_b64 s[14:15], s[0:1], 0x8
	s_load_b64 s[12:13], s[0:1], 0x30
	s_wait_kmcnt 0x0
	s_bitcmp1_b32 s17, 0
	s_cselect_b32 s2, -1, 0
	s_delay_alu instid0(SALU_CYCLE_1)
	s_and_b32 vcc_lo, exec_lo, s2
	s_xor_b32 s2, s2, -1
	s_cbranch_vccnz .LBB30_2
; %bb.1:
	s_load_b32 s14, s[14:15], 0x0
.LBB30_2:
	s_and_not1_b32 vcc_lo, exec_lo, s2
	s_cbranch_vccnz .LBB30_4
; %bb.3:
	s_load_b32 s12, s[12:13], 0x0
.LBB30_4:
	s_wait_kmcnt 0x0
	s_cmp_eq_f32 s14, 0
	s_cselect_b32 s2, -1, 0
	s_cmp_eq_f32 s12, 1.0
	s_cselect_b32 s3, -1, 0
	s_delay_alu instid0(SALU_CYCLE_1) | instskip(NEXT) | instid1(SALU_CYCLE_1)
	s_and_b32 s2, s2, s3
	s_and_b32 vcc_lo, exec_lo, s2
	s_cbranch_vccnz .LBB30_23
; %bb.5:
	s_load_b64 s[2:3], s[0:1], 0x0
	s_bfe_u32 s4, ttmp6, 0x4000c
	s_and_b32 s5, ttmp6, 15
	s_add_co_i32 s4, s4, 1
	s_getreg_b32 s6, hwreg(HW_REG_IB_STS2, 6, 4)
	s_mul_i32 s4, ttmp9, s4
	v_lshrrev_b32_e32 v1, 2, v0
	s_add_co_i32 s5, s5, s4
	s_cmp_eq_u32 s6, 0
	s_cselect_b32 s4, ttmp9, s5
	s_delay_alu instid0(VALU_DEP_1) | instid1(SALU_CYCLE_1)
	v_lshl_or_b32 v2, s4, 5, v1
	s_wait_kmcnt 0x0
	s_delay_alu instid0(VALU_DEP_1)
	v_cmp_gt_i32_e32 vcc_lo, s2, v2
	s_and_saveexec_b32 s2, vcc_lo
	s_cbranch_execz .LBB30_23
; %bb.6:
	s_load_b256 s[4:11], s[0:1], 0x10
	v_ashrrev_i32_e32 v3, 31, v2
	s_cmp_lg_u32 s3, 0
	s_wait_kmcnt 0x0
	s_delay_alu instid0(VALU_DEP_1)
	v_lshl_add_u64 v[4:5], v[2:3], 2, s[4:5]
	v_and_b32_e32 v3, 3, v0
	global_load_b64 v[4:5], v[4:5], off
	s_wait_loadcnt 0x0
	v_subrev_nc_u32_e32 v0, s16, v4
	v_subrev_nc_u32_e32 v6, s16, v5
	s_delay_alu instid0(VALU_DEP_2) | instskip(NEXT) | instid1(VALU_DEP_1)
	v_add_nc_u32_e32 v7, v0, v3
	v_cmp_lt_i32_e64 s2, v7, v6
	s_cbranch_scc0 .LBB30_12
; %bb.7:
	v_mov_b32_e32 v1, 0
	s_delay_alu instid0(VALU_DEP_1)
	v_mov_b32_e32 v0, v1
	s_and_saveexec_b32 s3, s2
	s_cbranch_execz .LBB30_11
; %bb.8:
	v_dual_mov_b32 v5, 0 :: v_dual_lshlrev_b32 v4, 4, v7
	v_mov_b32_e32 v8, v7
	s_mov_b32 s4, 0
	s_delay_alu instid0(VALU_DEP_2)
	v_dual_mov_b32 v0, v5 :: v_dual_mov_b32 v1, v5
.LBB30_9:                               ; =>This Inner Loop Header: Depth=1
	global_load_b32 v9, v8, s[6:7] scale_offset
	v_lshl_add_u64 v[34:35], v[4:5], 2, s[8:9]
	s_wait_xcnt 0x0
	v_add_nc_u32_e32 v8, 4, v8
	v_add_nc_u32_e32 v4, 64, v4
	s_delay_alu instid0(VALU_DEP_2) | instskip(SKIP_3) | instid1(VALU_DEP_1)
	v_cmp_ge_i32_e32 vcc_lo, v8, v6
	s_or_b32 s4, vcc_lo, s4
	s_wait_loadcnt 0x0
	v_subrev_nc_u32_e32 v9, s16, v9
	v_dual_mov_b32 v11, v5 :: v_dual_lshlrev_b32 v10, 3, v9
	s_delay_alu instid0(VALU_DEP_1)
	v_lshl_add_u64 v[36:37], v[10:11], 2, s[10:11]
	s_clause 0x1
	global_load_b128 v[10:13], v[34:35], off offset:16
	global_load_b128 v[14:17], v[34:35], off
	s_clause 0x1
	global_load_b128 v[18:21], v[36:37], off
	global_load_b128 v[22:25], v[36:37], off offset:16
	s_clause 0x1
	global_load_b128 v[26:29], v[34:35], off offset:32
	global_load_b128 v[30:33], v[34:35], off offset:48
	s_wait_loadcnt 0x3
	v_pk_fma_f32 v[0:1], v[14:15], v[18:19], v[0:1] op_sel_hi:[1,0,1]
	v_mov_b32_e32 v14, v21
	s_delay_alu instid0(VALU_DEP_2) | instskip(NEXT) | instid1(VALU_DEP_1)
	v_pk_fma_f32 v[0:1], v[16:17], v[18:19], v[0:1] op_sel:[0,1,0]
	v_pk_fma_f32 v[0:1], v[10:11], v[20:21], v[0:1] op_sel_hi:[1,0,1]
	s_wait_loadcnt 0x2
	v_mov_b32_e32 v10, v25
	s_delay_alu instid0(VALU_DEP_2) | instskip(SKIP_1) | instid1(VALU_DEP_1)
	v_pk_fma_f32 v[0:1], v[12:13], v[14:15], v[0:1] op_sel_hi:[1,0,1]
	s_wait_loadcnt 0x1
	v_pk_fma_f32 v[0:1], v[26:27], v[22:23], v[0:1] op_sel_hi:[1,0,1]
	s_delay_alu instid0(VALU_DEP_1) | instskip(SKIP_1) | instid1(VALU_DEP_1)
	v_pk_fma_f32 v[0:1], v[28:29], v[22:23], v[0:1] op_sel:[0,1,0]
	s_wait_loadcnt 0x0
	v_pk_fma_f32 v[0:1], v[30:31], v[24:25], v[0:1] op_sel_hi:[1,0,1]
	s_delay_alu instid0(VALU_DEP_1)
	v_pk_fma_f32 v[0:1], v[32:33], v[10:11], v[0:1] op_sel_hi:[1,0,1]
	s_and_not1_b32 exec_lo, exec_lo, s4
	s_cbranch_execnz .LBB30_9
; %bb.10:
	s_or_b32 exec_lo, exec_lo, s4
.LBB30_11:
	s_delay_alu instid0(SALU_CYCLE_1)
	s_or_b32 exec_lo, exec_lo, s3
	s_cbranch_execz .LBB30_13
	s_branch .LBB30_18
.LBB30_12:
                                        ; implicit-def: $vgpr1
.LBB30_13:
	v_mov_b32_e32 v1, 0
	s_delay_alu instid0(VALU_DEP_1)
	v_mov_b32_e32 v0, v1
	s_and_saveexec_b32 s3, s2
	s_cbranch_execz .LBB30_17
; %bb.14:
	v_dual_mov_b32 v5, 0 :: v_dual_lshlrev_b32 v4, 4, v7
	s_mov_b32 s2, 0
	s_delay_alu instid0(VALU_DEP_1)
	v_dual_mov_b32 v0, v5 :: v_dual_mov_b32 v1, v5
.LBB30_15:                              ; =>This Inner Loop Header: Depth=1
	global_load_b32 v8, v7, s[6:7] scale_offset
	v_lshl_add_u64 v[24:25], v[4:5], 2, s[8:9]
	v_add_nc_u32_e32 v4, 64, v4
	s_wait_loadcnt 0x0
	v_subrev_nc_u32_e32 v8, s16, v8
	s_delay_alu instid0(VALU_DEP_1)
	v_dual_mov_b32 v27, v5 :: v_dual_lshlrev_b32 v26, 3, v8
	s_clause 0x3
	global_load_b128 v[8:11], v[24:25], off offset:48
	global_load_b128 v[12:15], v[24:25], off offset:32
	global_load_b128 v[16:19], v[24:25], off offset:16
	global_load_b128 v[20:23], v[24:25], off
	v_add_nc_u32_e32 v7, 4, v7
	v_lshl_add_u64 v[32:33], v[26:27], 2, s[10:11]
	s_clause 0x1
	global_load_b128 v[24:27], v[32:33], off
	global_load_b128 v[28:31], v[32:33], off offset:16
	s_wait_loadcnt 0x2
	s_wait_xcnt 0x0
	v_dual_mov_b32 v33, v12 :: v_dual_mov_b32 v32, v20
	v_dual_mov_b32 v12, v21 :: v_dual_mov_b32 v20, v22
	;; [unrolled: 1-line block ×3, first 2 shown]
	s_wait_loadcnt 0x1
	s_delay_alu instid0(VALU_DEP_3) | instskip(NEXT) | instid1(VALU_DEP_1)
	v_pk_fma_f32 v[0:1], v[32:33], v[24:25], v[0:1] op_sel_hi:[1,0,1]
	v_pk_fma_f32 v[0:1], v[12:13], v[24:25], v[0:1] op_sel:[0,1,0]
	v_mov_b32_e32 v12, v27
	s_delay_alu instid0(VALU_DEP_2) | instskip(SKIP_2) | instid1(VALU_DEP_3)
	v_pk_fma_f32 v[0:1], v[20:21], v[26:27], v[0:1] op_sel_hi:[1,0,1]
	v_dual_mov_b32 v20, v16 :: v_dual_mov_b32 v21, v8
	v_mov_b32_e32 v8, v17
	v_pk_fma_f32 v[0:1], v[14:15], v[12:13], v[0:1] op_sel_hi:[1,0,1]
	v_dual_mov_b32 v12, v18 :: v_dual_mov_b32 v13, v10
	v_mov_b32_e32 v10, v19
	v_cmp_ge_i32_e32 vcc_lo, v7, v6
	s_wait_loadcnt 0x0
	v_pk_fma_f32 v[0:1], v[20:21], v[28:29], v[0:1] op_sel_hi:[1,0,1]
	s_or_b32 s2, vcc_lo, s2
	s_delay_alu instid0(VALU_DEP_1) | instskip(SKIP_1) | instid1(VALU_DEP_2)
	v_pk_fma_f32 v[0:1], v[8:9], v[28:29], v[0:1] op_sel:[0,1,0]
	v_mov_b32_e32 v8, v31
	v_pk_fma_f32 v[0:1], v[12:13], v[30:31], v[0:1] op_sel_hi:[1,0,1]
	s_delay_alu instid0(VALU_DEP_1)
	v_pk_fma_f32 v[0:1], v[10:11], v[8:9], v[0:1] op_sel_hi:[1,0,1]
	s_and_not1_b32 exec_lo, exec_lo, s2
	s_cbranch_execnz .LBB30_15
; %bb.16:
	s_or_b32 exec_lo, exec_lo, s2
.LBB30_17:
	s_delay_alu instid0(SALU_CYCLE_1)
	s_or_b32 exec_lo, exec_lo, s3
.LBB30_18:
	v_mbcnt_lo_u32_b32 v6, -1, 0
	s_mov_b32 s2, -1
	s_delay_alu instid0(VALU_DEP_1) | instskip(SKIP_1) | instid1(VALU_DEP_1)
	v_xor_b32_e32 v7, 1, v6
	v_xor_b32_e32 v4, 2, v6
	v_cmp_gt_i32_e32 vcc_lo, 32, v4
	v_cndmask_b32_e32 v4, v6, v4, vcc_lo
	s_delay_alu instid0(VALU_DEP_4) | instskip(SKIP_2) | instid1(VALU_DEP_2)
	v_cmp_gt_i32_e32 vcc_lo, 32, v7
	v_cndmask_b32_e32 v6, v6, v7, vcc_lo
	v_cmp_eq_u32_e32 vcc_lo, 3, v3
	v_dual_lshlrev_b32 v6, 2, v6 :: v_dual_lshlrev_b32 v5, 2, v4
	ds_bpermute_b32 v4, v5, v0
	ds_bpermute_b32 v5, v5, v1
	s_wait_dscnt 0x0
	v_pk_add_f32 v[0:1], v[0:1], v[4:5]
	ds_bpermute_b32 v4, v6, v0
	ds_bpermute_b32 v5, v6, v1
	s_and_b32 exec_lo, exec_lo, vcc_lo
	s_cbranch_execz .LBB30_23
; %bb.19:
	s_load_b64 s[0:1], s[0:1], 0x38
	s_wait_dscnt 0x0
	v_pk_add_f32 v[0:1], v[0:1], v[4:5]
	v_lshlrev_b32_e32 v2, 1, v2
	s_cmp_eq_f32 s12, 0
	s_cbranch_scc0 .LBB30_21
; %bb.20:
	s_delay_alu instid0(VALU_DEP_1) | instskip(SKIP_3) | instid1(VALU_DEP_2)
	v_ashrrev_i32_e32 v3, 31, v2
	v_pk_mul_f32 v[6:7], s[14:15], v[0:1] op_sel_hi:[0,1]
	s_mov_b32 s2, 0
	s_wait_kmcnt 0x0
	v_lshl_add_u64 v[4:5], v[2:3], 2, s[0:1]
	global_store_b64 v[4:5], v[6:7], off
.LBB30_21:
	s_and_not1_b32 vcc_lo, exec_lo, s2
	s_cbranch_vccnz .LBB30_23
; %bb.22:
	v_ashrrev_i32_e32 v3, 31, v2
	v_pk_mul_f32 v[0:1], s[14:15], v[0:1] op_sel_hi:[0,1]
	s_wait_kmcnt 0x0
	s_delay_alu instid0(VALU_DEP_2)
	v_lshl_add_u64 v[2:3], v[2:3], 2, s[0:1]
	global_load_b64 v[4:5], v[2:3], off
	s_wait_loadcnt 0x0
	v_pk_fma_f32 v[0:1], s[12:13], v[4:5], v[0:1] op_sel_hi:[0,1,1]
	global_store_b64 v[2:3], v[0:1], off
.LBB30_23:
	s_endpgm
	.section	.rodata,"a",@progbits
	.p2align	6, 0x0
	.amdhsa_kernel _ZN9rocsparseL19gebsrmvn_2xn_kernelILj128ELj8ELj4EfEEvi20rocsparse_direction_NS_24const_host_device_scalarIT2_EEPKiS6_PKS3_S8_S4_PS3_21rocsparse_index_base_b
		.amdhsa_group_segment_fixed_size 0
		.amdhsa_private_segment_fixed_size 0
		.amdhsa_kernarg_size 72
		.amdhsa_user_sgpr_count 2
		.amdhsa_user_sgpr_dispatch_ptr 0
		.amdhsa_user_sgpr_queue_ptr 0
		.amdhsa_user_sgpr_kernarg_segment_ptr 1
		.amdhsa_user_sgpr_dispatch_id 0
		.amdhsa_user_sgpr_kernarg_preload_length 0
		.amdhsa_user_sgpr_kernarg_preload_offset 0
		.amdhsa_user_sgpr_private_segment_size 0
		.amdhsa_wavefront_size32 1
		.amdhsa_uses_dynamic_stack 0
		.amdhsa_enable_private_segment 0
		.amdhsa_system_sgpr_workgroup_id_x 1
		.amdhsa_system_sgpr_workgroup_id_y 0
		.amdhsa_system_sgpr_workgroup_id_z 0
		.amdhsa_system_sgpr_workgroup_info 0
		.amdhsa_system_vgpr_workitem_id 0
		.amdhsa_next_free_vgpr 38
		.amdhsa_next_free_sgpr 18
		.amdhsa_named_barrier_count 0
		.amdhsa_reserve_vcc 1
		.amdhsa_float_round_mode_32 0
		.amdhsa_float_round_mode_16_64 0
		.amdhsa_float_denorm_mode_32 3
		.amdhsa_float_denorm_mode_16_64 3
		.amdhsa_fp16_overflow 0
		.amdhsa_memory_ordered 1
		.amdhsa_forward_progress 1
		.amdhsa_inst_pref_size 10
		.amdhsa_round_robin_scheduling 0
		.amdhsa_exception_fp_ieee_invalid_op 0
		.amdhsa_exception_fp_denorm_src 0
		.amdhsa_exception_fp_ieee_div_zero 0
		.amdhsa_exception_fp_ieee_overflow 0
		.amdhsa_exception_fp_ieee_underflow 0
		.amdhsa_exception_fp_ieee_inexact 0
		.amdhsa_exception_int_div_zero 0
	.end_amdhsa_kernel
	.section	.text._ZN9rocsparseL19gebsrmvn_2xn_kernelILj128ELj8ELj4EfEEvi20rocsparse_direction_NS_24const_host_device_scalarIT2_EEPKiS6_PKS3_S8_S4_PS3_21rocsparse_index_base_b,"axG",@progbits,_ZN9rocsparseL19gebsrmvn_2xn_kernelILj128ELj8ELj4EfEEvi20rocsparse_direction_NS_24const_host_device_scalarIT2_EEPKiS6_PKS3_S8_S4_PS3_21rocsparse_index_base_b,comdat
.Lfunc_end30:
	.size	_ZN9rocsparseL19gebsrmvn_2xn_kernelILj128ELj8ELj4EfEEvi20rocsparse_direction_NS_24const_host_device_scalarIT2_EEPKiS6_PKS3_S8_S4_PS3_21rocsparse_index_base_b, .Lfunc_end30-_ZN9rocsparseL19gebsrmvn_2xn_kernelILj128ELj8ELj4EfEEvi20rocsparse_direction_NS_24const_host_device_scalarIT2_EEPKiS6_PKS3_S8_S4_PS3_21rocsparse_index_base_b
                                        ; -- End function
	.set _ZN9rocsparseL19gebsrmvn_2xn_kernelILj128ELj8ELj4EfEEvi20rocsparse_direction_NS_24const_host_device_scalarIT2_EEPKiS6_PKS3_S8_S4_PS3_21rocsparse_index_base_b.num_vgpr, 38
	.set _ZN9rocsparseL19gebsrmvn_2xn_kernelILj128ELj8ELj4EfEEvi20rocsparse_direction_NS_24const_host_device_scalarIT2_EEPKiS6_PKS3_S8_S4_PS3_21rocsparse_index_base_b.num_agpr, 0
	.set _ZN9rocsparseL19gebsrmvn_2xn_kernelILj128ELj8ELj4EfEEvi20rocsparse_direction_NS_24const_host_device_scalarIT2_EEPKiS6_PKS3_S8_S4_PS3_21rocsparse_index_base_b.numbered_sgpr, 18
	.set _ZN9rocsparseL19gebsrmvn_2xn_kernelILj128ELj8ELj4EfEEvi20rocsparse_direction_NS_24const_host_device_scalarIT2_EEPKiS6_PKS3_S8_S4_PS3_21rocsparse_index_base_b.num_named_barrier, 0
	.set _ZN9rocsparseL19gebsrmvn_2xn_kernelILj128ELj8ELj4EfEEvi20rocsparse_direction_NS_24const_host_device_scalarIT2_EEPKiS6_PKS3_S8_S4_PS3_21rocsparse_index_base_b.private_seg_size, 0
	.set _ZN9rocsparseL19gebsrmvn_2xn_kernelILj128ELj8ELj4EfEEvi20rocsparse_direction_NS_24const_host_device_scalarIT2_EEPKiS6_PKS3_S8_S4_PS3_21rocsparse_index_base_b.uses_vcc, 1
	.set _ZN9rocsparseL19gebsrmvn_2xn_kernelILj128ELj8ELj4EfEEvi20rocsparse_direction_NS_24const_host_device_scalarIT2_EEPKiS6_PKS3_S8_S4_PS3_21rocsparse_index_base_b.uses_flat_scratch, 0
	.set _ZN9rocsparseL19gebsrmvn_2xn_kernelILj128ELj8ELj4EfEEvi20rocsparse_direction_NS_24const_host_device_scalarIT2_EEPKiS6_PKS3_S8_S4_PS3_21rocsparse_index_base_b.has_dyn_sized_stack, 0
	.set _ZN9rocsparseL19gebsrmvn_2xn_kernelILj128ELj8ELj4EfEEvi20rocsparse_direction_NS_24const_host_device_scalarIT2_EEPKiS6_PKS3_S8_S4_PS3_21rocsparse_index_base_b.has_recursion, 0
	.set _ZN9rocsparseL19gebsrmvn_2xn_kernelILj128ELj8ELj4EfEEvi20rocsparse_direction_NS_24const_host_device_scalarIT2_EEPKiS6_PKS3_S8_S4_PS3_21rocsparse_index_base_b.has_indirect_call, 0
	.section	.AMDGPU.csdata,"",@progbits
; Kernel info:
; codeLenInByte = 1240
; TotalNumSgprs: 20
; NumVgprs: 38
; ScratchSize: 0
; MemoryBound: 0
; FloatMode: 240
; IeeeMode: 1
; LDSByteSize: 0 bytes/workgroup (compile time only)
; SGPRBlocks: 0
; VGPRBlocks: 2
; NumSGPRsForWavesPerEU: 20
; NumVGPRsForWavesPerEU: 38
; NamedBarCnt: 0
; Occupancy: 16
; WaveLimiterHint : 1
; COMPUTE_PGM_RSRC2:SCRATCH_EN: 0
; COMPUTE_PGM_RSRC2:USER_SGPR: 2
; COMPUTE_PGM_RSRC2:TRAP_HANDLER: 0
; COMPUTE_PGM_RSRC2:TGID_X_EN: 1
; COMPUTE_PGM_RSRC2:TGID_Y_EN: 0
; COMPUTE_PGM_RSRC2:TGID_Z_EN: 0
; COMPUTE_PGM_RSRC2:TIDIG_COMP_CNT: 0
	.section	.text._ZN9rocsparseL19gebsrmvn_2xn_kernelILj128ELj8ELj8EfEEvi20rocsparse_direction_NS_24const_host_device_scalarIT2_EEPKiS6_PKS3_S8_S4_PS3_21rocsparse_index_base_b,"axG",@progbits,_ZN9rocsparseL19gebsrmvn_2xn_kernelILj128ELj8ELj8EfEEvi20rocsparse_direction_NS_24const_host_device_scalarIT2_EEPKiS6_PKS3_S8_S4_PS3_21rocsparse_index_base_b,comdat
	.globl	_ZN9rocsparseL19gebsrmvn_2xn_kernelILj128ELj8ELj8EfEEvi20rocsparse_direction_NS_24const_host_device_scalarIT2_EEPKiS6_PKS3_S8_S4_PS3_21rocsparse_index_base_b ; -- Begin function _ZN9rocsparseL19gebsrmvn_2xn_kernelILj128ELj8ELj8EfEEvi20rocsparse_direction_NS_24const_host_device_scalarIT2_EEPKiS6_PKS3_S8_S4_PS3_21rocsparse_index_base_b
	.p2align	8
	.type	_ZN9rocsparseL19gebsrmvn_2xn_kernelILj128ELj8ELj8EfEEvi20rocsparse_direction_NS_24const_host_device_scalarIT2_EEPKiS6_PKS3_S8_S4_PS3_21rocsparse_index_base_b,@function
_ZN9rocsparseL19gebsrmvn_2xn_kernelILj128ELj8ELj8EfEEvi20rocsparse_direction_NS_24const_host_device_scalarIT2_EEPKiS6_PKS3_S8_S4_PS3_21rocsparse_index_base_b: ; @_ZN9rocsparseL19gebsrmvn_2xn_kernelILj128ELj8ELj8EfEEvi20rocsparse_direction_NS_24const_host_device_scalarIT2_EEPKiS6_PKS3_S8_S4_PS3_21rocsparse_index_base_b
; %bb.0:
	s_clause 0x2
	s_load_b64 s[16:17], s[0:1], 0x40
	s_load_b64 s[14:15], s[0:1], 0x8
	;; [unrolled: 1-line block ×3, first 2 shown]
	s_wait_kmcnt 0x0
	s_bitcmp1_b32 s17, 0
	s_cselect_b32 s2, -1, 0
	s_delay_alu instid0(SALU_CYCLE_1)
	s_and_b32 vcc_lo, exec_lo, s2
	s_xor_b32 s2, s2, -1
	s_cbranch_vccnz .LBB31_2
; %bb.1:
	s_load_b32 s14, s[14:15], 0x0
.LBB31_2:
	s_and_not1_b32 vcc_lo, exec_lo, s2
	s_cbranch_vccnz .LBB31_4
; %bb.3:
	s_load_b32 s12, s[12:13], 0x0
.LBB31_4:
	s_wait_kmcnt 0x0
	s_cmp_eq_f32 s14, 0
	s_cselect_b32 s2, -1, 0
	s_cmp_eq_f32 s12, 1.0
	s_cselect_b32 s3, -1, 0
	s_delay_alu instid0(SALU_CYCLE_1) | instskip(NEXT) | instid1(SALU_CYCLE_1)
	s_and_b32 s2, s2, s3
	s_and_b32 vcc_lo, exec_lo, s2
	s_cbranch_vccnz .LBB31_23
; %bb.5:
	s_load_b64 s[2:3], s[0:1], 0x0
	s_bfe_u32 s4, ttmp6, 0x4000c
	s_and_b32 s5, ttmp6, 15
	s_add_co_i32 s4, s4, 1
	s_getreg_b32 s6, hwreg(HW_REG_IB_STS2, 6, 4)
	s_mul_i32 s4, ttmp9, s4
	v_lshrrev_b32_e32 v1, 3, v0
	s_add_co_i32 s5, s5, s4
	s_cmp_eq_u32 s6, 0
	s_cselect_b32 s4, ttmp9, s5
	s_delay_alu instid0(VALU_DEP_1) | instid1(SALU_CYCLE_1)
	v_lshl_or_b32 v2, s4, 4, v1
	s_wait_kmcnt 0x0
	s_delay_alu instid0(VALU_DEP_1)
	v_cmp_gt_i32_e32 vcc_lo, s2, v2
	s_and_saveexec_b32 s2, vcc_lo
	s_cbranch_execz .LBB31_23
; %bb.6:
	s_load_b256 s[4:11], s[0:1], 0x10
	v_ashrrev_i32_e32 v3, 31, v2
	s_cmp_lg_u32 s3, 0
	s_wait_kmcnt 0x0
	s_delay_alu instid0(VALU_DEP_1)
	v_lshl_add_u64 v[4:5], v[2:3], 2, s[4:5]
	v_and_b32_e32 v3, 7, v0
	global_load_b64 v[4:5], v[4:5], off
	s_wait_loadcnt 0x0
	v_subrev_nc_u32_e32 v0, s16, v4
	v_subrev_nc_u32_e32 v6, s16, v5
	s_delay_alu instid0(VALU_DEP_2) | instskip(NEXT) | instid1(VALU_DEP_1)
	v_add_nc_u32_e32 v7, v0, v3
	v_cmp_lt_i32_e64 s2, v7, v6
	s_cbranch_scc0 .LBB31_12
; %bb.7:
	v_mov_b32_e32 v1, 0
	s_delay_alu instid0(VALU_DEP_1)
	v_mov_b32_e32 v0, v1
	s_and_saveexec_b32 s3, s2
	s_cbranch_execz .LBB31_11
; %bb.8:
	v_dual_mov_b32 v5, 0 :: v_dual_lshlrev_b32 v4, 4, v7
	v_mov_b32_e32 v8, v7
	s_mov_b32 s4, 0
	s_delay_alu instid0(VALU_DEP_2)
	v_dual_mov_b32 v0, v5 :: v_dual_mov_b32 v1, v5
.LBB31_9:                               ; =>This Inner Loop Header: Depth=1
	global_load_b32 v9, v8, s[6:7] scale_offset
	v_lshl_add_u64 v[34:35], v[4:5], 2, s[8:9]
	v_add_nc_u32_e32 v4, 0x80, v4
	s_wait_xcnt 0x0
	v_add_nc_u32_e32 v8, 8, v8
	s_delay_alu instid0(VALU_DEP_1) | instskip(SKIP_3) | instid1(VALU_DEP_1)
	v_cmp_ge_i32_e32 vcc_lo, v8, v6
	s_or_b32 s4, vcc_lo, s4
	s_wait_loadcnt 0x0
	v_subrev_nc_u32_e32 v9, s16, v9
	v_dual_mov_b32 v11, v5 :: v_dual_lshlrev_b32 v10, 3, v9
	s_delay_alu instid0(VALU_DEP_1)
	v_lshl_add_u64 v[36:37], v[10:11], 2, s[10:11]
	s_clause 0x1
	global_load_b128 v[10:13], v[34:35], off offset:16
	global_load_b128 v[14:17], v[34:35], off
	s_clause 0x1
	global_load_b128 v[18:21], v[36:37], off
	global_load_b128 v[22:25], v[36:37], off offset:16
	s_clause 0x1
	global_load_b128 v[26:29], v[34:35], off offset:32
	global_load_b128 v[30:33], v[34:35], off offset:48
	s_wait_loadcnt 0x3
	v_pk_fma_f32 v[0:1], v[14:15], v[18:19], v[0:1] op_sel_hi:[1,0,1]
	v_mov_b32_e32 v14, v21
	s_delay_alu instid0(VALU_DEP_2) | instskip(NEXT) | instid1(VALU_DEP_1)
	v_pk_fma_f32 v[0:1], v[16:17], v[18:19], v[0:1] op_sel:[0,1,0]
	v_pk_fma_f32 v[0:1], v[10:11], v[20:21], v[0:1] op_sel_hi:[1,0,1]
	s_wait_loadcnt 0x2
	v_mov_b32_e32 v10, v25
	s_delay_alu instid0(VALU_DEP_2) | instskip(SKIP_1) | instid1(VALU_DEP_1)
	v_pk_fma_f32 v[0:1], v[12:13], v[14:15], v[0:1] op_sel_hi:[1,0,1]
	s_wait_loadcnt 0x1
	v_pk_fma_f32 v[0:1], v[26:27], v[22:23], v[0:1] op_sel_hi:[1,0,1]
	s_delay_alu instid0(VALU_DEP_1) | instskip(SKIP_1) | instid1(VALU_DEP_1)
	v_pk_fma_f32 v[0:1], v[28:29], v[22:23], v[0:1] op_sel:[0,1,0]
	s_wait_loadcnt 0x0
	v_pk_fma_f32 v[0:1], v[30:31], v[24:25], v[0:1] op_sel_hi:[1,0,1]
	s_delay_alu instid0(VALU_DEP_1)
	v_pk_fma_f32 v[0:1], v[32:33], v[10:11], v[0:1] op_sel_hi:[1,0,1]
	s_and_not1_b32 exec_lo, exec_lo, s4
	s_cbranch_execnz .LBB31_9
; %bb.10:
	s_or_b32 exec_lo, exec_lo, s4
.LBB31_11:
	s_delay_alu instid0(SALU_CYCLE_1)
	s_or_b32 exec_lo, exec_lo, s3
	s_cbranch_execz .LBB31_13
	s_branch .LBB31_18
.LBB31_12:
                                        ; implicit-def: $vgpr1
.LBB31_13:
	v_mov_b32_e32 v1, 0
	s_delay_alu instid0(VALU_DEP_1)
	v_mov_b32_e32 v0, v1
	s_and_saveexec_b32 s3, s2
	s_cbranch_execz .LBB31_17
; %bb.14:
	v_dual_mov_b32 v5, 0 :: v_dual_lshlrev_b32 v4, 4, v7
	s_mov_b32 s2, 0
	s_delay_alu instid0(VALU_DEP_1)
	v_dual_mov_b32 v0, v5 :: v_dual_mov_b32 v1, v5
.LBB31_15:                              ; =>This Inner Loop Header: Depth=1
	global_load_b32 v8, v7, s[6:7] scale_offset
	v_lshl_add_u64 v[24:25], v[4:5], 2, s[8:9]
	v_add_nc_u32_e32 v4, 0x80, v4
	s_wait_loadcnt 0x0
	v_subrev_nc_u32_e32 v8, s16, v8
	s_delay_alu instid0(VALU_DEP_1)
	v_dual_mov_b32 v27, v5 :: v_dual_lshlrev_b32 v26, 3, v8
	s_clause 0x3
	global_load_b128 v[8:11], v[24:25], off offset:48
	global_load_b128 v[12:15], v[24:25], off offset:32
	;; [unrolled: 1-line block ×3, first 2 shown]
	global_load_b128 v[20:23], v[24:25], off
	v_add_nc_u32_e32 v7, 8, v7
	v_lshl_add_u64 v[32:33], v[26:27], 2, s[10:11]
	s_clause 0x1
	global_load_b128 v[24:27], v[32:33], off
	global_load_b128 v[28:31], v[32:33], off offset:16
	s_wait_loadcnt 0x2
	s_wait_xcnt 0x0
	v_dual_mov_b32 v33, v12 :: v_dual_mov_b32 v32, v20
	v_dual_mov_b32 v12, v21 :: v_dual_mov_b32 v20, v22
	;; [unrolled: 1-line block ×3, first 2 shown]
	s_wait_loadcnt 0x1
	s_delay_alu instid0(VALU_DEP_3) | instskip(NEXT) | instid1(VALU_DEP_1)
	v_pk_fma_f32 v[0:1], v[32:33], v[24:25], v[0:1] op_sel_hi:[1,0,1]
	v_pk_fma_f32 v[0:1], v[12:13], v[24:25], v[0:1] op_sel:[0,1,0]
	v_mov_b32_e32 v12, v27
	s_delay_alu instid0(VALU_DEP_2) | instskip(SKIP_2) | instid1(VALU_DEP_3)
	v_pk_fma_f32 v[0:1], v[20:21], v[26:27], v[0:1] op_sel_hi:[1,0,1]
	v_dual_mov_b32 v20, v16 :: v_dual_mov_b32 v21, v8
	v_mov_b32_e32 v8, v17
	v_pk_fma_f32 v[0:1], v[14:15], v[12:13], v[0:1] op_sel_hi:[1,0,1]
	v_dual_mov_b32 v12, v18 :: v_dual_mov_b32 v13, v10
	v_mov_b32_e32 v10, v19
	v_cmp_ge_i32_e32 vcc_lo, v7, v6
	s_wait_loadcnt 0x0
	v_pk_fma_f32 v[0:1], v[20:21], v[28:29], v[0:1] op_sel_hi:[1,0,1]
	s_or_b32 s2, vcc_lo, s2
	s_delay_alu instid0(VALU_DEP_1) | instskip(SKIP_1) | instid1(VALU_DEP_2)
	v_pk_fma_f32 v[0:1], v[8:9], v[28:29], v[0:1] op_sel:[0,1,0]
	v_mov_b32_e32 v8, v31
	v_pk_fma_f32 v[0:1], v[12:13], v[30:31], v[0:1] op_sel_hi:[1,0,1]
	s_delay_alu instid0(VALU_DEP_1)
	v_pk_fma_f32 v[0:1], v[10:11], v[8:9], v[0:1] op_sel_hi:[1,0,1]
	s_and_not1_b32 exec_lo, exec_lo, s2
	s_cbranch_execnz .LBB31_15
; %bb.16:
	s_or_b32 exec_lo, exec_lo, s2
.LBB31_17:
	s_delay_alu instid0(SALU_CYCLE_1)
	s_or_b32 exec_lo, exec_lo, s3
.LBB31_18:
	v_mbcnt_lo_u32_b32 v6, -1, 0
	s_mov_b32 s2, -1
	s_delay_alu instid0(VALU_DEP_1) | instskip(SKIP_1) | instid1(VALU_DEP_1)
	v_xor_b32_e32 v7, 2, v6
	v_xor_b32_e32 v4, 4, v6
	v_cmp_gt_i32_e32 vcc_lo, 32, v4
	v_cndmask_b32_e32 v4, v6, v4, vcc_lo
	s_delay_alu instid0(VALU_DEP_4) | instskip(SKIP_1) | instid1(VALU_DEP_1)
	v_cmp_gt_i32_e32 vcc_lo, 32, v7
	v_cndmask_b32_e32 v7, v6, v7, vcc_lo
	v_dual_lshlrev_b32 v7, 2, v7 :: v_dual_lshlrev_b32 v5, 2, v4
	ds_bpermute_b32 v4, v5, v0
	ds_bpermute_b32 v5, v5, v1
	s_wait_dscnt 0x0
	v_pk_add_f32 v[0:1], v[0:1], v[4:5]
	ds_bpermute_b32 v4, v7, v0
	ds_bpermute_b32 v5, v7, v1
	v_xor_b32_e32 v7, 1, v6
	s_delay_alu instid0(VALU_DEP_1) | instskip(SKIP_2) | instid1(VALU_DEP_2)
	v_cmp_gt_i32_e32 vcc_lo, 32, v7
	v_cndmask_b32_e32 v6, v6, v7, vcc_lo
	v_cmp_eq_u32_e32 vcc_lo, 7, v3
	v_lshlrev_b32_e32 v6, 2, v6
	s_wait_dscnt 0x0
	v_pk_add_f32 v[0:1], v[0:1], v[4:5]
	ds_bpermute_b32 v4, v6, v0
	ds_bpermute_b32 v5, v6, v1
	s_and_b32 exec_lo, exec_lo, vcc_lo
	s_cbranch_execz .LBB31_23
; %bb.19:
	s_load_b64 s[0:1], s[0:1], 0x38
	s_wait_dscnt 0x0
	v_pk_add_f32 v[0:1], v[0:1], v[4:5]
	v_lshlrev_b32_e32 v2, 1, v2
	s_cmp_eq_f32 s12, 0
	s_cbranch_scc0 .LBB31_21
; %bb.20:
	s_delay_alu instid0(VALU_DEP_1) | instskip(SKIP_3) | instid1(VALU_DEP_2)
	v_ashrrev_i32_e32 v3, 31, v2
	v_pk_mul_f32 v[6:7], s[14:15], v[0:1] op_sel_hi:[0,1]
	s_mov_b32 s2, 0
	s_wait_kmcnt 0x0
	v_lshl_add_u64 v[4:5], v[2:3], 2, s[0:1]
	global_store_b64 v[4:5], v[6:7], off
.LBB31_21:
	s_and_not1_b32 vcc_lo, exec_lo, s2
	s_cbranch_vccnz .LBB31_23
; %bb.22:
	v_ashrrev_i32_e32 v3, 31, v2
	v_pk_mul_f32 v[0:1], s[14:15], v[0:1] op_sel_hi:[0,1]
	s_wait_kmcnt 0x0
	s_delay_alu instid0(VALU_DEP_2)
	v_lshl_add_u64 v[2:3], v[2:3], 2, s[0:1]
	global_load_b64 v[4:5], v[2:3], off
	s_wait_loadcnt 0x0
	v_pk_fma_f32 v[0:1], s[12:13], v[4:5], v[0:1] op_sel_hi:[0,1,1]
	global_store_b64 v[2:3], v[0:1], off
.LBB31_23:
	s_endpgm
	.section	.rodata,"a",@progbits
	.p2align	6, 0x0
	.amdhsa_kernel _ZN9rocsparseL19gebsrmvn_2xn_kernelILj128ELj8ELj8EfEEvi20rocsparse_direction_NS_24const_host_device_scalarIT2_EEPKiS6_PKS3_S8_S4_PS3_21rocsparse_index_base_b
		.amdhsa_group_segment_fixed_size 0
		.amdhsa_private_segment_fixed_size 0
		.amdhsa_kernarg_size 72
		.amdhsa_user_sgpr_count 2
		.amdhsa_user_sgpr_dispatch_ptr 0
		.amdhsa_user_sgpr_queue_ptr 0
		.amdhsa_user_sgpr_kernarg_segment_ptr 1
		.amdhsa_user_sgpr_dispatch_id 0
		.amdhsa_user_sgpr_kernarg_preload_length 0
		.amdhsa_user_sgpr_kernarg_preload_offset 0
		.amdhsa_user_sgpr_private_segment_size 0
		.amdhsa_wavefront_size32 1
		.amdhsa_uses_dynamic_stack 0
		.amdhsa_enable_private_segment 0
		.amdhsa_system_sgpr_workgroup_id_x 1
		.amdhsa_system_sgpr_workgroup_id_y 0
		.amdhsa_system_sgpr_workgroup_id_z 0
		.amdhsa_system_sgpr_workgroup_info 0
		.amdhsa_system_vgpr_workitem_id 0
		.amdhsa_next_free_vgpr 38
		.amdhsa_next_free_sgpr 18
		.amdhsa_named_barrier_count 0
		.amdhsa_reserve_vcc 1
		.amdhsa_float_round_mode_32 0
		.amdhsa_float_round_mode_16_64 0
		.amdhsa_float_denorm_mode_32 3
		.amdhsa_float_denorm_mode_16_64 3
		.amdhsa_fp16_overflow 0
		.amdhsa_memory_ordered 1
		.amdhsa_forward_progress 1
		.amdhsa_inst_pref_size 11
		.amdhsa_round_robin_scheduling 0
		.amdhsa_exception_fp_ieee_invalid_op 0
		.amdhsa_exception_fp_denorm_src 0
		.amdhsa_exception_fp_ieee_div_zero 0
		.amdhsa_exception_fp_ieee_overflow 0
		.amdhsa_exception_fp_ieee_underflow 0
		.amdhsa_exception_fp_ieee_inexact 0
		.amdhsa_exception_int_div_zero 0
	.end_amdhsa_kernel
	.section	.text._ZN9rocsparseL19gebsrmvn_2xn_kernelILj128ELj8ELj8EfEEvi20rocsparse_direction_NS_24const_host_device_scalarIT2_EEPKiS6_PKS3_S8_S4_PS3_21rocsparse_index_base_b,"axG",@progbits,_ZN9rocsparseL19gebsrmvn_2xn_kernelILj128ELj8ELj8EfEEvi20rocsparse_direction_NS_24const_host_device_scalarIT2_EEPKiS6_PKS3_S8_S4_PS3_21rocsparse_index_base_b,comdat
.Lfunc_end31:
	.size	_ZN9rocsparseL19gebsrmvn_2xn_kernelILj128ELj8ELj8EfEEvi20rocsparse_direction_NS_24const_host_device_scalarIT2_EEPKiS6_PKS3_S8_S4_PS3_21rocsparse_index_base_b, .Lfunc_end31-_ZN9rocsparseL19gebsrmvn_2xn_kernelILj128ELj8ELj8EfEEvi20rocsparse_direction_NS_24const_host_device_scalarIT2_EEPKiS6_PKS3_S8_S4_PS3_21rocsparse_index_base_b
                                        ; -- End function
	.set _ZN9rocsparseL19gebsrmvn_2xn_kernelILj128ELj8ELj8EfEEvi20rocsparse_direction_NS_24const_host_device_scalarIT2_EEPKiS6_PKS3_S8_S4_PS3_21rocsparse_index_base_b.num_vgpr, 38
	.set _ZN9rocsparseL19gebsrmvn_2xn_kernelILj128ELj8ELj8EfEEvi20rocsparse_direction_NS_24const_host_device_scalarIT2_EEPKiS6_PKS3_S8_S4_PS3_21rocsparse_index_base_b.num_agpr, 0
	.set _ZN9rocsparseL19gebsrmvn_2xn_kernelILj128ELj8ELj8EfEEvi20rocsparse_direction_NS_24const_host_device_scalarIT2_EEPKiS6_PKS3_S8_S4_PS3_21rocsparse_index_base_b.numbered_sgpr, 18
	.set _ZN9rocsparseL19gebsrmvn_2xn_kernelILj128ELj8ELj8EfEEvi20rocsparse_direction_NS_24const_host_device_scalarIT2_EEPKiS6_PKS3_S8_S4_PS3_21rocsparse_index_base_b.num_named_barrier, 0
	.set _ZN9rocsparseL19gebsrmvn_2xn_kernelILj128ELj8ELj8EfEEvi20rocsparse_direction_NS_24const_host_device_scalarIT2_EEPKiS6_PKS3_S8_S4_PS3_21rocsparse_index_base_b.private_seg_size, 0
	.set _ZN9rocsparseL19gebsrmvn_2xn_kernelILj128ELj8ELj8EfEEvi20rocsparse_direction_NS_24const_host_device_scalarIT2_EEPKiS6_PKS3_S8_S4_PS3_21rocsparse_index_base_b.uses_vcc, 1
	.set _ZN9rocsparseL19gebsrmvn_2xn_kernelILj128ELj8ELj8EfEEvi20rocsparse_direction_NS_24const_host_device_scalarIT2_EEPKiS6_PKS3_S8_S4_PS3_21rocsparse_index_base_b.uses_flat_scratch, 0
	.set _ZN9rocsparseL19gebsrmvn_2xn_kernelILj128ELj8ELj8EfEEvi20rocsparse_direction_NS_24const_host_device_scalarIT2_EEPKiS6_PKS3_S8_S4_PS3_21rocsparse_index_base_b.has_dyn_sized_stack, 0
	.set _ZN9rocsparseL19gebsrmvn_2xn_kernelILj128ELj8ELj8EfEEvi20rocsparse_direction_NS_24const_host_device_scalarIT2_EEPKiS6_PKS3_S8_S4_PS3_21rocsparse_index_base_b.has_recursion, 0
	.set _ZN9rocsparseL19gebsrmvn_2xn_kernelILj128ELj8ELj8EfEEvi20rocsparse_direction_NS_24const_host_device_scalarIT2_EEPKiS6_PKS3_S8_S4_PS3_21rocsparse_index_base_b.has_indirect_call, 0
	.section	.AMDGPU.csdata,"",@progbits
; Kernel info:
; codeLenInByte = 1296
; TotalNumSgprs: 20
; NumVgprs: 38
; ScratchSize: 0
; MemoryBound: 0
; FloatMode: 240
; IeeeMode: 1
; LDSByteSize: 0 bytes/workgroup (compile time only)
; SGPRBlocks: 0
; VGPRBlocks: 2
; NumSGPRsForWavesPerEU: 20
; NumVGPRsForWavesPerEU: 38
; NamedBarCnt: 0
; Occupancy: 16
; WaveLimiterHint : 1
; COMPUTE_PGM_RSRC2:SCRATCH_EN: 0
; COMPUTE_PGM_RSRC2:USER_SGPR: 2
; COMPUTE_PGM_RSRC2:TRAP_HANDLER: 0
; COMPUTE_PGM_RSRC2:TGID_X_EN: 1
; COMPUTE_PGM_RSRC2:TGID_Y_EN: 0
; COMPUTE_PGM_RSRC2:TGID_Z_EN: 0
; COMPUTE_PGM_RSRC2:TIDIG_COMP_CNT: 0
	.section	.text._ZN9rocsparseL19gebsrmvn_2xn_kernelILj128ELj8ELj16EfEEvi20rocsparse_direction_NS_24const_host_device_scalarIT2_EEPKiS6_PKS3_S8_S4_PS3_21rocsparse_index_base_b,"axG",@progbits,_ZN9rocsparseL19gebsrmvn_2xn_kernelILj128ELj8ELj16EfEEvi20rocsparse_direction_NS_24const_host_device_scalarIT2_EEPKiS6_PKS3_S8_S4_PS3_21rocsparse_index_base_b,comdat
	.globl	_ZN9rocsparseL19gebsrmvn_2xn_kernelILj128ELj8ELj16EfEEvi20rocsparse_direction_NS_24const_host_device_scalarIT2_EEPKiS6_PKS3_S8_S4_PS3_21rocsparse_index_base_b ; -- Begin function _ZN9rocsparseL19gebsrmvn_2xn_kernelILj128ELj8ELj16EfEEvi20rocsparse_direction_NS_24const_host_device_scalarIT2_EEPKiS6_PKS3_S8_S4_PS3_21rocsparse_index_base_b
	.p2align	8
	.type	_ZN9rocsparseL19gebsrmvn_2xn_kernelILj128ELj8ELj16EfEEvi20rocsparse_direction_NS_24const_host_device_scalarIT2_EEPKiS6_PKS3_S8_S4_PS3_21rocsparse_index_base_b,@function
_ZN9rocsparseL19gebsrmvn_2xn_kernelILj128ELj8ELj16EfEEvi20rocsparse_direction_NS_24const_host_device_scalarIT2_EEPKiS6_PKS3_S8_S4_PS3_21rocsparse_index_base_b: ; @_ZN9rocsparseL19gebsrmvn_2xn_kernelILj128ELj8ELj16EfEEvi20rocsparse_direction_NS_24const_host_device_scalarIT2_EEPKiS6_PKS3_S8_S4_PS3_21rocsparse_index_base_b
; %bb.0:
	s_clause 0x2
	s_load_b64 s[16:17], s[0:1], 0x40
	s_load_b64 s[14:15], s[0:1], 0x8
	;; [unrolled: 1-line block ×3, first 2 shown]
	s_wait_kmcnt 0x0
	s_bitcmp1_b32 s17, 0
	s_cselect_b32 s2, -1, 0
	s_delay_alu instid0(SALU_CYCLE_1)
	s_and_b32 vcc_lo, exec_lo, s2
	s_xor_b32 s2, s2, -1
	s_cbranch_vccnz .LBB32_2
; %bb.1:
	s_load_b32 s14, s[14:15], 0x0
.LBB32_2:
	s_and_not1_b32 vcc_lo, exec_lo, s2
	s_cbranch_vccnz .LBB32_4
; %bb.3:
	s_load_b32 s12, s[12:13], 0x0
.LBB32_4:
	s_wait_kmcnt 0x0
	s_cmp_eq_f32 s14, 0
	s_cselect_b32 s2, -1, 0
	s_cmp_eq_f32 s12, 1.0
	s_cselect_b32 s3, -1, 0
	s_delay_alu instid0(SALU_CYCLE_1) | instskip(NEXT) | instid1(SALU_CYCLE_1)
	s_and_b32 s2, s2, s3
	s_and_b32 vcc_lo, exec_lo, s2
	s_cbranch_vccnz .LBB32_23
; %bb.5:
	s_load_b64 s[2:3], s[0:1], 0x0
	s_bfe_u32 s4, ttmp6, 0x4000c
	s_and_b32 s5, ttmp6, 15
	s_add_co_i32 s4, s4, 1
	s_getreg_b32 s6, hwreg(HW_REG_IB_STS2, 6, 4)
	s_mul_i32 s4, ttmp9, s4
	v_lshrrev_b32_e32 v1, 4, v0
	s_add_co_i32 s5, s5, s4
	s_cmp_eq_u32 s6, 0
	s_cselect_b32 s4, ttmp9, s5
	s_delay_alu instid0(VALU_DEP_1) | instid1(SALU_CYCLE_1)
	v_lshl_or_b32 v2, s4, 3, v1
	s_wait_kmcnt 0x0
	s_delay_alu instid0(VALU_DEP_1)
	v_cmp_gt_i32_e32 vcc_lo, s2, v2
	s_and_saveexec_b32 s2, vcc_lo
	s_cbranch_execz .LBB32_23
; %bb.6:
	s_load_b256 s[4:11], s[0:1], 0x10
	v_ashrrev_i32_e32 v3, 31, v2
	s_cmp_lg_u32 s3, 0
	s_wait_kmcnt 0x0
	s_delay_alu instid0(VALU_DEP_1)
	v_lshl_add_u64 v[4:5], v[2:3], 2, s[4:5]
	v_and_b32_e32 v3, 15, v0
	global_load_b64 v[4:5], v[4:5], off
	s_wait_loadcnt 0x0
	v_subrev_nc_u32_e32 v0, s16, v4
	v_subrev_nc_u32_e32 v6, s16, v5
	s_delay_alu instid0(VALU_DEP_2) | instskip(NEXT) | instid1(VALU_DEP_1)
	v_add_nc_u32_e32 v7, v0, v3
	v_cmp_lt_i32_e64 s2, v7, v6
	s_cbranch_scc0 .LBB32_12
; %bb.7:
	v_mov_b32_e32 v1, 0
	s_delay_alu instid0(VALU_DEP_1)
	v_mov_b32_e32 v0, v1
	s_and_saveexec_b32 s3, s2
	s_cbranch_execz .LBB32_11
; %bb.8:
	v_dual_mov_b32 v5, 0 :: v_dual_lshlrev_b32 v4, 4, v7
	v_mov_b32_e32 v8, v7
	s_mov_b32 s4, 0
	s_delay_alu instid0(VALU_DEP_2)
	v_dual_mov_b32 v0, v5 :: v_dual_mov_b32 v1, v5
.LBB32_9:                               ; =>This Inner Loop Header: Depth=1
	global_load_b32 v9, v8, s[6:7] scale_offset
	v_lshl_add_u64 v[34:35], v[4:5], 2, s[8:9]
	v_add_nc_u32_e32 v4, 0x100, v4
	s_wait_xcnt 0x0
	v_add_nc_u32_e32 v8, 16, v8
	s_delay_alu instid0(VALU_DEP_1) | instskip(SKIP_3) | instid1(VALU_DEP_1)
	v_cmp_ge_i32_e32 vcc_lo, v8, v6
	s_or_b32 s4, vcc_lo, s4
	s_wait_loadcnt 0x0
	v_subrev_nc_u32_e32 v9, s16, v9
	v_dual_mov_b32 v11, v5 :: v_dual_lshlrev_b32 v10, 3, v9
	s_delay_alu instid0(VALU_DEP_1)
	v_lshl_add_u64 v[36:37], v[10:11], 2, s[10:11]
	s_clause 0x1
	global_load_b128 v[10:13], v[34:35], off offset:16
	global_load_b128 v[14:17], v[34:35], off
	s_clause 0x1
	global_load_b128 v[18:21], v[36:37], off
	global_load_b128 v[22:25], v[36:37], off offset:16
	s_clause 0x1
	global_load_b128 v[26:29], v[34:35], off offset:32
	global_load_b128 v[30:33], v[34:35], off offset:48
	s_wait_loadcnt 0x3
	v_pk_fma_f32 v[0:1], v[14:15], v[18:19], v[0:1] op_sel_hi:[1,0,1]
	v_mov_b32_e32 v14, v21
	s_delay_alu instid0(VALU_DEP_2) | instskip(NEXT) | instid1(VALU_DEP_1)
	v_pk_fma_f32 v[0:1], v[16:17], v[18:19], v[0:1] op_sel:[0,1,0]
	v_pk_fma_f32 v[0:1], v[10:11], v[20:21], v[0:1] op_sel_hi:[1,0,1]
	s_wait_loadcnt 0x2
	v_mov_b32_e32 v10, v25
	s_delay_alu instid0(VALU_DEP_2) | instskip(SKIP_1) | instid1(VALU_DEP_1)
	v_pk_fma_f32 v[0:1], v[12:13], v[14:15], v[0:1] op_sel_hi:[1,0,1]
	s_wait_loadcnt 0x1
	v_pk_fma_f32 v[0:1], v[26:27], v[22:23], v[0:1] op_sel_hi:[1,0,1]
	s_delay_alu instid0(VALU_DEP_1) | instskip(SKIP_1) | instid1(VALU_DEP_1)
	v_pk_fma_f32 v[0:1], v[28:29], v[22:23], v[0:1] op_sel:[0,1,0]
	s_wait_loadcnt 0x0
	v_pk_fma_f32 v[0:1], v[30:31], v[24:25], v[0:1] op_sel_hi:[1,0,1]
	s_delay_alu instid0(VALU_DEP_1)
	v_pk_fma_f32 v[0:1], v[32:33], v[10:11], v[0:1] op_sel_hi:[1,0,1]
	s_and_not1_b32 exec_lo, exec_lo, s4
	s_cbranch_execnz .LBB32_9
; %bb.10:
	s_or_b32 exec_lo, exec_lo, s4
.LBB32_11:
	s_delay_alu instid0(SALU_CYCLE_1)
	s_or_b32 exec_lo, exec_lo, s3
	s_cbranch_execz .LBB32_13
	s_branch .LBB32_18
.LBB32_12:
                                        ; implicit-def: $vgpr1
.LBB32_13:
	v_mov_b32_e32 v1, 0
	s_delay_alu instid0(VALU_DEP_1)
	v_mov_b32_e32 v0, v1
	s_and_saveexec_b32 s3, s2
	s_cbranch_execz .LBB32_17
; %bb.14:
	v_dual_mov_b32 v5, 0 :: v_dual_lshlrev_b32 v4, 4, v7
	s_mov_b32 s2, 0
	s_delay_alu instid0(VALU_DEP_1)
	v_dual_mov_b32 v0, v5 :: v_dual_mov_b32 v1, v5
.LBB32_15:                              ; =>This Inner Loop Header: Depth=1
	global_load_b32 v8, v7, s[6:7] scale_offset
	v_lshl_add_u64 v[24:25], v[4:5], 2, s[8:9]
	v_add_nc_u32_e32 v4, 0x100, v4
	s_wait_loadcnt 0x0
	v_subrev_nc_u32_e32 v8, s16, v8
	s_delay_alu instid0(VALU_DEP_1)
	v_dual_mov_b32 v27, v5 :: v_dual_lshlrev_b32 v26, 3, v8
	s_clause 0x3
	global_load_b128 v[8:11], v[24:25], off offset:48
	global_load_b128 v[12:15], v[24:25], off offset:32
	;; [unrolled: 1-line block ×3, first 2 shown]
	global_load_b128 v[20:23], v[24:25], off
	v_add_nc_u32_e32 v7, 16, v7
	v_lshl_add_u64 v[32:33], v[26:27], 2, s[10:11]
	s_clause 0x1
	global_load_b128 v[24:27], v[32:33], off
	global_load_b128 v[28:31], v[32:33], off offset:16
	s_wait_loadcnt 0x2
	s_wait_xcnt 0x0
	v_dual_mov_b32 v33, v12 :: v_dual_mov_b32 v32, v20
	v_dual_mov_b32 v12, v21 :: v_dual_mov_b32 v20, v22
	;; [unrolled: 1-line block ×3, first 2 shown]
	s_wait_loadcnt 0x1
	s_delay_alu instid0(VALU_DEP_3) | instskip(NEXT) | instid1(VALU_DEP_1)
	v_pk_fma_f32 v[0:1], v[32:33], v[24:25], v[0:1] op_sel_hi:[1,0,1]
	v_pk_fma_f32 v[0:1], v[12:13], v[24:25], v[0:1] op_sel:[0,1,0]
	v_mov_b32_e32 v12, v27
	s_delay_alu instid0(VALU_DEP_2) | instskip(SKIP_2) | instid1(VALU_DEP_3)
	v_pk_fma_f32 v[0:1], v[20:21], v[26:27], v[0:1] op_sel_hi:[1,0,1]
	v_dual_mov_b32 v20, v16 :: v_dual_mov_b32 v21, v8
	v_mov_b32_e32 v8, v17
	v_pk_fma_f32 v[0:1], v[14:15], v[12:13], v[0:1] op_sel_hi:[1,0,1]
	v_dual_mov_b32 v12, v18 :: v_dual_mov_b32 v13, v10
	v_mov_b32_e32 v10, v19
	v_cmp_ge_i32_e32 vcc_lo, v7, v6
	s_wait_loadcnt 0x0
	v_pk_fma_f32 v[0:1], v[20:21], v[28:29], v[0:1] op_sel_hi:[1,0,1]
	s_or_b32 s2, vcc_lo, s2
	s_delay_alu instid0(VALU_DEP_1) | instskip(SKIP_1) | instid1(VALU_DEP_2)
	v_pk_fma_f32 v[0:1], v[8:9], v[28:29], v[0:1] op_sel:[0,1,0]
	v_mov_b32_e32 v8, v31
	v_pk_fma_f32 v[0:1], v[12:13], v[30:31], v[0:1] op_sel_hi:[1,0,1]
	s_delay_alu instid0(VALU_DEP_1)
	v_pk_fma_f32 v[0:1], v[10:11], v[8:9], v[0:1] op_sel_hi:[1,0,1]
	s_and_not1_b32 exec_lo, exec_lo, s2
	s_cbranch_execnz .LBB32_15
; %bb.16:
	s_or_b32 exec_lo, exec_lo, s2
.LBB32_17:
	s_delay_alu instid0(SALU_CYCLE_1)
	s_or_b32 exec_lo, exec_lo, s3
.LBB32_18:
	v_mbcnt_lo_u32_b32 v6, -1, 0
	s_mov_b32 s2, -1
	s_delay_alu instid0(VALU_DEP_1) | instskip(SKIP_1) | instid1(VALU_DEP_1)
	v_xor_b32_e32 v7, 4, v6
	v_xor_b32_e32 v4, 8, v6
	v_cmp_gt_i32_e32 vcc_lo, 32, v4
	v_cndmask_b32_e32 v4, v6, v4, vcc_lo
	s_delay_alu instid0(VALU_DEP_4) | instskip(SKIP_1) | instid1(VALU_DEP_1)
	v_cmp_gt_i32_e32 vcc_lo, 32, v7
	v_cndmask_b32_e32 v7, v6, v7, vcc_lo
	v_dual_lshlrev_b32 v7, 2, v7 :: v_dual_lshlrev_b32 v5, 2, v4
	ds_bpermute_b32 v4, v5, v0
	ds_bpermute_b32 v5, v5, v1
	s_wait_dscnt 0x0
	v_pk_add_f32 v[0:1], v[0:1], v[4:5]
	ds_bpermute_b32 v4, v7, v0
	ds_bpermute_b32 v5, v7, v1
	v_xor_b32_e32 v7, 2, v6
	s_delay_alu instid0(VALU_DEP_1) | instskip(SKIP_1) | instid1(VALU_DEP_1)
	v_cmp_gt_i32_e32 vcc_lo, 32, v7
	v_cndmask_b32_e32 v7, v6, v7, vcc_lo
	v_lshlrev_b32_e32 v7, 2, v7
	s_wait_dscnt 0x0
	v_pk_add_f32 v[0:1], v[0:1], v[4:5]
	ds_bpermute_b32 v4, v7, v0
	ds_bpermute_b32 v5, v7, v1
	v_xor_b32_e32 v7, 1, v6
	s_delay_alu instid0(VALU_DEP_1) | instskip(SKIP_2) | instid1(VALU_DEP_2)
	v_cmp_gt_i32_e32 vcc_lo, 32, v7
	v_cndmask_b32_e32 v6, v6, v7, vcc_lo
	v_cmp_eq_u32_e32 vcc_lo, 15, v3
	v_lshlrev_b32_e32 v6, 2, v6
	s_wait_dscnt 0x0
	v_pk_add_f32 v[0:1], v[0:1], v[4:5]
	ds_bpermute_b32 v4, v6, v0
	ds_bpermute_b32 v5, v6, v1
	s_and_b32 exec_lo, exec_lo, vcc_lo
	s_cbranch_execz .LBB32_23
; %bb.19:
	s_load_b64 s[0:1], s[0:1], 0x38
	s_wait_dscnt 0x0
	v_pk_add_f32 v[0:1], v[0:1], v[4:5]
	v_lshlrev_b32_e32 v2, 1, v2
	s_cmp_eq_f32 s12, 0
	s_cbranch_scc0 .LBB32_21
; %bb.20:
	s_delay_alu instid0(VALU_DEP_1) | instskip(SKIP_3) | instid1(VALU_DEP_2)
	v_ashrrev_i32_e32 v3, 31, v2
	v_pk_mul_f32 v[6:7], s[14:15], v[0:1] op_sel_hi:[0,1]
	s_mov_b32 s2, 0
	s_wait_kmcnt 0x0
	v_lshl_add_u64 v[4:5], v[2:3], 2, s[0:1]
	global_store_b64 v[4:5], v[6:7], off
.LBB32_21:
	s_and_not1_b32 vcc_lo, exec_lo, s2
	s_cbranch_vccnz .LBB32_23
; %bb.22:
	v_ashrrev_i32_e32 v3, 31, v2
	v_pk_mul_f32 v[0:1], s[14:15], v[0:1] op_sel_hi:[0,1]
	s_wait_kmcnt 0x0
	s_delay_alu instid0(VALU_DEP_2)
	v_lshl_add_u64 v[2:3], v[2:3], 2, s[0:1]
	global_load_b64 v[4:5], v[2:3], off
	s_wait_loadcnt 0x0
	v_pk_fma_f32 v[0:1], s[12:13], v[4:5], v[0:1] op_sel_hi:[0,1,1]
	global_store_b64 v[2:3], v[0:1], off
.LBB32_23:
	s_endpgm
	.section	.rodata,"a",@progbits
	.p2align	6, 0x0
	.amdhsa_kernel _ZN9rocsparseL19gebsrmvn_2xn_kernelILj128ELj8ELj16EfEEvi20rocsparse_direction_NS_24const_host_device_scalarIT2_EEPKiS6_PKS3_S8_S4_PS3_21rocsparse_index_base_b
		.amdhsa_group_segment_fixed_size 0
		.amdhsa_private_segment_fixed_size 0
		.amdhsa_kernarg_size 72
		.amdhsa_user_sgpr_count 2
		.amdhsa_user_sgpr_dispatch_ptr 0
		.amdhsa_user_sgpr_queue_ptr 0
		.amdhsa_user_sgpr_kernarg_segment_ptr 1
		.amdhsa_user_sgpr_dispatch_id 0
		.amdhsa_user_sgpr_kernarg_preload_length 0
		.amdhsa_user_sgpr_kernarg_preload_offset 0
		.amdhsa_user_sgpr_private_segment_size 0
		.amdhsa_wavefront_size32 1
		.amdhsa_uses_dynamic_stack 0
		.amdhsa_enable_private_segment 0
		.amdhsa_system_sgpr_workgroup_id_x 1
		.amdhsa_system_sgpr_workgroup_id_y 0
		.amdhsa_system_sgpr_workgroup_id_z 0
		.amdhsa_system_sgpr_workgroup_info 0
		.amdhsa_system_vgpr_workitem_id 0
		.amdhsa_next_free_vgpr 38
		.amdhsa_next_free_sgpr 18
		.amdhsa_named_barrier_count 0
		.amdhsa_reserve_vcc 1
		.amdhsa_float_round_mode_32 0
		.amdhsa_float_round_mode_16_64 0
		.amdhsa_float_denorm_mode_32 3
		.amdhsa_float_denorm_mode_16_64 3
		.amdhsa_fp16_overflow 0
		.amdhsa_memory_ordered 1
		.amdhsa_forward_progress 1
		.amdhsa_inst_pref_size 11
		.amdhsa_round_robin_scheduling 0
		.amdhsa_exception_fp_ieee_invalid_op 0
		.amdhsa_exception_fp_denorm_src 0
		.amdhsa_exception_fp_ieee_div_zero 0
		.amdhsa_exception_fp_ieee_overflow 0
		.amdhsa_exception_fp_ieee_underflow 0
		.amdhsa_exception_fp_ieee_inexact 0
		.amdhsa_exception_int_div_zero 0
	.end_amdhsa_kernel
	.section	.text._ZN9rocsparseL19gebsrmvn_2xn_kernelILj128ELj8ELj16EfEEvi20rocsparse_direction_NS_24const_host_device_scalarIT2_EEPKiS6_PKS3_S8_S4_PS3_21rocsparse_index_base_b,"axG",@progbits,_ZN9rocsparseL19gebsrmvn_2xn_kernelILj128ELj8ELj16EfEEvi20rocsparse_direction_NS_24const_host_device_scalarIT2_EEPKiS6_PKS3_S8_S4_PS3_21rocsparse_index_base_b,comdat
.Lfunc_end32:
	.size	_ZN9rocsparseL19gebsrmvn_2xn_kernelILj128ELj8ELj16EfEEvi20rocsparse_direction_NS_24const_host_device_scalarIT2_EEPKiS6_PKS3_S8_S4_PS3_21rocsparse_index_base_b, .Lfunc_end32-_ZN9rocsparseL19gebsrmvn_2xn_kernelILj128ELj8ELj16EfEEvi20rocsparse_direction_NS_24const_host_device_scalarIT2_EEPKiS6_PKS3_S8_S4_PS3_21rocsparse_index_base_b
                                        ; -- End function
	.set _ZN9rocsparseL19gebsrmvn_2xn_kernelILj128ELj8ELj16EfEEvi20rocsparse_direction_NS_24const_host_device_scalarIT2_EEPKiS6_PKS3_S8_S4_PS3_21rocsparse_index_base_b.num_vgpr, 38
	.set _ZN9rocsparseL19gebsrmvn_2xn_kernelILj128ELj8ELj16EfEEvi20rocsparse_direction_NS_24const_host_device_scalarIT2_EEPKiS6_PKS3_S8_S4_PS3_21rocsparse_index_base_b.num_agpr, 0
	.set _ZN9rocsparseL19gebsrmvn_2xn_kernelILj128ELj8ELj16EfEEvi20rocsparse_direction_NS_24const_host_device_scalarIT2_EEPKiS6_PKS3_S8_S4_PS3_21rocsparse_index_base_b.numbered_sgpr, 18
	.set _ZN9rocsparseL19gebsrmvn_2xn_kernelILj128ELj8ELj16EfEEvi20rocsparse_direction_NS_24const_host_device_scalarIT2_EEPKiS6_PKS3_S8_S4_PS3_21rocsparse_index_base_b.num_named_barrier, 0
	.set _ZN9rocsparseL19gebsrmvn_2xn_kernelILj128ELj8ELj16EfEEvi20rocsparse_direction_NS_24const_host_device_scalarIT2_EEPKiS6_PKS3_S8_S4_PS3_21rocsparse_index_base_b.private_seg_size, 0
	.set _ZN9rocsparseL19gebsrmvn_2xn_kernelILj128ELj8ELj16EfEEvi20rocsparse_direction_NS_24const_host_device_scalarIT2_EEPKiS6_PKS3_S8_S4_PS3_21rocsparse_index_base_b.uses_vcc, 1
	.set _ZN9rocsparseL19gebsrmvn_2xn_kernelILj128ELj8ELj16EfEEvi20rocsparse_direction_NS_24const_host_device_scalarIT2_EEPKiS6_PKS3_S8_S4_PS3_21rocsparse_index_base_b.uses_flat_scratch, 0
	.set _ZN9rocsparseL19gebsrmvn_2xn_kernelILj128ELj8ELj16EfEEvi20rocsparse_direction_NS_24const_host_device_scalarIT2_EEPKiS6_PKS3_S8_S4_PS3_21rocsparse_index_base_b.has_dyn_sized_stack, 0
	.set _ZN9rocsparseL19gebsrmvn_2xn_kernelILj128ELj8ELj16EfEEvi20rocsparse_direction_NS_24const_host_device_scalarIT2_EEPKiS6_PKS3_S8_S4_PS3_21rocsparse_index_base_b.has_recursion, 0
	.set _ZN9rocsparseL19gebsrmvn_2xn_kernelILj128ELj8ELj16EfEEvi20rocsparse_direction_NS_24const_host_device_scalarIT2_EEPKiS6_PKS3_S8_S4_PS3_21rocsparse_index_base_b.has_indirect_call, 0
	.section	.AMDGPU.csdata,"",@progbits
; Kernel info:
; codeLenInByte = 1344
; TotalNumSgprs: 20
; NumVgprs: 38
; ScratchSize: 0
; MemoryBound: 0
; FloatMode: 240
; IeeeMode: 1
; LDSByteSize: 0 bytes/workgroup (compile time only)
; SGPRBlocks: 0
; VGPRBlocks: 2
; NumSGPRsForWavesPerEU: 20
; NumVGPRsForWavesPerEU: 38
; NamedBarCnt: 0
; Occupancy: 16
; WaveLimiterHint : 1
; COMPUTE_PGM_RSRC2:SCRATCH_EN: 0
; COMPUTE_PGM_RSRC2:USER_SGPR: 2
; COMPUTE_PGM_RSRC2:TRAP_HANDLER: 0
; COMPUTE_PGM_RSRC2:TGID_X_EN: 1
; COMPUTE_PGM_RSRC2:TGID_Y_EN: 0
; COMPUTE_PGM_RSRC2:TGID_Z_EN: 0
; COMPUTE_PGM_RSRC2:TIDIG_COMP_CNT: 0
	.section	.text._ZN9rocsparseL19gebsrmvn_2xn_kernelILj128ELj8ELj32EfEEvi20rocsparse_direction_NS_24const_host_device_scalarIT2_EEPKiS6_PKS3_S8_S4_PS3_21rocsparse_index_base_b,"axG",@progbits,_ZN9rocsparseL19gebsrmvn_2xn_kernelILj128ELj8ELj32EfEEvi20rocsparse_direction_NS_24const_host_device_scalarIT2_EEPKiS6_PKS3_S8_S4_PS3_21rocsparse_index_base_b,comdat
	.globl	_ZN9rocsparseL19gebsrmvn_2xn_kernelILj128ELj8ELj32EfEEvi20rocsparse_direction_NS_24const_host_device_scalarIT2_EEPKiS6_PKS3_S8_S4_PS3_21rocsparse_index_base_b ; -- Begin function _ZN9rocsparseL19gebsrmvn_2xn_kernelILj128ELj8ELj32EfEEvi20rocsparse_direction_NS_24const_host_device_scalarIT2_EEPKiS6_PKS3_S8_S4_PS3_21rocsparse_index_base_b
	.p2align	8
	.type	_ZN9rocsparseL19gebsrmvn_2xn_kernelILj128ELj8ELj32EfEEvi20rocsparse_direction_NS_24const_host_device_scalarIT2_EEPKiS6_PKS3_S8_S4_PS3_21rocsparse_index_base_b,@function
_ZN9rocsparseL19gebsrmvn_2xn_kernelILj128ELj8ELj32EfEEvi20rocsparse_direction_NS_24const_host_device_scalarIT2_EEPKiS6_PKS3_S8_S4_PS3_21rocsparse_index_base_b: ; @_ZN9rocsparseL19gebsrmvn_2xn_kernelILj128ELj8ELj32EfEEvi20rocsparse_direction_NS_24const_host_device_scalarIT2_EEPKiS6_PKS3_S8_S4_PS3_21rocsparse_index_base_b
; %bb.0:
	s_clause 0x2
	s_load_b64 s[16:17], s[0:1], 0x40
	s_load_b64 s[14:15], s[0:1], 0x8
	;; [unrolled: 1-line block ×3, first 2 shown]
	s_wait_kmcnt 0x0
	s_bitcmp1_b32 s17, 0
	s_cselect_b32 s2, -1, 0
	s_delay_alu instid0(SALU_CYCLE_1)
	s_and_b32 vcc_lo, exec_lo, s2
	s_xor_b32 s2, s2, -1
	s_cbranch_vccnz .LBB33_2
; %bb.1:
	s_load_b32 s14, s[14:15], 0x0
.LBB33_2:
	s_and_not1_b32 vcc_lo, exec_lo, s2
	s_cbranch_vccnz .LBB33_4
; %bb.3:
	s_load_b32 s12, s[12:13], 0x0
.LBB33_4:
	s_wait_kmcnt 0x0
	s_cmp_eq_f32 s14, 0
	s_cselect_b32 s2, -1, 0
	s_cmp_eq_f32 s12, 1.0
	s_cselect_b32 s3, -1, 0
	s_delay_alu instid0(SALU_CYCLE_1) | instskip(NEXT) | instid1(SALU_CYCLE_1)
	s_and_b32 s2, s2, s3
	s_and_b32 vcc_lo, exec_lo, s2
	s_cbranch_vccnz .LBB33_23
; %bb.5:
	s_load_b64 s[2:3], s[0:1], 0x0
	s_bfe_u32 s4, ttmp6, 0x4000c
	s_and_b32 s5, ttmp6, 15
	s_add_co_i32 s4, s4, 1
	s_getreg_b32 s6, hwreg(HW_REG_IB_STS2, 6, 4)
	s_mul_i32 s4, ttmp9, s4
	v_lshrrev_b32_e32 v1, 5, v0
	s_add_co_i32 s5, s5, s4
	s_cmp_eq_u32 s6, 0
	s_cselect_b32 s4, ttmp9, s5
	s_delay_alu instid0(VALU_DEP_1) | instid1(SALU_CYCLE_1)
	v_lshl_or_b32 v2, s4, 2, v1
	s_wait_kmcnt 0x0
	s_delay_alu instid0(VALU_DEP_1)
	v_cmp_gt_i32_e32 vcc_lo, s2, v2
	s_and_saveexec_b32 s2, vcc_lo
	s_cbranch_execz .LBB33_23
; %bb.6:
	s_load_b256 s[4:11], s[0:1], 0x10
	v_ashrrev_i32_e32 v3, 31, v2
	s_cmp_lg_u32 s3, 0
	s_wait_kmcnt 0x0
	s_delay_alu instid0(VALU_DEP_1)
	v_lshl_add_u64 v[4:5], v[2:3], 2, s[4:5]
	v_and_b32_e32 v3, 31, v0
	global_load_b64 v[4:5], v[4:5], off
	s_wait_loadcnt 0x0
	v_subrev_nc_u32_e32 v0, s16, v4
	v_subrev_nc_u32_e32 v6, s16, v5
	s_delay_alu instid0(VALU_DEP_2) | instskip(NEXT) | instid1(VALU_DEP_1)
	v_add_nc_u32_e32 v7, v0, v3
	v_cmp_lt_i32_e64 s2, v7, v6
	s_cbranch_scc0 .LBB33_12
; %bb.7:
	v_mov_b32_e32 v1, 0
	s_delay_alu instid0(VALU_DEP_1)
	v_mov_b32_e32 v0, v1
	s_and_saveexec_b32 s3, s2
	s_cbranch_execz .LBB33_11
; %bb.8:
	v_dual_mov_b32 v5, 0 :: v_dual_lshlrev_b32 v4, 4, v7
	v_mov_b32_e32 v8, v7
	s_mov_b32 s4, 0
	s_delay_alu instid0(VALU_DEP_2)
	v_dual_mov_b32 v0, v5 :: v_dual_mov_b32 v1, v5
.LBB33_9:                               ; =>This Inner Loop Header: Depth=1
	global_load_b32 v9, v8, s[6:7] scale_offset
	v_lshl_add_u64 v[34:35], v[4:5], 2, s[8:9]
	v_add_nc_u32_e32 v4, 0x200, v4
	s_wait_xcnt 0x0
	v_add_nc_u32_e32 v8, 32, v8
	s_delay_alu instid0(VALU_DEP_1) | instskip(SKIP_3) | instid1(VALU_DEP_1)
	v_cmp_ge_i32_e32 vcc_lo, v8, v6
	s_or_b32 s4, vcc_lo, s4
	s_wait_loadcnt 0x0
	v_subrev_nc_u32_e32 v9, s16, v9
	v_dual_mov_b32 v11, v5 :: v_dual_lshlrev_b32 v10, 3, v9
	s_delay_alu instid0(VALU_DEP_1)
	v_lshl_add_u64 v[36:37], v[10:11], 2, s[10:11]
	s_clause 0x1
	global_load_b128 v[10:13], v[34:35], off offset:16
	global_load_b128 v[14:17], v[34:35], off
	s_clause 0x1
	global_load_b128 v[18:21], v[36:37], off
	global_load_b128 v[22:25], v[36:37], off offset:16
	s_clause 0x1
	global_load_b128 v[26:29], v[34:35], off offset:32
	global_load_b128 v[30:33], v[34:35], off offset:48
	s_wait_loadcnt 0x3
	v_pk_fma_f32 v[0:1], v[14:15], v[18:19], v[0:1] op_sel_hi:[1,0,1]
	v_mov_b32_e32 v14, v21
	s_delay_alu instid0(VALU_DEP_2) | instskip(NEXT) | instid1(VALU_DEP_1)
	v_pk_fma_f32 v[0:1], v[16:17], v[18:19], v[0:1] op_sel:[0,1,0]
	v_pk_fma_f32 v[0:1], v[10:11], v[20:21], v[0:1] op_sel_hi:[1,0,1]
	s_wait_loadcnt 0x2
	v_mov_b32_e32 v10, v25
	s_delay_alu instid0(VALU_DEP_2) | instskip(SKIP_1) | instid1(VALU_DEP_1)
	v_pk_fma_f32 v[0:1], v[12:13], v[14:15], v[0:1] op_sel_hi:[1,0,1]
	s_wait_loadcnt 0x1
	v_pk_fma_f32 v[0:1], v[26:27], v[22:23], v[0:1] op_sel_hi:[1,0,1]
	s_delay_alu instid0(VALU_DEP_1) | instskip(SKIP_1) | instid1(VALU_DEP_1)
	v_pk_fma_f32 v[0:1], v[28:29], v[22:23], v[0:1] op_sel:[0,1,0]
	s_wait_loadcnt 0x0
	v_pk_fma_f32 v[0:1], v[30:31], v[24:25], v[0:1] op_sel_hi:[1,0,1]
	s_delay_alu instid0(VALU_DEP_1)
	v_pk_fma_f32 v[0:1], v[32:33], v[10:11], v[0:1] op_sel_hi:[1,0,1]
	s_and_not1_b32 exec_lo, exec_lo, s4
	s_cbranch_execnz .LBB33_9
; %bb.10:
	s_or_b32 exec_lo, exec_lo, s4
.LBB33_11:
	s_delay_alu instid0(SALU_CYCLE_1)
	s_or_b32 exec_lo, exec_lo, s3
	s_cbranch_execz .LBB33_13
	s_branch .LBB33_18
.LBB33_12:
                                        ; implicit-def: $vgpr1
.LBB33_13:
	v_mov_b32_e32 v1, 0
	s_delay_alu instid0(VALU_DEP_1)
	v_mov_b32_e32 v0, v1
	s_and_saveexec_b32 s3, s2
	s_cbranch_execz .LBB33_17
; %bb.14:
	v_dual_mov_b32 v5, 0 :: v_dual_lshlrev_b32 v4, 4, v7
	s_mov_b32 s2, 0
	s_delay_alu instid0(VALU_DEP_1)
	v_dual_mov_b32 v0, v5 :: v_dual_mov_b32 v1, v5
.LBB33_15:                              ; =>This Inner Loop Header: Depth=1
	global_load_b32 v8, v7, s[6:7] scale_offset
	v_lshl_add_u64 v[24:25], v[4:5], 2, s[8:9]
	v_add_nc_u32_e32 v4, 0x200, v4
	s_wait_loadcnt 0x0
	v_subrev_nc_u32_e32 v8, s16, v8
	s_delay_alu instid0(VALU_DEP_1)
	v_dual_mov_b32 v27, v5 :: v_dual_lshlrev_b32 v26, 3, v8
	s_clause 0x3
	global_load_b128 v[8:11], v[24:25], off offset:48
	global_load_b128 v[12:15], v[24:25], off offset:32
	;; [unrolled: 1-line block ×3, first 2 shown]
	global_load_b128 v[20:23], v[24:25], off
	v_add_nc_u32_e32 v7, 32, v7
	v_lshl_add_u64 v[32:33], v[26:27], 2, s[10:11]
	s_clause 0x1
	global_load_b128 v[24:27], v[32:33], off
	global_load_b128 v[28:31], v[32:33], off offset:16
	s_wait_loadcnt 0x2
	s_wait_xcnt 0x0
	v_dual_mov_b32 v33, v12 :: v_dual_mov_b32 v32, v20
	v_dual_mov_b32 v12, v21 :: v_dual_mov_b32 v20, v22
	;; [unrolled: 1-line block ×3, first 2 shown]
	s_wait_loadcnt 0x1
	s_delay_alu instid0(VALU_DEP_3) | instskip(NEXT) | instid1(VALU_DEP_1)
	v_pk_fma_f32 v[0:1], v[32:33], v[24:25], v[0:1] op_sel_hi:[1,0,1]
	v_pk_fma_f32 v[0:1], v[12:13], v[24:25], v[0:1] op_sel:[0,1,0]
	v_mov_b32_e32 v12, v27
	s_delay_alu instid0(VALU_DEP_2) | instskip(SKIP_2) | instid1(VALU_DEP_3)
	v_pk_fma_f32 v[0:1], v[20:21], v[26:27], v[0:1] op_sel_hi:[1,0,1]
	v_dual_mov_b32 v20, v16 :: v_dual_mov_b32 v21, v8
	v_mov_b32_e32 v8, v17
	v_pk_fma_f32 v[0:1], v[14:15], v[12:13], v[0:1] op_sel_hi:[1,0,1]
	v_dual_mov_b32 v12, v18 :: v_dual_mov_b32 v13, v10
	v_mov_b32_e32 v10, v19
	v_cmp_ge_i32_e32 vcc_lo, v7, v6
	s_wait_loadcnt 0x0
	v_pk_fma_f32 v[0:1], v[20:21], v[28:29], v[0:1] op_sel_hi:[1,0,1]
	s_or_b32 s2, vcc_lo, s2
	s_delay_alu instid0(VALU_DEP_1) | instskip(SKIP_1) | instid1(VALU_DEP_2)
	v_pk_fma_f32 v[0:1], v[8:9], v[28:29], v[0:1] op_sel:[0,1,0]
	v_mov_b32_e32 v8, v31
	v_pk_fma_f32 v[0:1], v[12:13], v[30:31], v[0:1] op_sel_hi:[1,0,1]
	s_delay_alu instid0(VALU_DEP_1)
	v_pk_fma_f32 v[0:1], v[10:11], v[8:9], v[0:1] op_sel_hi:[1,0,1]
	s_and_not1_b32 exec_lo, exec_lo, s2
	s_cbranch_execnz .LBB33_15
; %bb.16:
	s_or_b32 exec_lo, exec_lo, s2
.LBB33_17:
	s_delay_alu instid0(SALU_CYCLE_1)
	s_or_b32 exec_lo, exec_lo, s3
.LBB33_18:
	v_mbcnt_lo_u32_b32 v6, -1, 0
	s_mov_b32 s2, -1
	s_delay_alu instid0(VALU_DEP_1) | instskip(SKIP_1) | instid1(VALU_DEP_1)
	v_xor_b32_e32 v7, 8, v6
	v_xor_b32_e32 v4, 16, v6
	v_cmp_gt_i32_e32 vcc_lo, 32, v4
	v_cndmask_b32_e32 v4, v6, v4, vcc_lo
	s_delay_alu instid0(VALU_DEP_4) | instskip(SKIP_1) | instid1(VALU_DEP_1)
	v_cmp_gt_i32_e32 vcc_lo, 32, v7
	v_cndmask_b32_e32 v7, v6, v7, vcc_lo
	v_dual_lshlrev_b32 v7, 2, v7 :: v_dual_lshlrev_b32 v5, 2, v4
	ds_bpermute_b32 v4, v5, v0
	ds_bpermute_b32 v5, v5, v1
	s_wait_dscnt 0x0
	v_pk_add_f32 v[0:1], v[0:1], v[4:5]
	ds_bpermute_b32 v4, v7, v0
	ds_bpermute_b32 v5, v7, v1
	v_xor_b32_e32 v7, 4, v6
	s_delay_alu instid0(VALU_DEP_1) | instskip(SKIP_1) | instid1(VALU_DEP_1)
	v_cmp_gt_i32_e32 vcc_lo, 32, v7
	v_cndmask_b32_e32 v7, v6, v7, vcc_lo
	v_lshlrev_b32_e32 v7, 2, v7
	s_wait_dscnt 0x0
	v_pk_add_f32 v[0:1], v[0:1], v[4:5]
	ds_bpermute_b32 v4, v7, v0
	ds_bpermute_b32 v5, v7, v1
	v_xor_b32_e32 v7, 2, v6
	s_delay_alu instid0(VALU_DEP_1) | instskip(SKIP_1) | instid1(VALU_DEP_1)
	v_cmp_gt_i32_e32 vcc_lo, 32, v7
	v_cndmask_b32_e32 v7, v6, v7, vcc_lo
	v_lshlrev_b32_e32 v7, 2, v7
	s_wait_dscnt 0x0
	v_pk_add_f32 v[0:1], v[0:1], v[4:5]
	ds_bpermute_b32 v4, v7, v0
	ds_bpermute_b32 v5, v7, v1
	v_xor_b32_e32 v7, 1, v6
	s_delay_alu instid0(VALU_DEP_1) | instskip(SKIP_2) | instid1(VALU_DEP_2)
	v_cmp_gt_i32_e32 vcc_lo, 32, v7
	v_cndmask_b32_e32 v6, v6, v7, vcc_lo
	v_cmp_eq_u32_e32 vcc_lo, 31, v3
	v_lshlrev_b32_e32 v6, 2, v6
	s_wait_dscnt 0x0
	v_pk_add_f32 v[0:1], v[0:1], v[4:5]
	ds_bpermute_b32 v4, v6, v0
	ds_bpermute_b32 v5, v6, v1
	s_and_b32 exec_lo, exec_lo, vcc_lo
	s_cbranch_execz .LBB33_23
; %bb.19:
	s_load_b64 s[0:1], s[0:1], 0x38
	s_wait_dscnt 0x0
	v_pk_add_f32 v[0:1], v[0:1], v[4:5]
	v_lshlrev_b32_e32 v2, 1, v2
	s_cmp_eq_f32 s12, 0
	s_cbranch_scc0 .LBB33_21
; %bb.20:
	s_delay_alu instid0(VALU_DEP_1) | instskip(SKIP_3) | instid1(VALU_DEP_2)
	v_ashrrev_i32_e32 v3, 31, v2
	v_pk_mul_f32 v[6:7], s[14:15], v[0:1] op_sel_hi:[0,1]
	s_mov_b32 s2, 0
	s_wait_kmcnt 0x0
	v_lshl_add_u64 v[4:5], v[2:3], 2, s[0:1]
	global_store_b64 v[4:5], v[6:7], off
.LBB33_21:
	s_and_not1_b32 vcc_lo, exec_lo, s2
	s_cbranch_vccnz .LBB33_23
; %bb.22:
	v_ashrrev_i32_e32 v3, 31, v2
	v_pk_mul_f32 v[0:1], s[14:15], v[0:1] op_sel_hi:[0,1]
	s_wait_kmcnt 0x0
	s_delay_alu instid0(VALU_DEP_2)
	v_lshl_add_u64 v[2:3], v[2:3], 2, s[0:1]
	global_load_b64 v[4:5], v[2:3], off
	s_wait_loadcnt 0x0
	v_pk_fma_f32 v[0:1], s[12:13], v[4:5], v[0:1] op_sel_hi:[0,1,1]
	global_store_b64 v[2:3], v[0:1], off
.LBB33_23:
	s_endpgm
	.section	.rodata,"a",@progbits
	.p2align	6, 0x0
	.amdhsa_kernel _ZN9rocsparseL19gebsrmvn_2xn_kernelILj128ELj8ELj32EfEEvi20rocsparse_direction_NS_24const_host_device_scalarIT2_EEPKiS6_PKS3_S8_S4_PS3_21rocsparse_index_base_b
		.amdhsa_group_segment_fixed_size 0
		.amdhsa_private_segment_fixed_size 0
		.amdhsa_kernarg_size 72
		.amdhsa_user_sgpr_count 2
		.amdhsa_user_sgpr_dispatch_ptr 0
		.amdhsa_user_sgpr_queue_ptr 0
		.amdhsa_user_sgpr_kernarg_segment_ptr 1
		.amdhsa_user_sgpr_dispatch_id 0
		.amdhsa_user_sgpr_kernarg_preload_length 0
		.amdhsa_user_sgpr_kernarg_preload_offset 0
		.amdhsa_user_sgpr_private_segment_size 0
		.amdhsa_wavefront_size32 1
		.amdhsa_uses_dynamic_stack 0
		.amdhsa_enable_private_segment 0
		.amdhsa_system_sgpr_workgroup_id_x 1
		.amdhsa_system_sgpr_workgroup_id_y 0
		.amdhsa_system_sgpr_workgroup_id_z 0
		.amdhsa_system_sgpr_workgroup_info 0
		.amdhsa_system_vgpr_workitem_id 0
		.amdhsa_next_free_vgpr 38
		.amdhsa_next_free_sgpr 18
		.amdhsa_named_barrier_count 0
		.amdhsa_reserve_vcc 1
		.amdhsa_float_round_mode_32 0
		.amdhsa_float_round_mode_16_64 0
		.amdhsa_float_denorm_mode_32 3
		.amdhsa_float_denorm_mode_16_64 3
		.amdhsa_fp16_overflow 0
		.amdhsa_memory_ordered 1
		.amdhsa_forward_progress 1
		.amdhsa_inst_pref_size 11
		.amdhsa_round_robin_scheduling 0
		.amdhsa_exception_fp_ieee_invalid_op 0
		.amdhsa_exception_fp_denorm_src 0
		.amdhsa_exception_fp_ieee_div_zero 0
		.amdhsa_exception_fp_ieee_overflow 0
		.amdhsa_exception_fp_ieee_underflow 0
		.amdhsa_exception_fp_ieee_inexact 0
		.amdhsa_exception_int_div_zero 0
	.end_amdhsa_kernel
	.section	.text._ZN9rocsparseL19gebsrmvn_2xn_kernelILj128ELj8ELj32EfEEvi20rocsparse_direction_NS_24const_host_device_scalarIT2_EEPKiS6_PKS3_S8_S4_PS3_21rocsparse_index_base_b,"axG",@progbits,_ZN9rocsparseL19gebsrmvn_2xn_kernelILj128ELj8ELj32EfEEvi20rocsparse_direction_NS_24const_host_device_scalarIT2_EEPKiS6_PKS3_S8_S4_PS3_21rocsparse_index_base_b,comdat
.Lfunc_end33:
	.size	_ZN9rocsparseL19gebsrmvn_2xn_kernelILj128ELj8ELj32EfEEvi20rocsparse_direction_NS_24const_host_device_scalarIT2_EEPKiS6_PKS3_S8_S4_PS3_21rocsparse_index_base_b, .Lfunc_end33-_ZN9rocsparseL19gebsrmvn_2xn_kernelILj128ELj8ELj32EfEEvi20rocsparse_direction_NS_24const_host_device_scalarIT2_EEPKiS6_PKS3_S8_S4_PS3_21rocsparse_index_base_b
                                        ; -- End function
	.set _ZN9rocsparseL19gebsrmvn_2xn_kernelILj128ELj8ELj32EfEEvi20rocsparse_direction_NS_24const_host_device_scalarIT2_EEPKiS6_PKS3_S8_S4_PS3_21rocsparse_index_base_b.num_vgpr, 38
	.set _ZN9rocsparseL19gebsrmvn_2xn_kernelILj128ELj8ELj32EfEEvi20rocsparse_direction_NS_24const_host_device_scalarIT2_EEPKiS6_PKS3_S8_S4_PS3_21rocsparse_index_base_b.num_agpr, 0
	.set _ZN9rocsparseL19gebsrmvn_2xn_kernelILj128ELj8ELj32EfEEvi20rocsparse_direction_NS_24const_host_device_scalarIT2_EEPKiS6_PKS3_S8_S4_PS3_21rocsparse_index_base_b.numbered_sgpr, 18
	.set _ZN9rocsparseL19gebsrmvn_2xn_kernelILj128ELj8ELj32EfEEvi20rocsparse_direction_NS_24const_host_device_scalarIT2_EEPKiS6_PKS3_S8_S4_PS3_21rocsparse_index_base_b.num_named_barrier, 0
	.set _ZN9rocsparseL19gebsrmvn_2xn_kernelILj128ELj8ELj32EfEEvi20rocsparse_direction_NS_24const_host_device_scalarIT2_EEPKiS6_PKS3_S8_S4_PS3_21rocsparse_index_base_b.private_seg_size, 0
	.set _ZN9rocsparseL19gebsrmvn_2xn_kernelILj128ELj8ELj32EfEEvi20rocsparse_direction_NS_24const_host_device_scalarIT2_EEPKiS6_PKS3_S8_S4_PS3_21rocsparse_index_base_b.uses_vcc, 1
	.set _ZN9rocsparseL19gebsrmvn_2xn_kernelILj128ELj8ELj32EfEEvi20rocsparse_direction_NS_24const_host_device_scalarIT2_EEPKiS6_PKS3_S8_S4_PS3_21rocsparse_index_base_b.uses_flat_scratch, 0
	.set _ZN9rocsparseL19gebsrmvn_2xn_kernelILj128ELj8ELj32EfEEvi20rocsparse_direction_NS_24const_host_device_scalarIT2_EEPKiS6_PKS3_S8_S4_PS3_21rocsparse_index_base_b.has_dyn_sized_stack, 0
	.set _ZN9rocsparseL19gebsrmvn_2xn_kernelILj128ELj8ELj32EfEEvi20rocsparse_direction_NS_24const_host_device_scalarIT2_EEPKiS6_PKS3_S8_S4_PS3_21rocsparse_index_base_b.has_recursion, 0
	.set _ZN9rocsparseL19gebsrmvn_2xn_kernelILj128ELj8ELj32EfEEvi20rocsparse_direction_NS_24const_host_device_scalarIT2_EEPKiS6_PKS3_S8_S4_PS3_21rocsparse_index_base_b.has_indirect_call, 0
	.section	.AMDGPU.csdata,"",@progbits
; Kernel info:
; codeLenInByte = 1392
; TotalNumSgprs: 20
; NumVgprs: 38
; ScratchSize: 0
; MemoryBound: 0
; FloatMode: 240
; IeeeMode: 1
; LDSByteSize: 0 bytes/workgroup (compile time only)
; SGPRBlocks: 0
; VGPRBlocks: 2
; NumSGPRsForWavesPerEU: 20
; NumVGPRsForWavesPerEU: 38
; NamedBarCnt: 0
; Occupancy: 16
; WaveLimiterHint : 1
; COMPUTE_PGM_RSRC2:SCRATCH_EN: 0
; COMPUTE_PGM_RSRC2:USER_SGPR: 2
; COMPUTE_PGM_RSRC2:TRAP_HANDLER: 0
; COMPUTE_PGM_RSRC2:TGID_X_EN: 1
; COMPUTE_PGM_RSRC2:TGID_Y_EN: 0
; COMPUTE_PGM_RSRC2:TGID_Z_EN: 0
; COMPUTE_PGM_RSRC2:TIDIG_COMP_CNT: 0
	.section	.text._ZN9rocsparseL19gebsrmvn_2xn_kernelILj128ELj8ELj64EfEEvi20rocsparse_direction_NS_24const_host_device_scalarIT2_EEPKiS6_PKS3_S8_S4_PS3_21rocsparse_index_base_b,"axG",@progbits,_ZN9rocsparseL19gebsrmvn_2xn_kernelILj128ELj8ELj64EfEEvi20rocsparse_direction_NS_24const_host_device_scalarIT2_EEPKiS6_PKS3_S8_S4_PS3_21rocsparse_index_base_b,comdat
	.globl	_ZN9rocsparseL19gebsrmvn_2xn_kernelILj128ELj8ELj64EfEEvi20rocsparse_direction_NS_24const_host_device_scalarIT2_EEPKiS6_PKS3_S8_S4_PS3_21rocsparse_index_base_b ; -- Begin function _ZN9rocsparseL19gebsrmvn_2xn_kernelILj128ELj8ELj64EfEEvi20rocsparse_direction_NS_24const_host_device_scalarIT2_EEPKiS6_PKS3_S8_S4_PS3_21rocsparse_index_base_b
	.p2align	8
	.type	_ZN9rocsparseL19gebsrmvn_2xn_kernelILj128ELj8ELj64EfEEvi20rocsparse_direction_NS_24const_host_device_scalarIT2_EEPKiS6_PKS3_S8_S4_PS3_21rocsparse_index_base_b,@function
_ZN9rocsparseL19gebsrmvn_2xn_kernelILj128ELj8ELj64EfEEvi20rocsparse_direction_NS_24const_host_device_scalarIT2_EEPKiS6_PKS3_S8_S4_PS3_21rocsparse_index_base_b: ; @_ZN9rocsparseL19gebsrmvn_2xn_kernelILj128ELj8ELj64EfEEvi20rocsparse_direction_NS_24const_host_device_scalarIT2_EEPKiS6_PKS3_S8_S4_PS3_21rocsparse_index_base_b
; %bb.0:
	s_clause 0x2
	s_load_b64 s[16:17], s[0:1], 0x40
	s_load_b64 s[14:15], s[0:1], 0x8
	;; [unrolled: 1-line block ×3, first 2 shown]
	s_wait_kmcnt 0x0
	s_bitcmp1_b32 s17, 0
	s_cselect_b32 s2, -1, 0
	s_delay_alu instid0(SALU_CYCLE_1)
	s_and_b32 vcc_lo, exec_lo, s2
	s_xor_b32 s2, s2, -1
	s_cbranch_vccnz .LBB34_2
; %bb.1:
	s_load_b32 s14, s[14:15], 0x0
.LBB34_2:
	s_and_not1_b32 vcc_lo, exec_lo, s2
	s_cbranch_vccnz .LBB34_4
; %bb.3:
	s_load_b32 s12, s[12:13], 0x0
.LBB34_4:
	s_wait_kmcnt 0x0
	s_cmp_eq_f32 s14, 0
	s_cselect_b32 s2, -1, 0
	s_cmp_eq_f32 s12, 1.0
	s_cselect_b32 s3, -1, 0
	s_delay_alu instid0(SALU_CYCLE_1) | instskip(NEXT) | instid1(SALU_CYCLE_1)
	s_and_b32 s2, s2, s3
	s_and_b32 vcc_lo, exec_lo, s2
	s_cbranch_vccnz .LBB34_23
; %bb.5:
	s_load_b64 s[2:3], s[0:1], 0x0
	s_bfe_u32 s4, ttmp6, 0x4000c
	s_and_b32 s5, ttmp6, 15
	s_add_co_i32 s4, s4, 1
	s_getreg_b32 s6, hwreg(HW_REG_IB_STS2, 6, 4)
	s_mul_i32 s4, ttmp9, s4
	v_lshrrev_b32_e32 v1, 6, v0
	s_add_co_i32 s5, s5, s4
	s_cmp_eq_u32 s6, 0
	s_cselect_b32 s4, ttmp9, s5
	s_delay_alu instid0(VALU_DEP_1) | instid1(SALU_CYCLE_1)
	v_lshl_or_b32 v2, s4, 1, v1
	s_wait_kmcnt 0x0
	s_delay_alu instid0(VALU_DEP_1)
	v_cmp_gt_i32_e32 vcc_lo, s2, v2
	s_and_saveexec_b32 s2, vcc_lo
	s_cbranch_execz .LBB34_23
; %bb.6:
	s_load_b256 s[4:11], s[0:1], 0x10
	v_ashrrev_i32_e32 v3, 31, v2
	s_cmp_lg_u32 s3, 0
	s_wait_kmcnt 0x0
	s_delay_alu instid0(VALU_DEP_1)
	v_lshl_add_u64 v[4:5], v[2:3], 2, s[4:5]
	v_and_b32_e32 v3, 63, v0
	global_load_b64 v[4:5], v[4:5], off
	s_wait_loadcnt 0x0
	v_subrev_nc_u32_e32 v0, s16, v4
	v_subrev_nc_u32_e32 v6, s16, v5
	s_delay_alu instid0(VALU_DEP_2) | instskip(NEXT) | instid1(VALU_DEP_1)
	v_add_nc_u32_e32 v7, v0, v3
	v_cmp_lt_i32_e64 s2, v7, v6
	s_cbranch_scc0 .LBB34_12
; %bb.7:
	v_mov_b32_e32 v1, 0
	s_delay_alu instid0(VALU_DEP_1)
	v_mov_b32_e32 v0, v1
	s_and_saveexec_b32 s3, s2
	s_cbranch_execz .LBB34_11
; %bb.8:
	v_dual_mov_b32 v5, 0 :: v_dual_lshlrev_b32 v4, 4, v7
	v_mov_b32_e32 v8, v7
	s_mov_b32 s4, 0
	s_delay_alu instid0(VALU_DEP_2)
	v_dual_mov_b32 v0, v5 :: v_dual_mov_b32 v1, v5
.LBB34_9:                               ; =>This Inner Loop Header: Depth=1
	global_load_b32 v9, v8, s[6:7] scale_offset
	v_lshl_add_u64 v[34:35], v[4:5], 2, s[8:9]
	v_add_nc_u32_e32 v4, 0x400, v4
	s_wait_xcnt 0x0
	v_add_nc_u32_e32 v8, 64, v8
	s_delay_alu instid0(VALU_DEP_1) | instskip(SKIP_3) | instid1(VALU_DEP_1)
	v_cmp_ge_i32_e32 vcc_lo, v8, v6
	s_or_b32 s4, vcc_lo, s4
	s_wait_loadcnt 0x0
	v_subrev_nc_u32_e32 v9, s16, v9
	v_dual_mov_b32 v11, v5 :: v_dual_lshlrev_b32 v10, 3, v9
	s_delay_alu instid0(VALU_DEP_1)
	v_lshl_add_u64 v[36:37], v[10:11], 2, s[10:11]
	s_clause 0x1
	global_load_b128 v[10:13], v[34:35], off offset:16
	global_load_b128 v[14:17], v[34:35], off
	s_clause 0x1
	global_load_b128 v[18:21], v[36:37], off
	global_load_b128 v[22:25], v[36:37], off offset:16
	s_clause 0x1
	global_load_b128 v[26:29], v[34:35], off offset:32
	global_load_b128 v[30:33], v[34:35], off offset:48
	s_wait_loadcnt 0x3
	v_pk_fma_f32 v[0:1], v[14:15], v[18:19], v[0:1] op_sel_hi:[1,0,1]
	v_mov_b32_e32 v14, v21
	s_delay_alu instid0(VALU_DEP_2) | instskip(NEXT) | instid1(VALU_DEP_1)
	v_pk_fma_f32 v[0:1], v[16:17], v[18:19], v[0:1] op_sel:[0,1,0]
	v_pk_fma_f32 v[0:1], v[10:11], v[20:21], v[0:1] op_sel_hi:[1,0,1]
	s_wait_loadcnt 0x2
	v_mov_b32_e32 v10, v25
	s_delay_alu instid0(VALU_DEP_2) | instskip(SKIP_1) | instid1(VALU_DEP_1)
	v_pk_fma_f32 v[0:1], v[12:13], v[14:15], v[0:1] op_sel_hi:[1,0,1]
	s_wait_loadcnt 0x1
	v_pk_fma_f32 v[0:1], v[26:27], v[22:23], v[0:1] op_sel_hi:[1,0,1]
	s_delay_alu instid0(VALU_DEP_1) | instskip(SKIP_1) | instid1(VALU_DEP_1)
	v_pk_fma_f32 v[0:1], v[28:29], v[22:23], v[0:1] op_sel:[0,1,0]
	s_wait_loadcnt 0x0
	v_pk_fma_f32 v[0:1], v[30:31], v[24:25], v[0:1] op_sel_hi:[1,0,1]
	s_delay_alu instid0(VALU_DEP_1)
	v_pk_fma_f32 v[0:1], v[32:33], v[10:11], v[0:1] op_sel_hi:[1,0,1]
	s_and_not1_b32 exec_lo, exec_lo, s4
	s_cbranch_execnz .LBB34_9
; %bb.10:
	s_or_b32 exec_lo, exec_lo, s4
.LBB34_11:
	s_delay_alu instid0(SALU_CYCLE_1)
	s_or_b32 exec_lo, exec_lo, s3
	s_cbranch_execz .LBB34_13
	s_branch .LBB34_18
.LBB34_12:
                                        ; implicit-def: $vgpr1
.LBB34_13:
	v_mov_b32_e32 v1, 0
	s_delay_alu instid0(VALU_DEP_1)
	v_mov_b32_e32 v0, v1
	s_and_saveexec_b32 s3, s2
	s_cbranch_execz .LBB34_17
; %bb.14:
	v_dual_mov_b32 v5, 0 :: v_dual_lshlrev_b32 v4, 4, v7
	s_mov_b32 s2, 0
	s_delay_alu instid0(VALU_DEP_1)
	v_dual_mov_b32 v0, v5 :: v_dual_mov_b32 v1, v5
.LBB34_15:                              ; =>This Inner Loop Header: Depth=1
	global_load_b32 v8, v7, s[6:7] scale_offset
	v_lshl_add_u64 v[24:25], v[4:5], 2, s[8:9]
	v_add_nc_u32_e32 v4, 0x400, v4
	s_wait_loadcnt 0x0
	v_subrev_nc_u32_e32 v8, s16, v8
	s_delay_alu instid0(VALU_DEP_1)
	v_dual_mov_b32 v27, v5 :: v_dual_lshlrev_b32 v26, 3, v8
	s_clause 0x3
	global_load_b128 v[8:11], v[24:25], off offset:48
	global_load_b128 v[12:15], v[24:25], off offset:32
	;; [unrolled: 1-line block ×3, first 2 shown]
	global_load_b128 v[20:23], v[24:25], off
	v_add_nc_u32_e32 v7, 64, v7
	v_lshl_add_u64 v[32:33], v[26:27], 2, s[10:11]
	s_clause 0x1
	global_load_b128 v[24:27], v[32:33], off
	global_load_b128 v[28:31], v[32:33], off offset:16
	s_wait_loadcnt 0x2
	s_wait_xcnt 0x0
	v_dual_mov_b32 v33, v12 :: v_dual_mov_b32 v32, v20
	v_dual_mov_b32 v12, v21 :: v_dual_mov_b32 v20, v22
	;; [unrolled: 1-line block ×3, first 2 shown]
	s_wait_loadcnt 0x1
	s_delay_alu instid0(VALU_DEP_3) | instskip(NEXT) | instid1(VALU_DEP_1)
	v_pk_fma_f32 v[0:1], v[32:33], v[24:25], v[0:1] op_sel_hi:[1,0,1]
	v_pk_fma_f32 v[0:1], v[12:13], v[24:25], v[0:1] op_sel:[0,1,0]
	v_mov_b32_e32 v12, v27
	s_delay_alu instid0(VALU_DEP_2) | instskip(SKIP_2) | instid1(VALU_DEP_3)
	v_pk_fma_f32 v[0:1], v[20:21], v[26:27], v[0:1] op_sel_hi:[1,0,1]
	v_dual_mov_b32 v20, v16 :: v_dual_mov_b32 v21, v8
	v_mov_b32_e32 v8, v17
	v_pk_fma_f32 v[0:1], v[14:15], v[12:13], v[0:1] op_sel_hi:[1,0,1]
	v_dual_mov_b32 v12, v18 :: v_dual_mov_b32 v13, v10
	v_mov_b32_e32 v10, v19
	v_cmp_ge_i32_e32 vcc_lo, v7, v6
	s_wait_loadcnt 0x0
	v_pk_fma_f32 v[0:1], v[20:21], v[28:29], v[0:1] op_sel_hi:[1,0,1]
	s_or_b32 s2, vcc_lo, s2
	s_delay_alu instid0(VALU_DEP_1) | instskip(SKIP_1) | instid1(VALU_DEP_2)
	v_pk_fma_f32 v[0:1], v[8:9], v[28:29], v[0:1] op_sel:[0,1,0]
	v_mov_b32_e32 v8, v31
	v_pk_fma_f32 v[0:1], v[12:13], v[30:31], v[0:1] op_sel_hi:[1,0,1]
	s_delay_alu instid0(VALU_DEP_1)
	v_pk_fma_f32 v[0:1], v[10:11], v[8:9], v[0:1] op_sel_hi:[1,0,1]
	s_and_not1_b32 exec_lo, exec_lo, s2
	s_cbranch_execnz .LBB34_15
; %bb.16:
	s_or_b32 exec_lo, exec_lo, s2
.LBB34_17:
	s_delay_alu instid0(SALU_CYCLE_1)
	s_or_b32 exec_lo, exec_lo, s3
.LBB34_18:
	v_mbcnt_lo_u32_b32 v6, -1, 0
	s_mov_b32 s2, -1
	s_delay_alu instid0(VALU_DEP_1) | instskip(SKIP_1) | instid1(VALU_DEP_1)
	v_xor_b32_e32 v7, 16, v6
	v_or_b32_e32 v4, 32, v6
	v_cmp_gt_i32_e32 vcc_lo, 32, v4
	v_cndmask_b32_e32 v4, v6, v4, vcc_lo
	s_delay_alu instid0(VALU_DEP_4) | instskip(SKIP_1) | instid1(VALU_DEP_1)
	v_cmp_gt_i32_e32 vcc_lo, 32, v7
	v_cndmask_b32_e32 v7, v6, v7, vcc_lo
	v_dual_lshlrev_b32 v7, 2, v7 :: v_dual_lshlrev_b32 v5, 2, v4
	ds_bpermute_b32 v4, v5, v0
	ds_bpermute_b32 v5, v5, v1
	s_wait_dscnt 0x0
	v_pk_add_f32 v[0:1], v[0:1], v[4:5]
	ds_bpermute_b32 v4, v7, v0
	ds_bpermute_b32 v5, v7, v1
	v_xor_b32_e32 v7, 8, v6
	s_delay_alu instid0(VALU_DEP_1) | instskip(SKIP_1) | instid1(VALU_DEP_1)
	v_cmp_gt_i32_e32 vcc_lo, 32, v7
	v_cndmask_b32_e32 v7, v6, v7, vcc_lo
	v_lshlrev_b32_e32 v7, 2, v7
	s_wait_dscnt 0x0
	v_pk_add_f32 v[0:1], v[0:1], v[4:5]
	ds_bpermute_b32 v4, v7, v0
	ds_bpermute_b32 v5, v7, v1
	v_xor_b32_e32 v7, 4, v6
	s_delay_alu instid0(VALU_DEP_1) | instskip(SKIP_1) | instid1(VALU_DEP_1)
	v_cmp_gt_i32_e32 vcc_lo, 32, v7
	v_cndmask_b32_e32 v7, v6, v7, vcc_lo
	v_lshlrev_b32_e32 v7, 2, v7
	;; [unrolled: 9-line block ×3, first 2 shown]
	s_wait_dscnt 0x0
	v_pk_add_f32 v[0:1], v[0:1], v[4:5]
	ds_bpermute_b32 v4, v7, v0
	ds_bpermute_b32 v5, v7, v1
	v_xor_b32_e32 v7, 1, v6
	s_delay_alu instid0(VALU_DEP_1) | instskip(SKIP_2) | instid1(VALU_DEP_2)
	v_cmp_gt_i32_e32 vcc_lo, 32, v7
	v_cndmask_b32_e32 v6, v6, v7, vcc_lo
	v_cmp_eq_u32_e32 vcc_lo, 63, v3
	v_lshlrev_b32_e32 v6, 2, v6
	s_wait_dscnt 0x0
	v_pk_add_f32 v[0:1], v[0:1], v[4:5]
	ds_bpermute_b32 v4, v6, v0
	ds_bpermute_b32 v5, v6, v1
	s_and_b32 exec_lo, exec_lo, vcc_lo
	s_cbranch_execz .LBB34_23
; %bb.19:
	s_load_b64 s[0:1], s[0:1], 0x38
	s_wait_dscnt 0x0
	v_pk_add_f32 v[0:1], v[0:1], v[4:5]
	v_lshlrev_b32_e32 v2, 1, v2
	s_cmp_eq_f32 s12, 0
	s_cbranch_scc0 .LBB34_21
; %bb.20:
	s_delay_alu instid0(VALU_DEP_1) | instskip(SKIP_3) | instid1(VALU_DEP_2)
	v_ashrrev_i32_e32 v3, 31, v2
	v_pk_mul_f32 v[6:7], s[14:15], v[0:1] op_sel_hi:[0,1]
	s_mov_b32 s2, 0
	s_wait_kmcnt 0x0
	v_lshl_add_u64 v[4:5], v[2:3], 2, s[0:1]
	global_store_b64 v[4:5], v[6:7], off
.LBB34_21:
	s_and_not1_b32 vcc_lo, exec_lo, s2
	s_cbranch_vccnz .LBB34_23
; %bb.22:
	v_ashrrev_i32_e32 v3, 31, v2
	v_pk_mul_f32 v[0:1], s[14:15], v[0:1] op_sel_hi:[0,1]
	s_wait_kmcnt 0x0
	s_delay_alu instid0(VALU_DEP_2)
	v_lshl_add_u64 v[2:3], v[2:3], 2, s[0:1]
	global_load_b64 v[4:5], v[2:3], off
	s_wait_loadcnt 0x0
	v_pk_fma_f32 v[0:1], s[12:13], v[4:5], v[0:1] op_sel_hi:[0,1,1]
	global_store_b64 v[2:3], v[0:1], off
.LBB34_23:
	s_endpgm
	.section	.rodata,"a",@progbits
	.p2align	6, 0x0
	.amdhsa_kernel _ZN9rocsparseL19gebsrmvn_2xn_kernelILj128ELj8ELj64EfEEvi20rocsparse_direction_NS_24const_host_device_scalarIT2_EEPKiS6_PKS3_S8_S4_PS3_21rocsparse_index_base_b
		.amdhsa_group_segment_fixed_size 0
		.amdhsa_private_segment_fixed_size 0
		.amdhsa_kernarg_size 72
		.amdhsa_user_sgpr_count 2
		.amdhsa_user_sgpr_dispatch_ptr 0
		.amdhsa_user_sgpr_queue_ptr 0
		.amdhsa_user_sgpr_kernarg_segment_ptr 1
		.amdhsa_user_sgpr_dispatch_id 0
		.amdhsa_user_sgpr_kernarg_preload_length 0
		.amdhsa_user_sgpr_kernarg_preload_offset 0
		.amdhsa_user_sgpr_private_segment_size 0
		.amdhsa_wavefront_size32 1
		.amdhsa_uses_dynamic_stack 0
		.amdhsa_enable_private_segment 0
		.amdhsa_system_sgpr_workgroup_id_x 1
		.amdhsa_system_sgpr_workgroup_id_y 0
		.amdhsa_system_sgpr_workgroup_id_z 0
		.amdhsa_system_sgpr_workgroup_info 0
		.amdhsa_system_vgpr_workitem_id 0
		.amdhsa_next_free_vgpr 38
		.amdhsa_next_free_sgpr 18
		.amdhsa_named_barrier_count 0
		.amdhsa_reserve_vcc 1
		.amdhsa_float_round_mode_32 0
		.amdhsa_float_round_mode_16_64 0
		.amdhsa_float_denorm_mode_32 3
		.amdhsa_float_denorm_mode_16_64 3
		.amdhsa_fp16_overflow 0
		.amdhsa_memory_ordered 1
		.amdhsa_forward_progress 1
		.amdhsa_inst_pref_size 12
		.amdhsa_round_robin_scheduling 0
		.amdhsa_exception_fp_ieee_invalid_op 0
		.amdhsa_exception_fp_denorm_src 0
		.amdhsa_exception_fp_ieee_div_zero 0
		.amdhsa_exception_fp_ieee_overflow 0
		.amdhsa_exception_fp_ieee_underflow 0
		.amdhsa_exception_fp_ieee_inexact 0
		.amdhsa_exception_int_div_zero 0
	.end_amdhsa_kernel
	.section	.text._ZN9rocsparseL19gebsrmvn_2xn_kernelILj128ELj8ELj64EfEEvi20rocsparse_direction_NS_24const_host_device_scalarIT2_EEPKiS6_PKS3_S8_S4_PS3_21rocsparse_index_base_b,"axG",@progbits,_ZN9rocsparseL19gebsrmvn_2xn_kernelILj128ELj8ELj64EfEEvi20rocsparse_direction_NS_24const_host_device_scalarIT2_EEPKiS6_PKS3_S8_S4_PS3_21rocsparse_index_base_b,comdat
.Lfunc_end34:
	.size	_ZN9rocsparseL19gebsrmvn_2xn_kernelILj128ELj8ELj64EfEEvi20rocsparse_direction_NS_24const_host_device_scalarIT2_EEPKiS6_PKS3_S8_S4_PS3_21rocsparse_index_base_b, .Lfunc_end34-_ZN9rocsparseL19gebsrmvn_2xn_kernelILj128ELj8ELj64EfEEvi20rocsparse_direction_NS_24const_host_device_scalarIT2_EEPKiS6_PKS3_S8_S4_PS3_21rocsparse_index_base_b
                                        ; -- End function
	.set _ZN9rocsparseL19gebsrmvn_2xn_kernelILj128ELj8ELj64EfEEvi20rocsparse_direction_NS_24const_host_device_scalarIT2_EEPKiS6_PKS3_S8_S4_PS3_21rocsparse_index_base_b.num_vgpr, 38
	.set _ZN9rocsparseL19gebsrmvn_2xn_kernelILj128ELj8ELj64EfEEvi20rocsparse_direction_NS_24const_host_device_scalarIT2_EEPKiS6_PKS3_S8_S4_PS3_21rocsparse_index_base_b.num_agpr, 0
	.set _ZN9rocsparseL19gebsrmvn_2xn_kernelILj128ELj8ELj64EfEEvi20rocsparse_direction_NS_24const_host_device_scalarIT2_EEPKiS6_PKS3_S8_S4_PS3_21rocsparse_index_base_b.numbered_sgpr, 18
	.set _ZN9rocsparseL19gebsrmvn_2xn_kernelILj128ELj8ELj64EfEEvi20rocsparse_direction_NS_24const_host_device_scalarIT2_EEPKiS6_PKS3_S8_S4_PS3_21rocsparse_index_base_b.num_named_barrier, 0
	.set _ZN9rocsparseL19gebsrmvn_2xn_kernelILj128ELj8ELj64EfEEvi20rocsparse_direction_NS_24const_host_device_scalarIT2_EEPKiS6_PKS3_S8_S4_PS3_21rocsparse_index_base_b.private_seg_size, 0
	.set _ZN9rocsparseL19gebsrmvn_2xn_kernelILj128ELj8ELj64EfEEvi20rocsparse_direction_NS_24const_host_device_scalarIT2_EEPKiS6_PKS3_S8_S4_PS3_21rocsparse_index_base_b.uses_vcc, 1
	.set _ZN9rocsparseL19gebsrmvn_2xn_kernelILj128ELj8ELj64EfEEvi20rocsparse_direction_NS_24const_host_device_scalarIT2_EEPKiS6_PKS3_S8_S4_PS3_21rocsparse_index_base_b.uses_flat_scratch, 0
	.set _ZN9rocsparseL19gebsrmvn_2xn_kernelILj128ELj8ELj64EfEEvi20rocsparse_direction_NS_24const_host_device_scalarIT2_EEPKiS6_PKS3_S8_S4_PS3_21rocsparse_index_base_b.has_dyn_sized_stack, 0
	.set _ZN9rocsparseL19gebsrmvn_2xn_kernelILj128ELj8ELj64EfEEvi20rocsparse_direction_NS_24const_host_device_scalarIT2_EEPKiS6_PKS3_S8_S4_PS3_21rocsparse_index_base_b.has_recursion, 0
	.set _ZN9rocsparseL19gebsrmvn_2xn_kernelILj128ELj8ELj64EfEEvi20rocsparse_direction_NS_24const_host_device_scalarIT2_EEPKiS6_PKS3_S8_S4_PS3_21rocsparse_index_base_b.has_indirect_call, 0
	.section	.AMDGPU.csdata,"",@progbits
; Kernel info:
; codeLenInByte = 1440
; TotalNumSgprs: 20
; NumVgprs: 38
; ScratchSize: 0
; MemoryBound: 0
; FloatMode: 240
; IeeeMode: 1
; LDSByteSize: 0 bytes/workgroup (compile time only)
; SGPRBlocks: 0
; VGPRBlocks: 2
; NumSGPRsForWavesPerEU: 20
; NumVGPRsForWavesPerEU: 38
; NamedBarCnt: 0
; Occupancy: 16
; WaveLimiterHint : 1
; COMPUTE_PGM_RSRC2:SCRATCH_EN: 0
; COMPUTE_PGM_RSRC2:USER_SGPR: 2
; COMPUTE_PGM_RSRC2:TRAP_HANDLER: 0
; COMPUTE_PGM_RSRC2:TGID_X_EN: 1
; COMPUTE_PGM_RSRC2:TGID_Y_EN: 0
; COMPUTE_PGM_RSRC2:TGID_Z_EN: 0
; COMPUTE_PGM_RSRC2:TIDIG_COMP_CNT: 0
	.section	.text._ZN9rocsparseL19gebsrmvn_2xn_kernelILj128ELj9ELj4EfEEvi20rocsparse_direction_NS_24const_host_device_scalarIT2_EEPKiS6_PKS3_S8_S4_PS3_21rocsparse_index_base_b,"axG",@progbits,_ZN9rocsparseL19gebsrmvn_2xn_kernelILj128ELj9ELj4EfEEvi20rocsparse_direction_NS_24const_host_device_scalarIT2_EEPKiS6_PKS3_S8_S4_PS3_21rocsparse_index_base_b,comdat
	.globl	_ZN9rocsparseL19gebsrmvn_2xn_kernelILj128ELj9ELj4EfEEvi20rocsparse_direction_NS_24const_host_device_scalarIT2_EEPKiS6_PKS3_S8_S4_PS3_21rocsparse_index_base_b ; -- Begin function _ZN9rocsparseL19gebsrmvn_2xn_kernelILj128ELj9ELj4EfEEvi20rocsparse_direction_NS_24const_host_device_scalarIT2_EEPKiS6_PKS3_S8_S4_PS3_21rocsparse_index_base_b
	.p2align	8
	.type	_ZN9rocsparseL19gebsrmvn_2xn_kernelILj128ELj9ELj4EfEEvi20rocsparse_direction_NS_24const_host_device_scalarIT2_EEPKiS6_PKS3_S8_S4_PS3_21rocsparse_index_base_b,@function
_ZN9rocsparseL19gebsrmvn_2xn_kernelILj128ELj9ELj4EfEEvi20rocsparse_direction_NS_24const_host_device_scalarIT2_EEPKiS6_PKS3_S8_S4_PS3_21rocsparse_index_base_b: ; @_ZN9rocsparseL19gebsrmvn_2xn_kernelILj128ELj9ELj4EfEEvi20rocsparse_direction_NS_24const_host_device_scalarIT2_EEPKiS6_PKS3_S8_S4_PS3_21rocsparse_index_base_b
; %bb.0:
	s_clause 0x2
	s_load_b64 s[16:17], s[0:1], 0x40
	s_load_b64 s[14:15], s[0:1], 0x8
	;; [unrolled: 1-line block ×3, first 2 shown]
	s_wait_kmcnt 0x0
	s_bitcmp1_b32 s17, 0
	s_cselect_b32 s2, -1, 0
	s_delay_alu instid0(SALU_CYCLE_1)
	s_and_b32 vcc_lo, exec_lo, s2
	s_xor_b32 s2, s2, -1
	s_cbranch_vccnz .LBB35_2
; %bb.1:
	s_load_b32 s14, s[14:15], 0x0
.LBB35_2:
	s_and_not1_b32 vcc_lo, exec_lo, s2
	s_cbranch_vccnz .LBB35_4
; %bb.3:
	s_load_b32 s12, s[12:13], 0x0
.LBB35_4:
	s_wait_kmcnt 0x0
	s_cmp_eq_f32 s14, 0
	s_cselect_b32 s2, -1, 0
	s_cmp_eq_f32 s12, 1.0
	s_cselect_b32 s3, -1, 0
	s_delay_alu instid0(SALU_CYCLE_1) | instskip(NEXT) | instid1(SALU_CYCLE_1)
	s_and_b32 s2, s2, s3
	s_and_b32 vcc_lo, exec_lo, s2
	s_cbranch_vccnz .LBB35_23
; %bb.5:
	s_load_b64 s[2:3], s[0:1], 0x0
	s_bfe_u32 s4, ttmp6, 0x4000c
	s_and_b32 s5, ttmp6, 15
	s_add_co_i32 s4, s4, 1
	s_getreg_b32 s6, hwreg(HW_REG_IB_STS2, 6, 4)
	s_mul_i32 s4, ttmp9, s4
	v_lshrrev_b32_e32 v1, 2, v0
	s_add_co_i32 s5, s5, s4
	s_cmp_eq_u32 s6, 0
	s_cselect_b32 s4, ttmp9, s5
	s_delay_alu instid0(VALU_DEP_1) | instid1(SALU_CYCLE_1)
	v_lshl_or_b32 v2, s4, 5, v1
	s_wait_kmcnt 0x0
	s_delay_alu instid0(VALU_DEP_1)
	v_cmp_gt_i32_e32 vcc_lo, s2, v2
	s_and_saveexec_b32 s2, vcc_lo
	s_cbranch_execz .LBB35_23
; %bb.6:
	s_load_b256 s[4:11], s[0:1], 0x10
	v_ashrrev_i32_e32 v3, 31, v2
	s_cmp_lg_u32 s3, 0
	s_wait_kmcnt 0x0
	s_delay_alu instid0(VALU_DEP_1)
	v_lshl_add_u64 v[4:5], v[2:3], 2, s[4:5]
	v_and_b32_e32 v3, 3, v0
	global_load_b64 v[4:5], v[4:5], off
	s_wait_loadcnt 0x0
	v_subrev_nc_u32_e32 v0, s16, v4
	v_subrev_nc_u32_e32 v8, s16, v5
	s_delay_alu instid0(VALU_DEP_2) | instskip(NEXT) | instid1(VALU_DEP_1)
	v_add_nc_u32_e32 v9, v0, v3
	v_cmp_lt_i32_e64 s2, v9, v8
	s_cbranch_scc0 .LBB35_12
; %bb.7:
	v_mov_b32_e32 v1, 0
	s_delay_alu instid0(VALU_DEP_1)
	v_mov_b32_e32 v0, v1
	s_and_saveexec_b32 s3, s2
	s_cbranch_execz .LBB35_11
; %bb.8:
	v_mad_u32 v4, v9, 18, 16
	v_dual_mov_b32 v7, 0 :: v_dual_mov_b32 v10, v9
	s_mov_b32 s4, 0
	s_delay_alu instid0(VALU_DEP_1)
	v_dual_mov_b32 v0, v7 :: v_dual_mov_b32 v1, v7
.LBB35_9:                               ; =>This Inner Loop Header: Depth=1
	global_load_b32 v5, v10, s[6:7] scale_offset
	s_wait_xcnt 0x0
	v_add_nc_u32_e32 v10, 4, v10
	s_delay_alu instid0(VALU_DEP_1) | instskip(SKIP_3) | instid1(VALU_DEP_1)
	v_cmp_ge_i32_e32 vcc_lo, v10, v8
	s_or_b32 s4, vcc_lo, s4
	s_wait_loadcnt 0x0
	v_subrev_nc_u32_e32 v5, s16, v5
	v_lshl_add_u32 v11, v5, 3, v5
	s_delay_alu instid0(VALU_DEP_1) | instskip(NEXT) | instid1(VALU_DEP_1)
	v_dual_add_nc_u32 v6, -16, v4 :: v_dual_add_nc_u32 v5, 1, v11
	v_lshl_add_u64 v[12:13], v[6:7], 2, s[8:9]
	v_dual_add_nc_u32 v6, -14, v4 :: v_dual_add_nc_u32 v21, 2, v11
	v_add_nc_u32_e32 v23, 7, v11
	s_delay_alu instid0(VALU_DEP_2)
	v_lshl_add_u64 v[14:15], v[6:7], 2, s[8:9]
	v_add_nc_u32_e32 v6, -12, v4
	s_clause 0x1
	global_load_b64 v[16:17], v[12:13], off
	global_load_b64 v[18:19], v[14:15], off
	s_clause 0x1
	global_load_b32 v20, v11, s[10:11] scale_offset
	global_load_b32 v22, v5, s[10:11] scale_offset
	s_wait_xcnt 0x0
	v_add_nc_u32_e32 v5, 3, v11
	v_lshl_add_u64 v[12:13], v[6:7], 2, s[8:9]
	s_clause 0x1
	global_load_b32 v26, v21, s[10:11] scale_offset
	global_load_b32 v28, v5, s[10:11] scale_offset
	s_wait_xcnt 0x1
	v_dual_add_nc_u32 v6, -10, v4 :: v_dual_add_nc_u32 v21, 4, v11
	global_load_b64 v[12:13], v[12:13], off
	s_wait_xcnt 0x1
	v_add_nc_u32_e32 v5, 5, v11
	v_lshl_add_u64 v[14:15], v[6:7], 2, s[8:9]
	v_add_nc_u32_e32 v6, -8, v4
	global_load_b64 v[14:15], v[14:15], off
	v_lshl_add_u64 v[24:25], v[6:7], 2, s[8:9]
	v_add_nc_u32_e32 v6, -6, v4
	global_load_b64 v[24:25], v[24:25], off
	v_lshl_add_u64 v[30:31], v[6:7], 2, s[8:9]
	v_add_nc_u32_e32 v6, -4, v4
	global_load_b32 v32, v21, s[10:11] scale_offset
	global_load_b64 v[34:35], v[30:31], off
	s_wait_xcnt 0x1
	v_add_nc_u32_e32 v21, 6, v11
	s_wait_xcnt 0x0
	v_lshl_add_u64 v[30:31], v[6:7], 2, s[8:9]
	v_add_nc_u32_e32 v6, -2, v4
	global_load_b32 v36, v5, s[10:11] scale_offset
	global_load_b64 v[30:31], v[30:31], off
	v_lshl_add_u64 v[38:39], v[6:7], 2, s[8:9]
	global_load_b32 v6, v21, s[10:11] scale_offset
	s_wait_xcnt 0x2
	v_mov_b32_e32 v5, v7
	global_load_b64 v[38:39], v[38:39], off
	v_lshl_add_u64 v[40:41], v[4:5], 2, s[8:9]
	v_add_nc_u32_e32 v5, 8, v11
	global_load_b32 v42, v23, s[10:11] scale_offset
	global_load_b64 v[44:45], v[40:41], off
	global_load_b32 v46, v5, s[10:11] scale_offset
	v_add_nc_u32_e32 v4, 0x48, v4
	s_wait_loadcnt 0xf
	v_pk_fma_f32 v[0:1], v[16:17], v[20:21], v[0:1] op_sel_hi:[1,0,1]
	s_wait_loadcnt 0xe
	s_delay_alu instid0(VALU_DEP_1) | instskip(SKIP_1) | instid1(VALU_DEP_1)
	v_pk_fma_f32 v[0:1], v[18:19], v[22:23], v[0:1] op_sel_hi:[1,0,1]
	s_wait_loadcnt 0xb
	v_pk_fma_f32 v[0:1], v[12:13], v[26:27], v[0:1] op_sel_hi:[1,0,1]
	s_wait_loadcnt 0xa
	s_delay_alu instid0(VALU_DEP_1) | instskip(SKIP_1) | instid1(VALU_DEP_1)
	v_pk_fma_f32 v[0:1], v[14:15], v[28:29], v[0:1] op_sel_hi:[1,0,1]
	;; [unrolled: 5-line block ×4, first 2 shown]
	s_wait_loadcnt 0x0
	v_pk_fma_f32 v[0:1], v[44:45], v[46:47], v[0:1] op_sel_hi:[1,0,1]
	s_and_not1_b32 exec_lo, exec_lo, s4
	s_cbranch_execnz .LBB35_9
; %bb.10:
	s_or_b32 exec_lo, exec_lo, s4
.LBB35_11:
	s_delay_alu instid0(SALU_CYCLE_1)
	s_or_b32 exec_lo, exec_lo, s3
	s_cbranch_execz .LBB35_13
	s_branch .LBB35_18
.LBB35_12:
                                        ; implicit-def: $vgpr1
.LBB35_13:
	v_mov_b32_e32 v1, 0
	s_delay_alu instid0(VALU_DEP_1)
	v_mov_b32_e32 v0, v1
	s_and_saveexec_b32 s3, s2
	s_cbranch_execz .LBB35_17
; %bb.14:
	v_mad_u32 v6, v9, 18, 17
	v_mov_b32_e32 v5, 0
	s_mov_b32 s2, 0
	s_delay_alu instid0(VALU_DEP_1)
	v_dual_mov_b32 v0, v5 :: v_dual_mov_b32 v1, v5
.LBB35_15:                              ; =>This Inner Loop Header: Depth=1
	global_load_b32 v7, v9, s[6:7] scale_offset
	v_subrev_nc_u32_e32 v4, 17, v6
	v_dual_add_nc_u32 v12, -8, v6 :: v_dual_add_nc_u32 v14, -7, v6
	v_dual_add_nc_u32 v17, -15, v6 :: v_dual_add_nc_u32 v21, -14, v6
	v_add_nc_u32_e32 v24, -5, v6
	s_delay_alu instid0(VALU_DEP_4)
	v_lshl_add_u64 v[10:11], v[4:5], 2, s[8:9]
	v_dual_add_nc_u32 v29, -4, v6 :: v_dual_add_nc_u32 v32, -12, v6
	s_wait_xcnt 0x0
	v_add_nc_u32_e32 v9, 4, v9
	global_load_b64 v[10:11], v[10:11], off
	v_cmp_ge_i32_e32 vcc_lo, v9, v8
	s_or_b32 s2, vcc_lo, s2
	s_wait_loadcnt 0x1
	v_subrev_nc_u32_e32 v4, s16, v7
	v_add_nc_u32_e32 v7, -6, v6
	s_delay_alu instid0(VALU_DEP_2)
	v_lshl_add_u32 v25, v4, 3, v4
	v_add_nc_u32_e32 v28, -13, v6
	global_load_b32 v13, v12, s[8:9] scale_offset
	global_load_b32 v4, v25, s[10:11] scale_offset
	s_wait_xcnt 0x1
	v_add_nc_u32_e32 v12, 1, v25
	global_load_b32 v15, v14, s[8:9] scale_offset
	s_wait_xcnt 0x0
	v_add_nc_u32_e32 v14, 2, v25
	global_load_b32 v16, v12, s[10:11] scale_offset
	s_wait_xcnt 0x0
	v_add_nc_u32_e32 v12, -3, v6
	s_clause 0x1
	global_load_b32 v18, v17, s[8:9] scale_offset
	global_load_b32 v19, v7, s[8:9] scale_offset
	s_wait_xcnt 0x0
	v_add_nc_u32_e32 v7, 3, v25
	global_load_b32 v20, v14, s[10:11] scale_offset
	s_wait_xcnt 0x0
	v_add_nc_u32_e32 v14, -11, v6
	s_clause 0x1
	global_load_b32 v22, v21, s[8:9] scale_offset
	global_load_b32 v23, v24, s[8:9] scale_offset
	v_add_nc_u32_e32 v17, 4, v25
	global_load_b32 v24, v7, s[10:11] scale_offset
	s_wait_xcnt 0x0
	v_add_nc_u32_e32 v7, -2, v6
	s_clause 0x1
	global_load_b32 v26, v28, s[8:9] scale_offset
	global_load_b32 v27, v29, s[8:9] scale_offset
	v_add_nc_u32_e32 v21, 5, v25
	global_load_b32 v28, v17, s[10:11] scale_offset
	s_wait_xcnt 0x0
	v_add_nc_u32_e32 v17, -10, v6
	s_clause 0x1
	global_load_b32 v30, v32, s[8:9] scale_offset
	global_load_b32 v31, v12, s[8:9] scale_offset
	s_wait_xcnt 0x0
	v_add_nc_u32_e32 v12, 6, v25
	global_load_b32 v32, v21, s[10:11] scale_offset
	s_wait_xcnt 0x0
	v_add_nc_u32_e32 v21, -1, v6
	s_clause 0x1
	global_load_b32 v34, v14, s[8:9] scale_offset
	global_load_b32 v35, v7, s[8:9] scale_offset
	s_wait_xcnt 0x0
	v_add_nc_u32_e32 v7, 7, v25
	global_load_b32 v36, v12, s[10:11] scale_offset
	s_wait_xcnt 0x0
	v_add_nc_u32_e32 v12, -9, v6
	s_clause 0x1
	global_load_b32 v38, v17, s[8:9] scale_offset
	global_load_b32 v39, v21, s[8:9] scale_offset
	v_add_nc_u32_e32 v14, 8, v25
	global_load_b32 v40, v7, s[10:11] scale_offset
	s_clause 0x1
	global_load_b32 v43, v6, s[8:9] scale_offset
	global_load_b32 v42, v12, s[8:9] scale_offset
	;; [unrolled: 1-line block ×3, first 2 shown]
	s_wait_loadcnt 0x19
	s_wait_xcnt 0x0
	v_dual_mov_b32 v12, v10 :: v_dual_mov_b32 v14, v11
	v_add_nc_u32_e32 v6, 0x48, v6
	s_wait_loadcnt 0x17
	s_delay_alu instid0(VALU_DEP_2) | instskip(SKIP_1) | instid1(VALU_DEP_1)
	v_pk_fma_f32 v[0:1], v[12:13], v[4:5], v[0:1] op_sel_hi:[1,0,1]
	s_wait_loadcnt 0x15
	v_pk_fma_f32 v[0:1], v[14:15], v[16:17], v[0:1] op_sel_hi:[1,0,1]
	s_wait_loadcnt 0x12
	s_delay_alu instid0(VALU_DEP_1) | instskip(SKIP_1) | instid1(VALU_DEP_1)
	v_pk_fma_f32 v[0:1], v[18:19], v[20:21], v[0:1] op_sel_hi:[1,0,1]
	s_wait_loadcnt 0xf
	v_pk_fma_f32 v[0:1], v[22:23], v[24:25], v[0:1] op_sel_hi:[1,0,1]
	s_wait_loadcnt 0xc
	s_delay_alu instid0(VALU_DEP_1) | instskip(SKIP_1) | instid1(VALU_DEP_1)
	;; [unrolled: 5-line block ×3, first 2 shown]
	v_pk_fma_f32 v[0:1], v[34:35], v[36:37], v[0:1] op_sel_hi:[1,0,1]
	s_wait_loadcnt 0x3
	v_pk_fma_f32 v[0:1], v[38:39], v[40:41], v[0:1] op_sel_hi:[1,0,1]
	s_wait_loadcnt 0x0
	s_delay_alu instid0(VALU_DEP_1)
	v_pk_fma_f32 v[0:1], v[42:43], v[44:45], v[0:1] op_sel_hi:[1,0,1]
	s_and_not1_b32 exec_lo, exec_lo, s2
	s_cbranch_execnz .LBB35_15
; %bb.16:
	s_or_b32 exec_lo, exec_lo, s2
.LBB35_17:
	s_delay_alu instid0(SALU_CYCLE_1)
	s_or_b32 exec_lo, exec_lo, s3
.LBB35_18:
	v_mbcnt_lo_u32_b32 v6, -1, 0
	s_mov_b32 s2, -1
	s_delay_alu instid0(VALU_DEP_1) | instskip(SKIP_1) | instid1(VALU_DEP_1)
	v_xor_b32_e32 v7, 1, v6
	v_xor_b32_e32 v4, 2, v6
	v_cmp_gt_i32_e32 vcc_lo, 32, v4
	v_cndmask_b32_e32 v4, v6, v4, vcc_lo
	s_delay_alu instid0(VALU_DEP_4) | instskip(SKIP_2) | instid1(VALU_DEP_2)
	v_cmp_gt_i32_e32 vcc_lo, 32, v7
	v_cndmask_b32_e32 v6, v6, v7, vcc_lo
	v_cmp_eq_u32_e32 vcc_lo, 3, v3
	v_dual_lshlrev_b32 v6, 2, v6 :: v_dual_lshlrev_b32 v5, 2, v4
	ds_bpermute_b32 v4, v5, v0
	ds_bpermute_b32 v5, v5, v1
	s_wait_dscnt 0x0
	v_pk_add_f32 v[0:1], v[0:1], v[4:5]
	ds_bpermute_b32 v4, v6, v0
	ds_bpermute_b32 v5, v6, v1
	s_and_b32 exec_lo, exec_lo, vcc_lo
	s_cbranch_execz .LBB35_23
; %bb.19:
	s_load_b64 s[0:1], s[0:1], 0x38
	s_wait_dscnt 0x0
	v_pk_add_f32 v[0:1], v[0:1], v[4:5]
	v_lshlrev_b32_e32 v2, 1, v2
	s_cmp_eq_f32 s12, 0
	s_cbranch_scc0 .LBB35_21
; %bb.20:
	s_delay_alu instid0(VALU_DEP_1) | instskip(SKIP_3) | instid1(VALU_DEP_2)
	v_ashrrev_i32_e32 v3, 31, v2
	v_pk_mul_f32 v[6:7], s[14:15], v[0:1] op_sel_hi:[0,1]
	s_mov_b32 s2, 0
	s_wait_kmcnt 0x0
	v_lshl_add_u64 v[4:5], v[2:3], 2, s[0:1]
	global_store_b64 v[4:5], v[6:7], off
.LBB35_21:
	s_and_not1_b32 vcc_lo, exec_lo, s2
	s_cbranch_vccnz .LBB35_23
; %bb.22:
	v_ashrrev_i32_e32 v3, 31, v2
	v_pk_mul_f32 v[0:1], s[14:15], v[0:1] op_sel_hi:[0,1]
	s_wait_kmcnt 0x0
	s_delay_alu instid0(VALU_DEP_2)
	v_lshl_add_u64 v[2:3], v[2:3], 2, s[0:1]
	global_load_b64 v[4:5], v[2:3], off
	s_wait_loadcnt 0x0
	v_pk_fma_f32 v[0:1], s[12:13], v[4:5], v[0:1] op_sel_hi:[0,1,1]
	global_store_b64 v[2:3], v[0:1], off
.LBB35_23:
	s_endpgm
	.section	.rodata,"a",@progbits
	.p2align	6, 0x0
	.amdhsa_kernel _ZN9rocsparseL19gebsrmvn_2xn_kernelILj128ELj9ELj4EfEEvi20rocsparse_direction_NS_24const_host_device_scalarIT2_EEPKiS6_PKS3_S8_S4_PS3_21rocsparse_index_base_b
		.amdhsa_group_segment_fixed_size 0
		.amdhsa_private_segment_fixed_size 0
		.amdhsa_kernarg_size 72
		.amdhsa_user_sgpr_count 2
		.amdhsa_user_sgpr_dispatch_ptr 0
		.amdhsa_user_sgpr_queue_ptr 0
		.amdhsa_user_sgpr_kernarg_segment_ptr 1
		.amdhsa_user_sgpr_dispatch_id 0
		.amdhsa_user_sgpr_kernarg_preload_length 0
		.amdhsa_user_sgpr_kernarg_preload_offset 0
		.amdhsa_user_sgpr_private_segment_size 0
		.amdhsa_wavefront_size32 1
		.amdhsa_uses_dynamic_stack 0
		.amdhsa_enable_private_segment 0
		.amdhsa_system_sgpr_workgroup_id_x 1
		.amdhsa_system_sgpr_workgroup_id_y 0
		.amdhsa_system_sgpr_workgroup_id_z 0
		.amdhsa_system_sgpr_workgroup_info 0
		.amdhsa_system_vgpr_workitem_id 0
		.amdhsa_next_free_vgpr 48
		.amdhsa_next_free_sgpr 18
		.amdhsa_named_barrier_count 0
		.amdhsa_reserve_vcc 1
		.amdhsa_float_round_mode_32 0
		.amdhsa_float_round_mode_16_64 0
		.amdhsa_float_denorm_mode_32 3
		.amdhsa_float_denorm_mode_16_64 3
		.amdhsa_fp16_overflow 0
		.amdhsa_memory_ordered 1
		.amdhsa_forward_progress 1
		.amdhsa_inst_pref_size 16
		.amdhsa_round_robin_scheduling 0
		.amdhsa_exception_fp_ieee_invalid_op 0
		.amdhsa_exception_fp_denorm_src 0
		.amdhsa_exception_fp_ieee_div_zero 0
		.amdhsa_exception_fp_ieee_overflow 0
		.amdhsa_exception_fp_ieee_underflow 0
		.amdhsa_exception_fp_ieee_inexact 0
		.amdhsa_exception_int_div_zero 0
	.end_amdhsa_kernel
	.section	.text._ZN9rocsparseL19gebsrmvn_2xn_kernelILj128ELj9ELj4EfEEvi20rocsparse_direction_NS_24const_host_device_scalarIT2_EEPKiS6_PKS3_S8_S4_PS3_21rocsparse_index_base_b,"axG",@progbits,_ZN9rocsparseL19gebsrmvn_2xn_kernelILj128ELj9ELj4EfEEvi20rocsparse_direction_NS_24const_host_device_scalarIT2_EEPKiS6_PKS3_S8_S4_PS3_21rocsparse_index_base_b,comdat
.Lfunc_end35:
	.size	_ZN9rocsparseL19gebsrmvn_2xn_kernelILj128ELj9ELj4EfEEvi20rocsparse_direction_NS_24const_host_device_scalarIT2_EEPKiS6_PKS3_S8_S4_PS3_21rocsparse_index_base_b, .Lfunc_end35-_ZN9rocsparseL19gebsrmvn_2xn_kernelILj128ELj9ELj4EfEEvi20rocsparse_direction_NS_24const_host_device_scalarIT2_EEPKiS6_PKS3_S8_S4_PS3_21rocsparse_index_base_b
                                        ; -- End function
	.set _ZN9rocsparseL19gebsrmvn_2xn_kernelILj128ELj9ELj4EfEEvi20rocsparse_direction_NS_24const_host_device_scalarIT2_EEPKiS6_PKS3_S8_S4_PS3_21rocsparse_index_base_b.num_vgpr, 48
	.set _ZN9rocsparseL19gebsrmvn_2xn_kernelILj128ELj9ELj4EfEEvi20rocsparse_direction_NS_24const_host_device_scalarIT2_EEPKiS6_PKS3_S8_S4_PS3_21rocsparse_index_base_b.num_agpr, 0
	.set _ZN9rocsparseL19gebsrmvn_2xn_kernelILj128ELj9ELj4EfEEvi20rocsparse_direction_NS_24const_host_device_scalarIT2_EEPKiS6_PKS3_S8_S4_PS3_21rocsparse_index_base_b.numbered_sgpr, 18
	.set _ZN9rocsparseL19gebsrmvn_2xn_kernelILj128ELj9ELj4EfEEvi20rocsparse_direction_NS_24const_host_device_scalarIT2_EEPKiS6_PKS3_S8_S4_PS3_21rocsparse_index_base_b.num_named_barrier, 0
	.set _ZN9rocsparseL19gebsrmvn_2xn_kernelILj128ELj9ELj4EfEEvi20rocsparse_direction_NS_24const_host_device_scalarIT2_EEPKiS6_PKS3_S8_S4_PS3_21rocsparse_index_base_b.private_seg_size, 0
	.set _ZN9rocsparseL19gebsrmvn_2xn_kernelILj128ELj9ELj4EfEEvi20rocsparse_direction_NS_24const_host_device_scalarIT2_EEPKiS6_PKS3_S8_S4_PS3_21rocsparse_index_base_b.uses_vcc, 1
	.set _ZN9rocsparseL19gebsrmvn_2xn_kernelILj128ELj9ELj4EfEEvi20rocsparse_direction_NS_24const_host_device_scalarIT2_EEPKiS6_PKS3_S8_S4_PS3_21rocsparse_index_base_b.uses_flat_scratch, 0
	.set _ZN9rocsparseL19gebsrmvn_2xn_kernelILj128ELj9ELj4EfEEvi20rocsparse_direction_NS_24const_host_device_scalarIT2_EEPKiS6_PKS3_S8_S4_PS3_21rocsparse_index_base_b.has_dyn_sized_stack, 0
	.set _ZN9rocsparseL19gebsrmvn_2xn_kernelILj128ELj9ELj4EfEEvi20rocsparse_direction_NS_24const_host_device_scalarIT2_EEPKiS6_PKS3_S8_S4_PS3_21rocsparse_index_base_b.has_recursion, 0
	.set _ZN9rocsparseL19gebsrmvn_2xn_kernelILj128ELj9ELj4EfEEvi20rocsparse_direction_NS_24const_host_device_scalarIT2_EEPKiS6_PKS3_S8_S4_PS3_21rocsparse_index_base_b.has_indirect_call, 0
	.section	.AMDGPU.csdata,"",@progbits
; Kernel info:
; codeLenInByte = 1988
; TotalNumSgprs: 20
; NumVgprs: 48
; ScratchSize: 0
; MemoryBound: 0
; FloatMode: 240
; IeeeMode: 1
; LDSByteSize: 0 bytes/workgroup (compile time only)
; SGPRBlocks: 0
; VGPRBlocks: 2
; NumSGPRsForWavesPerEU: 20
; NumVGPRsForWavesPerEU: 48
; NamedBarCnt: 0
; Occupancy: 16
; WaveLimiterHint : 1
; COMPUTE_PGM_RSRC2:SCRATCH_EN: 0
; COMPUTE_PGM_RSRC2:USER_SGPR: 2
; COMPUTE_PGM_RSRC2:TRAP_HANDLER: 0
; COMPUTE_PGM_RSRC2:TGID_X_EN: 1
; COMPUTE_PGM_RSRC2:TGID_Y_EN: 0
; COMPUTE_PGM_RSRC2:TGID_Z_EN: 0
; COMPUTE_PGM_RSRC2:TIDIG_COMP_CNT: 0
	.section	.text._ZN9rocsparseL19gebsrmvn_2xn_kernelILj128ELj9ELj8EfEEvi20rocsparse_direction_NS_24const_host_device_scalarIT2_EEPKiS6_PKS3_S8_S4_PS3_21rocsparse_index_base_b,"axG",@progbits,_ZN9rocsparseL19gebsrmvn_2xn_kernelILj128ELj9ELj8EfEEvi20rocsparse_direction_NS_24const_host_device_scalarIT2_EEPKiS6_PKS3_S8_S4_PS3_21rocsparse_index_base_b,comdat
	.globl	_ZN9rocsparseL19gebsrmvn_2xn_kernelILj128ELj9ELj8EfEEvi20rocsparse_direction_NS_24const_host_device_scalarIT2_EEPKiS6_PKS3_S8_S4_PS3_21rocsparse_index_base_b ; -- Begin function _ZN9rocsparseL19gebsrmvn_2xn_kernelILj128ELj9ELj8EfEEvi20rocsparse_direction_NS_24const_host_device_scalarIT2_EEPKiS6_PKS3_S8_S4_PS3_21rocsparse_index_base_b
	.p2align	8
	.type	_ZN9rocsparseL19gebsrmvn_2xn_kernelILj128ELj9ELj8EfEEvi20rocsparse_direction_NS_24const_host_device_scalarIT2_EEPKiS6_PKS3_S8_S4_PS3_21rocsparse_index_base_b,@function
_ZN9rocsparseL19gebsrmvn_2xn_kernelILj128ELj9ELj8EfEEvi20rocsparse_direction_NS_24const_host_device_scalarIT2_EEPKiS6_PKS3_S8_S4_PS3_21rocsparse_index_base_b: ; @_ZN9rocsparseL19gebsrmvn_2xn_kernelILj128ELj9ELj8EfEEvi20rocsparse_direction_NS_24const_host_device_scalarIT2_EEPKiS6_PKS3_S8_S4_PS3_21rocsparse_index_base_b
; %bb.0:
	s_clause 0x2
	s_load_b64 s[16:17], s[0:1], 0x40
	s_load_b64 s[14:15], s[0:1], 0x8
	s_load_b64 s[12:13], s[0:1], 0x30
	s_wait_kmcnt 0x0
	s_bitcmp1_b32 s17, 0
	s_cselect_b32 s2, -1, 0
	s_delay_alu instid0(SALU_CYCLE_1)
	s_and_b32 vcc_lo, exec_lo, s2
	s_xor_b32 s2, s2, -1
	s_cbranch_vccnz .LBB36_2
; %bb.1:
	s_load_b32 s14, s[14:15], 0x0
.LBB36_2:
	s_and_not1_b32 vcc_lo, exec_lo, s2
	s_cbranch_vccnz .LBB36_4
; %bb.3:
	s_load_b32 s12, s[12:13], 0x0
.LBB36_4:
	s_wait_kmcnt 0x0
	s_cmp_eq_f32 s14, 0
	s_cselect_b32 s2, -1, 0
	s_cmp_eq_f32 s12, 1.0
	s_cselect_b32 s3, -1, 0
	s_delay_alu instid0(SALU_CYCLE_1) | instskip(NEXT) | instid1(SALU_CYCLE_1)
	s_and_b32 s2, s2, s3
	s_and_b32 vcc_lo, exec_lo, s2
	s_cbranch_vccnz .LBB36_23
; %bb.5:
	s_load_b64 s[2:3], s[0:1], 0x0
	s_bfe_u32 s4, ttmp6, 0x4000c
	s_and_b32 s5, ttmp6, 15
	s_add_co_i32 s4, s4, 1
	s_getreg_b32 s6, hwreg(HW_REG_IB_STS2, 6, 4)
	s_mul_i32 s4, ttmp9, s4
	v_lshrrev_b32_e32 v1, 3, v0
	s_add_co_i32 s5, s5, s4
	s_cmp_eq_u32 s6, 0
	s_cselect_b32 s4, ttmp9, s5
	s_delay_alu instid0(VALU_DEP_1) | instid1(SALU_CYCLE_1)
	v_lshl_or_b32 v2, s4, 4, v1
	s_wait_kmcnt 0x0
	s_delay_alu instid0(VALU_DEP_1)
	v_cmp_gt_i32_e32 vcc_lo, s2, v2
	s_and_saveexec_b32 s2, vcc_lo
	s_cbranch_execz .LBB36_23
; %bb.6:
	s_load_b256 s[4:11], s[0:1], 0x10
	v_ashrrev_i32_e32 v3, 31, v2
	s_cmp_lg_u32 s3, 0
	s_wait_kmcnt 0x0
	s_delay_alu instid0(VALU_DEP_1)
	v_lshl_add_u64 v[4:5], v[2:3], 2, s[4:5]
	v_and_b32_e32 v3, 7, v0
	global_load_b64 v[4:5], v[4:5], off
	s_wait_loadcnt 0x0
	v_subrev_nc_u32_e32 v0, s16, v4
	v_subrev_nc_u32_e32 v8, s16, v5
	s_delay_alu instid0(VALU_DEP_2) | instskip(NEXT) | instid1(VALU_DEP_1)
	v_add_nc_u32_e32 v9, v0, v3
	v_cmp_lt_i32_e64 s2, v9, v8
	s_cbranch_scc0 .LBB36_12
; %bb.7:
	v_mov_b32_e32 v1, 0
	s_delay_alu instid0(VALU_DEP_1)
	v_mov_b32_e32 v0, v1
	s_and_saveexec_b32 s3, s2
	s_cbranch_execz .LBB36_11
; %bb.8:
	v_mad_u32 v4, v9, 18, 16
	v_dual_mov_b32 v7, 0 :: v_dual_mov_b32 v10, v9
	s_mov_b32 s4, 0
	s_delay_alu instid0(VALU_DEP_1)
	v_dual_mov_b32 v0, v7 :: v_dual_mov_b32 v1, v7
.LBB36_9:                               ; =>This Inner Loop Header: Depth=1
	global_load_b32 v5, v10, s[6:7] scale_offset
	s_wait_xcnt 0x0
	v_add_nc_u32_e32 v10, 8, v10
	s_delay_alu instid0(VALU_DEP_1) | instskip(SKIP_3) | instid1(VALU_DEP_1)
	v_cmp_ge_i32_e32 vcc_lo, v10, v8
	s_or_b32 s4, vcc_lo, s4
	s_wait_loadcnt 0x0
	v_subrev_nc_u32_e32 v5, s16, v5
	v_lshl_add_u32 v11, v5, 3, v5
	s_delay_alu instid0(VALU_DEP_1) | instskip(NEXT) | instid1(VALU_DEP_1)
	v_dual_add_nc_u32 v6, -16, v4 :: v_dual_add_nc_u32 v5, 1, v11
	v_lshl_add_u64 v[12:13], v[6:7], 2, s[8:9]
	v_dual_add_nc_u32 v6, -14, v4 :: v_dual_add_nc_u32 v21, 2, v11
	v_add_nc_u32_e32 v23, 7, v11
	s_delay_alu instid0(VALU_DEP_2)
	v_lshl_add_u64 v[14:15], v[6:7], 2, s[8:9]
	v_add_nc_u32_e32 v6, -12, v4
	s_clause 0x1
	global_load_b64 v[16:17], v[12:13], off
	global_load_b64 v[18:19], v[14:15], off
	s_clause 0x1
	global_load_b32 v20, v11, s[10:11] scale_offset
	global_load_b32 v22, v5, s[10:11] scale_offset
	s_wait_xcnt 0x0
	v_add_nc_u32_e32 v5, 3, v11
	v_lshl_add_u64 v[12:13], v[6:7], 2, s[8:9]
	s_clause 0x1
	global_load_b32 v26, v21, s[10:11] scale_offset
	global_load_b32 v28, v5, s[10:11] scale_offset
	s_wait_xcnt 0x1
	v_dual_add_nc_u32 v6, -10, v4 :: v_dual_add_nc_u32 v21, 4, v11
	global_load_b64 v[12:13], v[12:13], off
	s_wait_xcnt 0x1
	v_add_nc_u32_e32 v5, 5, v11
	v_lshl_add_u64 v[14:15], v[6:7], 2, s[8:9]
	v_add_nc_u32_e32 v6, -8, v4
	global_load_b64 v[14:15], v[14:15], off
	v_lshl_add_u64 v[24:25], v[6:7], 2, s[8:9]
	v_add_nc_u32_e32 v6, -6, v4
	global_load_b64 v[24:25], v[24:25], off
	v_lshl_add_u64 v[30:31], v[6:7], 2, s[8:9]
	v_add_nc_u32_e32 v6, -4, v4
	global_load_b32 v32, v21, s[10:11] scale_offset
	global_load_b64 v[34:35], v[30:31], off
	s_wait_xcnt 0x1
	v_add_nc_u32_e32 v21, 6, v11
	s_wait_xcnt 0x0
	v_lshl_add_u64 v[30:31], v[6:7], 2, s[8:9]
	v_add_nc_u32_e32 v6, -2, v4
	global_load_b32 v36, v5, s[10:11] scale_offset
	global_load_b64 v[30:31], v[30:31], off
	v_lshl_add_u64 v[38:39], v[6:7], 2, s[8:9]
	global_load_b32 v6, v21, s[10:11] scale_offset
	s_wait_xcnt 0x2
	v_mov_b32_e32 v5, v7
	global_load_b64 v[38:39], v[38:39], off
	v_lshl_add_u64 v[40:41], v[4:5], 2, s[8:9]
	v_add_nc_u32_e32 v5, 8, v11
	global_load_b32 v42, v23, s[10:11] scale_offset
	global_load_b64 v[44:45], v[40:41], off
	global_load_b32 v46, v5, s[10:11] scale_offset
	v_add_nc_u32_e32 v4, 0x90, v4
	s_wait_loadcnt 0xf
	v_pk_fma_f32 v[0:1], v[16:17], v[20:21], v[0:1] op_sel_hi:[1,0,1]
	s_wait_loadcnt 0xe
	s_delay_alu instid0(VALU_DEP_1) | instskip(SKIP_1) | instid1(VALU_DEP_1)
	v_pk_fma_f32 v[0:1], v[18:19], v[22:23], v[0:1] op_sel_hi:[1,0,1]
	s_wait_loadcnt 0xb
	v_pk_fma_f32 v[0:1], v[12:13], v[26:27], v[0:1] op_sel_hi:[1,0,1]
	s_wait_loadcnt 0xa
	s_delay_alu instid0(VALU_DEP_1) | instskip(SKIP_1) | instid1(VALU_DEP_1)
	v_pk_fma_f32 v[0:1], v[14:15], v[28:29], v[0:1] op_sel_hi:[1,0,1]
	;; [unrolled: 5-line block ×4, first 2 shown]
	s_wait_loadcnt 0x0
	v_pk_fma_f32 v[0:1], v[44:45], v[46:47], v[0:1] op_sel_hi:[1,0,1]
	s_and_not1_b32 exec_lo, exec_lo, s4
	s_cbranch_execnz .LBB36_9
; %bb.10:
	s_or_b32 exec_lo, exec_lo, s4
.LBB36_11:
	s_delay_alu instid0(SALU_CYCLE_1)
	s_or_b32 exec_lo, exec_lo, s3
	s_cbranch_execz .LBB36_13
	s_branch .LBB36_18
.LBB36_12:
                                        ; implicit-def: $vgpr1
.LBB36_13:
	v_mov_b32_e32 v1, 0
	s_delay_alu instid0(VALU_DEP_1)
	v_mov_b32_e32 v0, v1
	s_and_saveexec_b32 s3, s2
	s_cbranch_execz .LBB36_17
; %bb.14:
	v_mad_u32 v6, v9, 18, 17
	v_mov_b32_e32 v5, 0
	s_mov_b32 s2, 0
	s_delay_alu instid0(VALU_DEP_1)
	v_dual_mov_b32 v0, v5 :: v_dual_mov_b32 v1, v5
.LBB36_15:                              ; =>This Inner Loop Header: Depth=1
	global_load_b32 v7, v9, s[6:7] scale_offset
	v_subrev_nc_u32_e32 v4, 17, v6
	v_dual_add_nc_u32 v12, -8, v6 :: v_dual_add_nc_u32 v14, -7, v6
	v_dual_add_nc_u32 v17, -15, v6 :: v_dual_add_nc_u32 v21, -14, v6
	v_add_nc_u32_e32 v24, -5, v6
	s_delay_alu instid0(VALU_DEP_4)
	v_lshl_add_u64 v[10:11], v[4:5], 2, s[8:9]
	v_dual_add_nc_u32 v29, -4, v6 :: v_dual_add_nc_u32 v32, -12, v6
	s_wait_xcnt 0x0
	v_add_nc_u32_e32 v9, 8, v9
	global_load_b64 v[10:11], v[10:11], off
	v_cmp_ge_i32_e32 vcc_lo, v9, v8
	s_or_b32 s2, vcc_lo, s2
	s_wait_loadcnt 0x1
	v_subrev_nc_u32_e32 v4, s16, v7
	v_add_nc_u32_e32 v7, -6, v6
	s_delay_alu instid0(VALU_DEP_2)
	v_lshl_add_u32 v25, v4, 3, v4
	v_add_nc_u32_e32 v28, -13, v6
	global_load_b32 v13, v12, s[8:9] scale_offset
	global_load_b32 v4, v25, s[10:11] scale_offset
	s_wait_xcnt 0x1
	v_add_nc_u32_e32 v12, 1, v25
	global_load_b32 v15, v14, s[8:9] scale_offset
	s_wait_xcnt 0x0
	v_add_nc_u32_e32 v14, 2, v25
	global_load_b32 v16, v12, s[10:11] scale_offset
	s_wait_xcnt 0x0
	v_add_nc_u32_e32 v12, -3, v6
	s_clause 0x1
	global_load_b32 v18, v17, s[8:9] scale_offset
	global_load_b32 v19, v7, s[8:9] scale_offset
	s_wait_xcnt 0x0
	v_add_nc_u32_e32 v7, 3, v25
	global_load_b32 v20, v14, s[10:11] scale_offset
	s_wait_xcnt 0x0
	v_add_nc_u32_e32 v14, -11, v6
	s_clause 0x1
	global_load_b32 v22, v21, s[8:9] scale_offset
	global_load_b32 v23, v24, s[8:9] scale_offset
	v_add_nc_u32_e32 v17, 4, v25
	global_load_b32 v24, v7, s[10:11] scale_offset
	s_wait_xcnt 0x0
	v_add_nc_u32_e32 v7, -2, v6
	s_clause 0x1
	global_load_b32 v26, v28, s[8:9] scale_offset
	global_load_b32 v27, v29, s[8:9] scale_offset
	;; [unrolled: 7-line block ×3, first 2 shown]
	s_wait_xcnt 0x0
	v_add_nc_u32_e32 v12, 6, v25
	global_load_b32 v32, v21, s[10:11] scale_offset
	s_wait_xcnt 0x0
	v_add_nc_u32_e32 v21, -1, v6
	s_clause 0x1
	global_load_b32 v34, v14, s[8:9] scale_offset
	global_load_b32 v35, v7, s[8:9] scale_offset
	s_wait_xcnt 0x0
	v_add_nc_u32_e32 v7, 7, v25
	global_load_b32 v36, v12, s[10:11] scale_offset
	s_wait_xcnt 0x0
	v_add_nc_u32_e32 v12, -9, v6
	s_clause 0x1
	global_load_b32 v38, v17, s[8:9] scale_offset
	global_load_b32 v39, v21, s[8:9] scale_offset
	v_add_nc_u32_e32 v14, 8, v25
	global_load_b32 v40, v7, s[10:11] scale_offset
	s_clause 0x1
	global_load_b32 v43, v6, s[8:9] scale_offset
	global_load_b32 v42, v12, s[8:9] scale_offset
	;; [unrolled: 1-line block ×3, first 2 shown]
	s_wait_loadcnt 0x19
	s_wait_xcnt 0x0
	v_dual_mov_b32 v12, v10 :: v_dual_mov_b32 v14, v11
	v_add_nc_u32_e32 v6, 0x90, v6
	s_wait_loadcnt 0x17
	s_delay_alu instid0(VALU_DEP_2) | instskip(SKIP_1) | instid1(VALU_DEP_1)
	v_pk_fma_f32 v[0:1], v[12:13], v[4:5], v[0:1] op_sel_hi:[1,0,1]
	s_wait_loadcnt 0x15
	v_pk_fma_f32 v[0:1], v[14:15], v[16:17], v[0:1] op_sel_hi:[1,0,1]
	s_wait_loadcnt 0x12
	s_delay_alu instid0(VALU_DEP_1) | instskip(SKIP_1) | instid1(VALU_DEP_1)
	v_pk_fma_f32 v[0:1], v[18:19], v[20:21], v[0:1] op_sel_hi:[1,0,1]
	s_wait_loadcnt 0xf
	v_pk_fma_f32 v[0:1], v[22:23], v[24:25], v[0:1] op_sel_hi:[1,0,1]
	s_wait_loadcnt 0xc
	s_delay_alu instid0(VALU_DEP_1) | instskip(SKIP_1) | instid1(VALU_DEP_1)
	;; [unrolled: 5-line block ×3, first 2 shown]
	v_pk_fma_f32 v[0:1], v[34:35], v[36:37], v[0:1] op_sel_hi:[1,0,1]
	s_wait_loadcnt 0x3
	v_pk_fma_f32 v[0:1], v[38:39], v[40:41], v[0:1] op_sel_hi:[1,0,1]
	s_wait_loadcnt 0x0
	s_delay_alu instid0(VALU_DEP_1)
	v_pk_fma_f32 v[0:1], v[42:43], v[44:45], v[0:1] op_sel_hi:[1,0,1]
	s_and_not1_b32 exec_lo, exec_lo, s2
	s_cbranch_execnz .LBB36_15
; %bb.16:
	s_or_b32 exec_lo, exec_lo, s2
.LBB36_17:
	s_delay_alu instid0(SALU_CYCLE_1)
	s_or_b32 exec_lo, exec_lo, s3
.LBB36_18:
	v_mbcnt_lo_u32_b32 v6, -1, 0
	s_mov_b32 s2, -1
	s_delay_alu instid0(VALU_DEP_1) | instskip(SKIP_1) | instid1(VALU_DEP_1)
	v_xor_b32_e32 v7, 2, v6
	v_xor_b32_e32 v4, 4, v6
	v_cmp_gt_i32_e32 vcc_lo, 32, v4
	v_cndmask_b32_e32 v4, v6, v4, vcc_lo
	s_delay_alu instid0(VALU_DEP_4) | instskip(SKIP_1) | instid1(VALU_DEP_1)
	v_cmp_gt_i32_e32 vcc_lo, 32, v7
	v_cndmask_b32_e32 v7, v6, v7, vcc_lo
	v_dual_lshlrev_b32 v7, 2, v7 :: v_dual_lshlrev_b32 v5, 2, v4
	ds_bpermute_b32 v4, v5, v0
	ds_bpermute_b32 v5, v5, v1
	s_wait_dscnt 0x0
	v_pk_add_f32 v[0:1], v[0:1], v[4:5]
	ds_bpermute_b32 v4, v7, v0
	ds_bpermute_b32 v5, v7, v1
	v_xor_b32_e32 v7, 1, v6
	s_delay_alu instid0(VALU_DEP_1) | instskip(SKIP_2) | instid1(VALU_DEP_2)
	v_cmp_gt_i32_e32 vcc_lo, 32, v7
	v_cndmask_b32_e32 v6, v6, v7, vcc_lo
	v_cmp_eq_u32_e32 vcc_lo, 7, v3
	v_lshlrev_b32_e32 v6, 2, v6
	s_wait_dscnt 0x0
	v_pk_add_f32 v[0:1], v[0:1], v[4:5]
	ds_bpermute_b32 v4, v6, v0
	ds_bpermute_b32 v5, v6, v1
	s_and_b32 exec_lo, exec_lo, vcc_lo
	s_cbranch_execz .LBB36_23
; %bb.19:
	s_load_b64 s[0:1], s[0:1], 0x38
	s_wait_dscnt 0x0
	v_pk_add_f32 v[0:1], v[0:1], v[4:5]
	v_lshlrev_b32_e32 v2, 1, v2
	s_cmp_eq_f32 s12, 0
	s_cbranch_scc0 .LBB36_21
; %bb.20:
	s_delay_alu instid0(VALU_DEP_1) | instskip(SKIP_3) | instid1(VALU_DEP_2)
	v_ashrrev_i32_e32 v3, 31, v2
	v_pk_mul_f32 v[6:7], s[14:15], v[0:1] op_sel_hi:[0,1]
	s_mov_b32 s2, 0
	s_wait_kmcnt 0x0
	v_lshl_add_u64 v[4:5], v[2:3], 2, s[0:1]
	global_store_b64 v[4:5], v[6:7], off
.LBB36_21:
	s_and_not1_b32 vcc_lo, exec_lo, s2
	s_cbranch_vccnz .LBB36_23
; %bb.22:
	v_ashrrev_i32_e32 v3, 31, v2
	v_pk_mul_f32 v[0:1], s[14:15], v[0:1] op_sel_hi:[0,1]
	s_wait_kmcnt 0x0
	s_delay_alu instid0(VALU_DEP_2)
	v_lshl_add_u64 v[2:3], v[2:3], 2, s[0:1]
	global_load_b64 v[4:5], v[2:3], off
	s_wait_loadcnt 0x0
	v_pk_fma_f32 v[0:1], s[12:13], v[4:5], v[0:1] op_sel_hi:[0,1,1]
	global_store_b64 v[2:3], v[0:1], off
.LBB36_23:
	s_endpgm
	.section	.rodata,"a",@progbits
	.p2align	6, 0x0
	.amdhsa_kernel _ZN9rocsparseL19gebsrmvn_2xn_kernelILj128ELj9ELj8EfEEvi20rocsparse_direction_NS_24const_host_device_scalarIT2_EEPKiS6_PKS3_S8_S4_PS3_21rocsparse_index_base_b
		.amdhsa_group_segment_fixed_size 0
		.amdhsa_private_segment_fixed_size 0
		.amdhsa_kernarg_size 72
		.amdhsa_user_sgpr_count 2
		.amdhsa_user_sgpr_dispatch_ptr 0
		.amdhsa_user_sgpr_queue_ptr 0
		.amdhsa_user_sgpr_kernarg_segment_ptr 1
		.amdhsa_user_sgpr_dispatch_id 0
		.amdhsa_user_sgpr_kernarg_preload_length 0
		.amdhsa_user_sgpr_kernarg_preload_offset 0
		.amdhsa_user_sgpr_private_segment_size 0
		.amdhsa_wavefront_size32 1
		.amdhsa_uses_dynamic_stack 0
		.amdhsa_enable_private_segment 0
		.amdhsa_system_sgpr_workgroup_id_x 1
		.amdhsa_system_sgpr_workgroup_id_y 0
		.amdhsa_system_sgpr_workgroup_id_z 0
		.amdhsa_system_sgpr_workgroup_info 0
		.amdhsa_system_vgpr_workitem_id 0
		.amdhsa_next_free_vgpr 48
		.amdhsa_next_free_sgpr 18
		.amdhsa_named_barrier_count 0
		.amdhsa_reserve_vcc 1
		.amdhsa_float_round_mode_32 0
		.amdhsa_float_round_mode_16_64 0
		.amdhsa_float_denorm_mode_32 3
		.amdhsa_float_denorm_mode_16_64 3
		.amdhsa_fp16_overflow 0
		.amdhsa_memory_ordered 1
		.amdhsa_forward_progress 1
		.amdhsa_inst_pref_size 16
		.amdhsa_round_robin_scheduling 0
		.amdhsa_exception_fp_ieee_invalid_op 0
		.amdhsa_exception_fp_denorm_src 0
		.amdhsa_exception_fp_ieee_div_zero 0
		.amdhsa_exception_fp_ieee_overflow 0
		.amdhsa_exception_fp_ieee_underflow 0
		.amdhsa_exception_fp_ieee_inexact 0
		.amdhsa_exception_int_div_zero 0
	.end_amdhsa_kernel
	.section	.text._ZN9rocsparseL19gebsrmvn_2xn_kernelILj128ELj9ELj8EfEEvi20rocsparse_direction_NS_24const_host_device_scalarIT2_EEPKiS6_PKS3_S8_S4_PS3_21rocsparse_index_base_b,"axG",@progbits,_ZN9rocsparseL19gebsrmvn_2xn_kernelILj128ELj9ELj8EfEEvi20rocsparse_direction_NS_24const_host_device_scalarIT2_EEPKiS6_PKS3_S8_S4_PS3_21rocsparse_index_base_b,comdat
.Lfunc_end36:
	.size	_ZN9rocsparseL19gebsrmvn_2xn_kernelILj128ELj9ELj8EfEEvi20rocsparse_direction_NS_24const_host_device_scalarIT2_EEPKiS6_PKS3_S8_S4_PS3_21rocsparse_index_base_b, .Lfunc_end36-_ZN9rocsparseL19gebsrmvn_2xn_kernelILj128ELj9ELj8EfEEvi20rocsparse_direction_NS_24const_host_device_scalarIT2_EEPKiS6_PKS3_S8_S4_PS3_21rocsparse_index_base_b
                                        ; -- End function
	.set _ZN9rocsparseL19gebsrmvn_2xn_kernelILj128ELj9ELj8EfEEvi20rocsparse_direction_NS_24const_host_device_scalarIT2_EEPKiS6_PKS3_S8_S4_PS3_21rocsparse_index_base_b.num_vgpr, 48
	.set _ZN9rocsparseL19gebsrmvn_2xn_kernelILj128ELj9ELj8EfEEvi20rocsparse_direction_NS_24const_host_device_scalarIT2_EEPKiS6_PKS3_S8_S4_PS3_21rocsparse_index_base_b.num_agpr, 0
	.set _ZN9rocsparseL19gebsrmvn_2xn_kernelILj128ELj9ELj8EfEEvi20rocsparse_direction_NS_24const_host_device_scalarIT2_EEPKiS6_PKS3_S8_S4_PS3_21rocsparse_index_base_b.numbered_sgpr, 18
	.set _ZN9rocsparseL19gebsrmvn_2xn_kernelILj128ELj9ELj8EfEEvi20rocsparse_direction_NS_24const_host_device_scalarIT2_EEPKiS6_PKS3_S8_S4_PS3_21rocsparse_index_base_b.num_named_barrier, 0
	.set _ZN9rocsparseL19gebsrmvn_2xn_kernelILj128ELj9ELj8EfEEvi20rocsparse_direction_NS_24const_host_device_scalarIT2_EEPKiS6_PKS3_S8_S4_PS3_21rocsparse_index_base_b.private_seg_size, 0
	.set _ZN9rocsparseL19gebsrmvn_2xn_kernelILj128ELj9ELj8EfEEvi20rocsparse_direction_NS_24const_host_device_scalarIT2_EEPKiS6_PKS3_S8_S4_PS3_21rocsparse_index_base_b.uses_vcc, 1
	.set _ZN9rocsparseL19gebsrmvn_2xn_kernelILj128ELj9ELj8EfEEvi20rocsparse_direction_NS_24const_host_device_scalarIT2_EEPKiS6_PKS3_S8_S4_PS3_21rocsparse_index_base_b.uses_flat_scratch, 0
	.set _ZN9rocsparseL19gebsrmvn_2xn_kernelILj128ELj9ELj8EfEEvi20rocsparse_direction_NS_24const_host_device_scalarIT2_EEPKiS6_PKS3_S8_S4_PS3_21rocsparse_index_base_b.has_dyn_sized_stack, 0
	.set _ZN9rocsparseL19gebsrmvn_2xn_kernelILj128ELj9ELj8EfEEvi20rocsparse_direction_NS_24const_host_device_scalarIT2_EEPKiS6_PKS3_S8_S4_PS3_21rocsparse_index_base_b.has_recursion, 0
	.set _ZN9rocsparseL19gebsrmvn_2xn_kernelILj128ELj9ELj8EfEEvi20rocsparse_direction_NS_24const_host_device_scalarIT2_EEPKiS6_PKS3_S8_S4_PS3_21rocsparse_index_base_b.has_indirect_call, 0
	.section	.AMDGPU.csdata,"",@progbits
; Kernel info:
; codeLenInByte = 2036
; TotalNumSgprs: 20
; NumVgprs: 48
; ScratchSize: 0
; MemoryBound: 0
; FloatMode: 240
; IeeeMode: 1
; LDSByteSize: 0 bytes/workgroup (compile time only)
; SGPRBlocks: 0
; VGPRBlocks: 2
; NumSGPRsForWavesPerEU: 20
; NumVGPRsForWavesPerEU: 48
; NamedBarCnt: 0
; Occupancy: 16
; WaveLimiterHint : 1
; COMPUTE_PGM_RSRC2:SCRATCH_EN: 0
; COMPUTE_PGM_RSRC2:USER_SGPR: 2
; COMPUTE_PGM_RSRC2:TRAP_HANDLER: 0
; COMPUTE_PGM_RSRC2:TGID_X_EN: 1
; COMPUTE_PGM_RSRC2:TGID_Y_EN: 0
; COMPUTE_PGM_RSRC2:TGID_Z_EN: 0
; COMPUTE_PGM_RSRC2:TIDIG_COMP_CNT: 0
	.section	.text._ZN9rocsparseL19gebsrmvn_2xn_kernelILj128ELj9ELj16EfEEvi20rocsparse_direction_NS_24const_host_device_scalarIT2_EEPKiS6_PKS3_S8_S4_PS3_21rocsparse_index_base_b,"axG",@progbits,_ZN9rocsparseL19gebsrmvn_2xn_kernelILj128ELj9ELj16EfEEvi20rocsparse_direction_NS_24const_host_device_scalarIT2_EEPKiS6_PKS3_S8_S4_PS3_21rocsparse_index_base_b,comdat
	.globl	_ZN9rocsparseL19gebsrmvn_2xn_kernelILj128ELj9ELj16EfEEvi20rocsparse_direction_NS_24const_host_device_scalarIT2_EEPKiS6_PKS3_S8_S4_PS3_21rocsparse_index_base_b ; -- Begin function _ZN9rocsparseL19gebsrmvn_2xn_kernelILj128ELj9ELj16EfEEvi20rocsparse_direction_NS_24const_host_device_scalarIT2_EEPKiS6_PKS3_S8_S4_PS3_21rocsparse_index_base_b
	.p2align	8
	.type	_ZN9rocsparseL19gebsrmvn_2xn_kernelILj128ELj9ELj16EfEEvi20rocsparse_direction_NS_24const_host_device_scalarIT2_EEPKiS6_PKS3_S8_S4_PS3_21rocsparse_index_base_b,@function
_ZN9rocsparseL19gebsrmvn_2xn_kernelILj128ELj9ELj16EfEEvi20rocsparse_direction_NS_24const_host_device_scalarIT2_EEPKiS6_PKS3_S8_S4_PS3_21rocsparse_index_base_b: ; @_ZN9rocsparseL19gebsrmvn_2xn_kernelILj128ELj9ELj16EfEEvi20rocsparse_direction_NS_24const_host_device_scalarIT2_EEPKiS6_PKS3_S8_S4_PS3_21rocsparse_index_base_b
; %bb.0:
	s_clause 0x2
	s_load_b64 s[16:17], s[0:1], 0x40
	s_load_b64 s[14:15], s[0:1], 0x8
	;; [unrolled: 1-line block ×3, first 2 shown]
	s_wait_kmcnt 0x0
	s_bitcmp1_b32 s17, 0
	s_cselect_b32 s2, -1, 0
	s_delay_alu instid0(SALU_CYCLE_1)
	s_and_b32 vcc_lo, exec_lo, s2
	s_xor_b32 s2, s2, -1
	s_cbranch_vccnz .LBB37_2
; %bb.1:
	s_load_b32 s14, s[14:15], 0x0
.LBB37_2:
	s_and_not1_b32 vcc_lo, exec_lo, s2
	s_cbranch_vccnz .LBB37_4
; %bb.3:
	s_load_b32 s12, s[12:13], 0x0
.LBB37_4:
	s_wait_kmcnt 0x0
	s_cmp_eq_f32 s14, 0
	s_cselect_b32 s2, -1, 0
	s_cmp_eq_f32 s12, 1.0
	s_cselect_b32 s3, -1, 0
	s_delay_alu instid0(SALU_CYCLE_1) | instskip(NEXT) | instid1(SALU_CYCLE_1)
	s_and_b32 s2, s2, s3
	s_and_b32 vcc_lo, exec_lo, s2
	s_cbranch_vccnz .LBB37_23
; %bb.5:
	s_load_b64 s[2:3], s[0:1], 0x0
	s_bfe_u32 s4, ttmp6, 0x4000c
	s_and_b32 s5, ttmp6, 15
	s_add_co_i32 s4, s4, 1
	s_getreg_b32 s6, hwreg(HW_REG_IB_STS2, 6, 4)
	s_mul_i32 s4, ttmp9, s4
	v_lshrrev_b32_e32 v1, 4, v0
	s_add_co_i32 s5, s5, s4
	s_cmp_eq_u32 s6, 0
	s_cselect_b32 s4, ttmp9, s5
	s_delay_alu instid0(VALU_DEP_1) | instid1(SALU_CYCLE_1)
	v_lshl_or_b32 v2, s4, 3, v1
	s_wait_kmcnt 0x0
	s_delay_alu instid0(VALU_DEP_1)
	v_cmp_gt_i32_e32 vcc_lo, s2, v2
	s_and_saveexec_b32 s2, vcc_lo
	s_cbranch_execz .LBB37_23
; %bb.6:
	s_load_b256 s[4:11], s[0:1], 0x10
	v_ashrrev_i32_e32 v3, 31, v2
	s_cmp_lg_u32 s3, 0
	s_wait_kmcnt 0x0
	s_delay_alu instid0(VALU_DEP_1)
	v_lshl_add_u64 v[4:5], v[2:3], 2, s[4:5]
	v_and_b32_e32 v3, 15, v0
	global_load_b64 v[4:5], v[4:5], off
	s_wait_loadcnt 0x0
	v_subrev_nc_u32_e32 v0, s16, v4
	v_subrev_nc_u32_e32 v8, s16, v5
	s_delay_alu instid0(VALU_DEP_2) | instskip(NEXT) | instid1(VALU_DEP_1)
	v_add_nc_u32_e32 v9, v0, v3
	v_cmp_lt_i32_e64 s2, v9, v8
	s_cbranch_scc0 .LBB37_12
; %bb.7:
	v_mov_b32_e32 v1, 0
	s_delay_alu instid0(VALU_DEP_1)
	v_mov_b32_e32 v0, v1
	s_and_saveexec_b32 s3, s2
	s_cbranch_execz .LBB37_11
; %bb.8:
	v_mad_u32 v4, v9, 18, 16
	v_dual_mov_b32 v7, 0 :: v_dual_mov_b32 v10, v9
	s_mov_b32 s4, 0
	s_delay_alu instid0(VALU_DEP_1)
	v_dual_mov_b32 v0, v7 :: v_dual_mov_b32 v1, v7
.LBB37_9:                               ; =>This Inner Loop Header: Depth=1
	global_load_b32 v5, v10, s[6:7] scale_offset
	s_wait_xcnt 0x0
	v_add_nc_u32_e32 v10, 16, v10
	s_delay_alu instid0(VALU_DEP_1) | instskip(SKIP_3) | instid1(VALU_DEP_1)
	v_cmp_ge_i32_e32 vcc_lo, v10, v8
	s_or_b32 s4, vcc_lo, s4
	s_wait_loadcnt 0x0
	v_subrev_nc_u32_e32 v5, s16, v5
	v_lshl_add_u32 v11, v5, 3, v5
	s_delay_alu instid0(VALU_DEP_1) | instskip(NEXT) | instid1(VALU_DEP_1)
	v_dual_add_nc_u32 v6, -16, v4 :: v_dual_add_nc_u32 v5, 1, v11
	v_lshl_add_u64 v[12:13], v[6:7], 2, s[8:9]
	v_dual_add_nc_u32 v6, -14, v4 :: v_dual_add_nc_u32 v21, 2, v11
	v_add_nc_u32_e32 v23, 7, v11
	s_delay_alu instid0(VALU_DEP_2)
	v_lshl_add_u64 v[14:15], v[6:7], 2, s[8:9]
	v_add_nc_u32_e32 v6, -12, v4
	s_clause 0x1
	global_load_b64 v[16:17], v[12:13], off
	global_load_b64 v[18:19], v[14:15], off
	s_clause 0x1
	global_load_b32 v20, v11, s[10:11] scale_offset
	global_load_b32 v22, v5, s[10:11] scale_offset
	s_wait_xcnt 0x0
	v_add_nc_u32_e32 v5, 3, v11
	v_lshl_add_u64 v[12:13], v[6:7], 2, s[8:9]
	s_clause 0x1
	global_load_b32 v26, v21, s[10:11] scale_offset
	global_load_b32 v28, v5, s[10:11] scale_offset
	s_wait_xcnt 0x1
	v_dual_add_nc_u32 v6, -10, v4 :: v_dual_add_nc_u32 v21, 4, v11
	global_load_b64 v[12:13], v[12:13], off
	s_wait_xcnt 0x1
	v_add_nc_u32_e32 v5, 5, v11
	v_lshl_add_u64 v[14:15], v[6:7], 2, s[8:9]
	v_add_nc_u32_e32 v6, -8, v4
	global_load_b64 v[14:15], v[14:15], off
	v_lshl_add_u64 v[24:25], v[6:7], 2, s[8:9]
	v_add_nc_u32_e32 v6, -6, v4
	global_load_b64 v[24:25], v[24:25], off
	v_lshl_add_u64 v[30:31], v[6:7], 2, s[8:9]
	v_add_nc_u32_e32 v6, -4, v4
	global_load_b32 v32, v21, s[10:11] scale_offset
	global_load_b64 v[34:35], v[30:31], off
	s_wait_xcnt 0x1
	v_add_nc_u32_e32 v21, 6, v11
	s_wait_xcnt 0x0
	v_lshl_add_u64 v[30:31], v[6:7], 2, s[8:9]
	v_add_nc_u32_e32 v6, -2, v4
	global_load_b32 v36, v5, s[10:11] scale_offset
	global_load_b64 v[30:31], v[30:31], off
	v_lshl_add_u64 v[38:39], v[6:7], 2, s[8:9]
	global_load_b32 v6, v21, s[10:11] scale_offset
	s_wait_xcnt 0x2
	v_mov_b32_e32 v5, v7
	global_load_b64 v[38:39], v[38:39], off
	v_lshl_add_u64 v[40:41], v[4:5], 2, s[8:9]
	v_add_nc_u32_e32 v5, 8, v11
	global_load_b32 v42, v23, s[10:11] scale_offset
	global_load_b64 v[44:45], v[40:41], off
	global_load_b32 v46, v5, s[10:11] scale_offset
	v_add_nc_u32_e32 v4, 0x120, v4
	s_wait_loadcnt 0xf
	v_pk_fma_f32 v[0:1], v[16:17], v[20:21], v[0:1] op_sel_hi:[1,0,1]
	s_wait_loadcnt 0xe
	s_delay_alu instid0(VALU_DEP_1) | instskip(SKIP_1) | instid1(VALU_DEP_1)
	v_pk_fma_f32 v[0:1], v[18:19], v[22:23], v[0:1] op_sel_hi:[1,0,1]
	s_wait_loadcnt 0xb
	v_pk_fma_f32 v[0:1], v[12:13], v[26:27], v[0:1] op_sel_hi:[1,0,1]
	s_wait_loadcnt 0xa
	s_delay_alu instid0(VALU_DEP_1) | instskip(SKIP_1) | instid1(VALU_DEP_1)
	v_pk_fma_f32 v[0:1], v[14:15], v[28:29], v[0:1] op_sel_hi:[1,0,1]
	;; [unrolled: 5-line block ×4, first 2 shown]
	s_wait_loadcnt 0x0
	v_pk_fma_f32 v[0:1], v[44:45], v[46:47], v[0:1] op_sel_hi:[1,0,1]
	s_and_not1_b32 exec_lo, exec_lo, s4
	s_cbranch_execnz .LBB37_9
; %bb.10:
	s_or_b32 exec_lo, exec_lo, s4
.LBB37_11:
	s_delay_alu instid0(SALU_CYCLE_1)
	s_or_b32 exec_lo, exec_lo, s3
	s_cbranch_execz .LBB37_13
	s_branch .LBB37_18
.LBB37_12:
                                        ; implicit-def: $vgpr1
.LBB37_13:
	v_mov_b32_e32 v1, 0
	s_delay_alu instid0(VALU_DEP_1)
	v_mov_b32_e32 v0, v1
	s_and_saveexec_b32 s3, s2
	s_cbranch_execz .LBB37_17
; %bb.14:
	v_mad_u32 v6, v9, 18, 17
	v_mov_b32_e32 v5, 0
	s_mov_b32 s2, 0
	s_delay_alu instid0(VALU_DEP_1)
	v_dual_mov_b32 v0, v5 :: v_dual_mov_b32 v1, v5
.LBB37_15:                              ; =>This Inner Loop Header: Depth=1
	global_load_b32 v7, v9, s[6:7] scale_offset
	v_subrev_nc_u32_e32 v4, 17, v6
	v_dual_add_nc_u32 v12, -8, v6 :: v_dual_add_nc_u32 v14, -7, v6
	v_dual_add_nc_u32 v17, -15, v6 :: v_dual_add_nc_u32 v21, -14, v6
	v_add_nc_u32_e32 v24, -5, v6
	s_delay_alu instid0(VALU_DEP_4)
	v_lshl_add_u64 v[10:11], v[4:5], 2, s[8:9]
	v_dual_add_nc_u32 v29, -4, v6 :: v_dual_add_nc_u32 v32, -12, v6
	s_wait_xcnt 0x0
	v_add_nc_u32_e32 v9, 16, v9
	global_load_b64 v[10:11], v[10:11], off
	v_cmp_ge_i32_e32 vcc_lo, v9, v8
	s_or_b32 s2, vcc_lo, s2
	s_wait_loadcnt 0x1
	v_subrev_nc_u32_e32 v4, s16, v7
	v_add_nc_u32_e32 v7, -6, v6
	s_delay_alu instid0(VALU_DEP_2)
	v_lshl_add_u32 v25, v4, 3, v4
	v_add_nc_u32_e32 v28, -13, v6
	global_load_b32 v13, v12, s[8:9] scale_offset
	global_load_b32 v4, v25, s[10:11] scale_offset
	s_wait_xcnt 0x1
	v_add_nc_u32_e32 v12, 1, v25
	global_load_b32 v15, v14, s[8:9] scale_offset
	s_wait_xcnt 0x0
	v_add_nc_u32_e32 v14, 2, v25
	global_load_b32 v16, v12, s[10:11] scale_offset
	s_wait_xcnt 0x0
	v_add_nc_u32_e32 v12, -3, v6
	s_clause 0x1
	global_load_b32 v18, v17, s[8:9] scale_offset
	global_load_b32 v19, v7, s[8:9] scale_offset
	s_wait_xcnt 0x0
	v_add_nc_u32_e32 v7, 3, v25
	global_load_b32 v20, v14, s[10:11] scale_offset
	s_wait_xcnt 0x0
	v_add_nc_u32_e32 v14, -11, v6
	s_clause 0x1
	global_load_b32 v22, v21, s[8:9] scale_offset
	global_load_b32 v23, v24, s[8:9] scale_offset
	v_add_nc_u32_e32 v17, 4, v25
	global_load_b32 v24, v7, s[10:11] scale_offset
	s_wait_xcnt 0x0
	v_add_nc_u32_e32 v7, -2, v6
	s_clause 0x1
	global_load_b32 v26, v28, s[8:9] scale_offset
	global_load_b32 v27, v29, s[8:9] scale_offset
	;; [unrolled: 7-line block ×3, first 2 shown]
	s_wait_xcnt 0x0
	v_add_nc_u32_e32 v12, 6, v25
	global_load_b32 v32, v21, s[10:11] scale_offset
	s_wait_xcnt 0x0
	v_add_nc_u32_e32 v21, -1, v6
	s_clause 0x1
	global_load_b32 v34, v14, s[8:9] scale_offset
	global_load_b32 v35, v7, s[8:9] scale_offset
	s_wait_xcnt 0x0
	v_add_nc_u32_e32 v7, 7, v25
	global_load_b32 v36, v12, s[10:11] scale_offset
	s_wait_xcnt 0x0
	v_add_nc_u32_e32 v12, -9, v6
	s_clause 0x1
	global_load_b32 v38, v17, s[8:9] scale_offset
	global_load_b32 v39, v21, s[8:9] scale_offset
	v_add_nc_u32_e32 v14, 8, v25
	global_load_b32 v40, v7, s[10:11] scale_offset
	s_clause 0x1
	global_load_b32 v43, v6, s[8:9] scale_offset
	global_load_b32 v42, v12, s[8:9] scale_offset
	;; [unrolled: 1-line block ×3, first 2 shown]
	s_wait_loadcnt 0x19
	s_wait_xcnt 0x0
	v_dual_mov_b32 v12, v10 :: v_dual_mov_b32 v14, v11
	v_add_nc_u32_e32 v6, 0x120, v6
	s_wait_loadcnt 0x17
	s_delay_alu instid0(VALU_DEP_2) | instskip(SKIP_1) | instid1(VALU_DEP_1)
	v_pk_fma_f32 v[0:1], v[12:13], v[4:5], v[0:1] op_sel_hi:[1,0,1]
	s_wait_loadcnt 0x15
	v_pk_fma_f32 v[0:1], v[14:15], v[16:17], v[0:1] op_sel_hi:[1,0,1]
	s_wait_loadcnt 0x12
	s_delay_alu instid0(VALU_DEP_1) | instskip(SKIP_1) | instid1(VALU_DEP_1)
	v_pk_fma_f32 v[0:1], v[18:19], v[20:21], v[0:1] op_sel_hi:[1,0,1]
	s_wait_loadcnt 0xf
	v_pk_fma_f32 v[0:1], v[22:23], v[24:25], v[0:1] op_sel_hi:[1,0,1]
	s_wait_loadcnt 0xc
	s_delay_alu instid0(VALU_DEP_1) | instskip(SKIP_1) | instid1(VALU_DEP_1)
	;; [unrolled: 5-line block ×3, first 2 shown]
	v_pk_fma_f32 v[0:1], v[34:35], v[36:37], v[0:1] op_sel_hi:[1,0,1]
	s_wait_loadcnt 0x3
	v_pk_fma_f32 v[0:1], v[38:39], v[40:41], v[0:1] op_sel_hi:[1,0,1]
	s_wait_loadcnt 0x0
	s_delay_alu instid0(VALU_DEP_1)
	v_pk_fma_f32 v[0:1], v[42:43], v[44:45], v[0:1] op_sel_hi:[1,0,1]
	s_and_not1_b32 exec_lo, exec_lo, s2
	s_cbranch_execnz .LBB37_15
; %bb.16:
	s_or_b32 exec_lo, exec_lo, s2
.LBB37_17:
	s_delay_alu instid0(SALU_CYCLE_1)
	s_or_b32 exec_lo, exec_lo, s3
.LBB37_18:
	v_mbcnt_lo_u32_b32 v6, -1, 0
	s_mov_b32 s2, -1
	s_delay_alu instid0(VALU_DEP_1) | instskip(SKIP_1) | instid1(VALU_DEP_1)
	v_xor_b32_e32 v7, 4, v6
	v_xor_b32_e32 v4, 8, v6
	v_cmp_gt_i32_e32 vcc_lo, 32, v4
	v_cndmask_b32_e32 v4, v6, v4, vcc_lo
	s_delay_alu instid0(VALU_DEP_4) | instskip(SKIP_1) | instid1(VALU_DEP_1)
	v_cmp_gt_i32_e32 vcc_lo, 32, v7
	v_cndmask_b32_e32 v7, v6, v7, vcc_lo
	v_dual_lshlrev_b32 v7, 2, v7 :: v_dual_lshlrev_b32 v5, 2, v4
	ds_bpermute_b32 v4, v5, v0
	ds_bpermute_b32 v5, v5, v1
	s_wait_dscnt 0x0
	v_pk_add_f32 v[0:1], v[0:1], v[4:5]
	ds_bpermute_b32 v4, v7, v0
	ds_bpermute_b32 v5, v7, v1
	v_xor_b32_e32 v7, 2, v6
	s_delay_alu instid0(VALU_DEP_1) | instskip(SKIP_1) | instid1(VALU_DEP_1)
	v_cmp_gt_i32_e32 vcc_lo, 32, v7
	v_cndmask_b32_e32 v7, v6, v7, vcc_lo
	v_lshlrev_b32_e32 v7, 2, v7
	s_wait_dscnt 0x0
	v_pk_add_f32 v[0:1], v[0:1], v[4:5]
	ds_bpermute_b32 v4, v7, v0
	ds_bpermute_b32 v5, v7, v1
	v_xor_b32_e32 v7, 1, v6
	s_delay_alu instid0(VALU_DEP_1) | instskip(SKIP_2) | instid1(VALU_DEP_2)
	v_cmp_gt_i32_e32 vcc_lo, 32, v7
	v_cndmask_b32_e32 v6, v6, v7, vcc_lo
	v_cmp_eq_u32_e32 vcc_lo, 15, v3
	v_lshlrev_b32_e32 v6, 2, v6
	s_wait_dscnt 0x0
	v_pk_add_f32 v[0:1], v[0:1], v[4:5]
	ds_bpermute_b32 v4, v6, v0
	ds_bpermute_b32 v5, v6, v1
	s_and_b32 exec_lo, exec_lo, vcc_lo
	s_cbranch_execz .LBB37_23
; %bb.19:
	s_load_b64 s[0:1], s[0:1], 0x38
	s_wait_dscnt 0x0
	v_pk_add_f32 v[0:1], v[0:1], v[4:5]
	v_lshlrev_b32_e32 v2, 1, v2
	s_cmp_eq_f32 s12, 0
	s_cbranch_scc0 .LBB37_21
; %bb.20:
	s_delay_alu instid0(VALU_DEP_1) | instskip(SKIP_3) | instid1(VALU_DEP_2)
	v_ashrrev_i32_e32 v3, 31, v2
	v_pk_mul_f32 v[6:7], s[14:15], v[0:1] op_sel_hi:[0,1]
	s_mov_b32 s2, 0
	s_wait_kmcnt 0x0
	v_lshl_add_u64 v[4:5], v[2:3], 2, s[0:1]
	global_store_b64 v[4:5], v[6:7], off
.LBB37_21:
	s_and_not1_b32 vcc_lo, exec_lo, s2
	s_cbranch_vccnz .LBB37_23
; %bb.22:
	v_ashrrev_i32_e32 v3, 31, v2
	v_pk_mul_f32 v[0:1], s[14:15], v[0:1] op_sel_hi:[0,1]
	s_wait_kmcnt 0x0
	s_delay_alu instid0(VALU_DEP_2)
	v_lshl_add_u64 v[2:3], v[2:3], 2, s[0:1]
	global_load_b64 v[4:5], v[2:3], off
	s_wait_loadcnt 0x0
	v_pk_fma_f32 v[0:1], s[12:13], v[4:5], v[0:1] op_sel_hi:[0,1,1]
	global_store_b64 v[2:3], v[0:1], off
.LBB37_23:
	s_endpgm
	.section	.rodata,"a",@progbits
	.p2align	6, 0x0
	.amdhsa_kernel _ZN9rocsparseL19gebsrmvn_2xn_kernelILj128ELj9ELj16EfEEvi20rocsparse_direction_NS_24const_host_device_scalarIT2_EEPKiS6_PKS3_S8_S4_PS3_21rocsparse_index_base_b
		.amdhsa_group_segment_fixed_size 0
		.amdhsa_private_segment_fixed_size 0
		.amdhsa_kernarg_size 72
		.amdhsa_user_sgpr_count 2
		.amdhsa_user_sgpr_dispatch_ptr 0
		.amdhsa_user_sgpr_queue_ptr 0
		.amdhsa_user_sgpr_kernarg_segment_ptr 1
		.amdhsa_user_sgpr_dispatch_id 0
		.amdhsa_user_sgpr_kernarg_preload_length 0
		.amdhsa_user_sgpr_kernarg_preload_offset 0
		.amdhsa_user_sgpr_private_segment_size 0
		.amdhsa_wavefront_size32 1
		.amdhsa_uses_dynamic_stack 0
		.amdhsa_enable_private_segment 0
		.amdhsa_system_sgpr_workgroup_id_x 1
		.amdhsa_system_sgpr_workgroup_id_y 0
		.amdhsa_system_sgpr_workgroup_id_z 0
		.amdhsa_system_sgpr_workgroup_info 0
		.amdhsa_system_vgpr_workitem_id 0
		.amdhsa_next_free_vgpr 48
		.amdhsa_next_free_sgpr 18
		.amdhsa_named_barrier_count 0
		.amdhsa_reserve_vcc 1
		.amdhsa_float_round_mode_32 0
		.amdhsa_float_round_mode_16_64 0
		.amdhsa_float_denorm_mode_32 3
		.amdhsa_float_denorm_mode_16_64 3
		.amdhsa_fp16_overflow 0
		.amdhsa_memory_ordered 1
		.amdhsa_forward_progress 1
		.amdhsa_inst_pref_size 17
		.amdhsa_round_robin_scheduling 0
		.amdhsa_exception_fp_ieee_invalid_op 0
		.amdhsa_exception_fp_denorm_src 0
		.amdhsa_exception_fp_ieee_div_zero 0
		.amdhsa_exception_fp_ieee_overflow 0
		.amdhsa_exception_fp_ieee_underflow 0
		.amdhsa_exception_fp_ieee_inexact 0
		.amdhsa_exception_int_div_zero 0
	.end_amdhsa_kernel
	.section	.text._ZN9rocsparseL19gebsrmvn_2xn_kernelILj128ELj9ELj16EfEEvi20rocsparse_direction_NS_24const_host_device_scalarIT2_EEPKiS6_PKS3_S8_S4_PS3_21rocsparse_index_base_b,"axG",@progbits,_ZN9rocsparseL19gebsrmvn_2xn_kernelILj128ELj9ELj16EfEEvi20rocsparse_direction_NS_24const_host_device_scalarIT2_EEPKiS6_PKS3_S8_S4_PS3_21rocsparse_index_base_b,comdat
.Lfunc_end37:
	.size	_ZN9rocsparseL19gebsrmvn_2xn_kernelILj128ELj9ELj16EfEEvi20rocsparse_direction_NS_24const_host_device_scalarIT2_EEPKiS6_PKS3_S8_S4_PS3_21rocsparse_index_base_b, .Lfunc_end37-_ZN9rocsparseL19gebsrmvn_2xn_kernelILj128ELj9ELj16EfEEvi20rocsparse_direction_NS_24const_host_device_scalarIT2_EEPKiS6_PKS3_S8_S4_PS3_21rocsparse_index_base_b
                                        ; -- End function
	.set _ZN9rocsparseL19gebsrmvn_2xn_kernelILj128ELj9ELj16EfEEvi20rocsparse_direction_NS_24const_host_device_scalarIT2_EEPKiS6_PKS3_S8_S4_PS3_21rocsparse_index_base_b.num_vgpr, 48
	.set _ZN9rocsparseL19gebsrmvn_2xn_kernelILj128ELj9ELj16EfEEvi20rocsparse_direction_NS_24const_host_device_scalarIT2_EEPKiS6_PKS3_S8_S4_PS3_21rocsparse_index_base_b.num_agpr, 0
	.set _ZN9rocsparseL19gebsrmvn_2xn_kernelILj128ELj9ELj16EfEEvi20rocsparse_direction_NS_24const_host_device_scalarIT2_EEPKiS6_PKS3_S8_S4_PS3_21rocsparse_index_base_b.numbered_sgpr, 18
	.set _ZN9rocsparseL19gebsrmvn_2xn_kernelILj128ELj9ELj16EfEEvi20rocsparse_direction_NS_24const_host_device_scalarIT2_EEPKiS6_PKS3_S8_S4_PS3_21rocsparse_index_base_b.num_named_barrier, 0
	.set _ZN9rocsparseL19gebsrmvn_2xn_kernelILj128ELj9ELj16EfEEvi20rocsparse_direction_NS_24const_host_device_scalarIT2_EEPKiS6_PKS3_S8_S4_PS3_21rocsparse_index_base_b.private_seg_size, 0
	.set _ZN9rocsparseL19gebsrmvn_2xn_kernelILj128ELj9ELj16EfEEvi20rocsparse_direction_NS_24const_host_device_scalarIT2_EEPKiS6_PKS3_S8_S4_PS3_21rocsparse_index_base_b.uses_vcc, 1
	.set _ZN9rocsparseL19gebsrmvn_2xn_kernelILj128ELj9ELj16EfEEvi20rocsparse_direction_NS_24const_host_device_scalarIT2_EEPKiS6_PKS3_S8_S4_PS3_21rocsparse_index_base_b.uses_flat_scratch, 0
	.set _ZN9rocsparseL19gebsrmvn_2xn_kernelILj128ELj9ELj16EfEEvi20rocsparse_direction_NS_24const_host_device_scalarIT2_EEPKiS6_PKS3_S8_S4_PS3_21rocsparse_index_base_b.has_dyn_sized_stack, 0
	.set _ZN9rocsparseL19gebsrmvn_2xn_kernelILj128ELj9ELj16EfEEvi20rocsparse_direction_NS_24const_host_device_scalarIT2_EEPKiS6_PKS3_S8_S4_PS3_21rocsparse_index_base_b.has_recursion, 0
	.set _ZN9rocsparseL19gebsrmvn_2xn_kernelILj128ELj9ELj16EfEEvi20rocsparse_direction_NS_24const_host_device_scalarIT2_EEPKiS6_PKS3_S8_S4_PS3_21rocsparse_index_base_b.has_indirect_call, 0
	.section	.AMDGPU.csdata,"",@progbits
; Kernel info:
; codeLenInByte = 2084
; TotalNumSgprs: 20
; NumVgprs: 48
; ScratchSize: 0
; MemoryBound: 0
; FloatMode: 240
; IeeeMode: 1
; LDSByteSize: 0 bytes/workgroup (compile time only)
; SGPRBlocks: 0
; VGPRBlocks: 2
; NumSGPRsForWavesPerEU: 20
; NumVGPRsForWavesPerEU: 48
; NamedBarCnt: 0
; Occupancy: 16
; WaveLimiterHint : 1
; COMPUTE_PGM_RSRC2:SCRATCH_EN: 0
; COMPUTE_PGM_RSRC2:USER_SGPR: 2
; COMPUTE_PGM_RSRC2:TRAP_HANDLER: 0
; COMPUTE_PGM_RSRC2:TGID_X_EN: 1
; COMPUTE_PGM_RSRC2:TGID_Y_EN: 0
; COMPUTE_PGM_RSRC2:TGID_Z_EN: 0
; COMPUTE_PGM_RSRC2:TIDIG_COMP_CNT: 0
	.section	.text._ZN9rocsparseL19gebsrmvn_2xn_kernelILj128ELj9ELj32EfEEvi20rocsparse_direction_NS_24const_host_device_scalarIT2_EEPKiS6_PKS3_S8_S4_PS3_21rocsparse_index_base_b,"axG",@progbits,_ZN9rocsparseL19gebsrmvn_2xn_kernelILj128ELj9ELj32EfEEvi20rocsparse_direction_NS_24const_host_device_scalarIT2_EEPKiS6_PKS3_S8_S4_PS3_21rocsparse_index_base_b,comdat
	.globl	_ZN9rocsparseL19gebsrmvn_2xn_kernelILj128ELj9ELj32EfEEvi20rocsparse_direction_NS_24const_host_device_scalarIT2_EEPKiS6_PKS3_S8_S4_PS3_21rocsparse_index_base_b ; -- Begin function _ZN9rocsparseL19gebsrmvn_2xn_kernelILj128ELj9ELj32EfEEvi20rocsparse_direction_NS_24const_host_device_scalarIT2_EEPKiS6_PKS3_S8_S4_PS3_21rocsparse_index_base_b
	.p2align	8
	.type	_ZN9rocsparseL19gebsrmvn_2xn_kernelILj128ELj9ELj32EfEEvi20rocsparse_direction_NS_24const_host_device_scalarIT2_EEPKiS6_PKS3_S8_S4_PS3_21rocsparse_index_base_b,@function
_ZN9rocsparseL19gebsrmvn_2xn_kernelILj128ELj9ELj32EfEEvi20rocsparse_direction_NS_24const_host_device_scalarIT2_EEPKiS6_PKS3_S8_S4_PS3_21rocsparse_index_base_b: ; @_ZN9rocsparseL19gebsrmvn_2xn_kernelILj128ELj9ELj32EfEEvi20rocsparse_direction_NS_24const_host_device_scalarIT2_EEPKiS6_PKS3_S8_S4_PS3_21rocsparse_index_base_b
; %bb.0:
	s_clause 0x2
	s_load_b64 s[16:17], s[0:1], 0x40
	s_load_b64 s[14:15], s[0:1], 0x8
	;; [unrolled: 1-line block ×3, first 2 shown]
	s_wait_kmcnt 0x0
	s_bitcmp1_b32 s17, 0
	s_cselect_b32 s2, -1, 0
	s_delay_alu instid0(SALU_CYCLE_1)
	s_and_b32 vcc_lo, exec_lo, s2
	s_xor_b32 s2, s2, -1
	s_cbranch_vccnz .LBB38_2
; %bb.1:
	s_load_b32 s14, s[14:15], 0x0
.LBB38_2:
	s_and_not1_b32 vcc_lo, exec_lo, s2
	s_cbranch_vccnz .LBB38_4
; %bb.3:
	s_load_b32 s12, s[12:13], 0x0
.LBB38_4:
	s_wait_kmcnt 0x0
	s_cmp_eq_f32 s14, 0
	s_cselect_b32 s2, -1, 0
	s_cmp_eq_f32 s12, 1.0
	s_cselect_b32 s3, -1, 0
	s_delay_alu instid0(SALU_CYCLE_1) | instskip(NEXT) | instid1(SALU_CYCLE_1)
	s_and_b32 s2, s2, s3
	s_and_b32 vcc_lo, exec_lo, s2
	s_cbranch_vccnz .LBB38_23
; %bb.5:
	s_load_b64 s[2:3], s[0:1], 0x0
	s_bfe_u32 s4, ttmp6, 0x4000c
	s_and_b32 s5, ttmp6, 15
	s_add_co_i32 s4, s4, 1
	s_getreg_b32 s6, hwreg(HW_REG_IB_STS2, 6, 4)
	s_mul_i32 s4, ttmp9, s4
	v_lshrrev_b32_e32 v1, 5, v0
	s_add_co_i32 s5, s5, s4
	s_cmp_eq_u32 s6, 0
	s_cselect_b32 s4, ttmp9, s5
	s_delay_alu instid0(VALU_DEP_1) | instid1(SALU_CYCLE_1)
	v_lshl_or_b32 v2, s4, 2, v1
	s_wait_kmcnt 0x0
	s_delay_alu instid0(VALU_DEP_1)
	v_cmp_gt_i32_e32 vcc_lo, s2, v2
	s_and_saveexec_b32 s2, vcc_lo
	s_cbranch_execz .LBB38_23
; %bb.6:
	s_load_b256 s[4:11], s[0:1], 0x10
	v_ashrrev_i32_e32 v3, 31, v2
	s_cmp_lg_u32 s3, 0
	s_wait_kmcnt 0x0
	s_delay_alu instid0(VALU_DEP_1)
	v_lshl_add_u64 v[4:5], v[2:3], 2, s[4:5]
	v_and_b32_e32 v3, 31, v0
	global_load_b64 v[4:5], v[4:5], off
	s_wait_loadcnt 0x0
	v_subrev_nc_u32_e32 v0, s16, v4
	v_subrev_nc_u32_e32 v8, s16, v5
	s_delay_alu instid0(VALU_DEP_2) | instskip(NEXT) | instid1(VALU_DEP_1)
	v_add_nc_u32_e32 v9, v0, v3
	v_cmp_lt_i32_e64 s2, v9, v8
	s_cbranch_scc0 .LBB38_12
; %bb.7:
	v_mov_b32_e32 v1, 0
	s_delay_alu instid0(VALU_DEP_1)
	v_mov_b32_e32 v0, v1
	s_and_saveexec_b32 s3, s2
	s_cbranch_execz .LBB38_11
; %bb.8:
	v_mad_u32 v4, v9, 18, 16
	v_dual_mov_b32 v7, 0 :: v_dual_mov_b32 v10, v9
	s_mov_b32 s4, 0
	s_delay_alu instid0(VALU_DEP_1)
	v_dual_mov_b32 v0, v7 :: v_dual_mov_b32 v1, v7
.LBB38_9:                               ; =>This Inner Loop Header: Depth=1
	global_load_b32 v5, v10, s[6:7] scale_offset
	s_wait_xcnt 0x0
	v_add_nc_u32_e32 v10, 32, v10
	s_delay_alu instid0(VALU_DEP_1) | instskip(SKIP_3) | instid1(VALU_DEP_1)
	v_cmp_ge_i32_e32 vcc_lo, v10, v8
	s_or_b32 s4, vcc_lo, s4
	s_wait_loadcnt 0x0
	v_subrev_nc_u32_e32 v5, s16, v5
	v_lshl_add_u32 v11, v5, 3, v5
	s_delay_alu instid0(VALU_DEP_1) | instskip(NEXT) | instid1(VALU_DEP_1)
	v_dual_add_nc_u32 v6, -16, v4 :: v_dual_add_nc_u32 v5, 1, v11
	v_lshl_add_u64 v[12:13], v[6:7], 2, s[8:9]
	v_dual_add_nc_u32 v6, -14, v4 :: v_dual_add_nc_u32 v21, 2, v11
	v_add_nc_u32_e32 v23, 7, v11
	s_delay_alu instid0(VALU_DEP_2)
	v_lshl_add_u64 v[14:15], v[6:7], 2, s[8:9]
	v_add_nc_u32_e32 v6, -12, v4
	s_clause 0x1
	global_load_b64 v[16:17], v[12:13], off
	global_load_b64 v[18:19], v[14:15], off
	s_clause 0x1
	global_load_b32 v20, v11, s[10:11] scale_offset
	global_load_b32 v22, v5, s[10:11] scale_offset
	s_wait_xcnt 0x0
	v_add_nc_u32_e32 v5, 3, v11
	v_lshl_add_u64 v[12:13], v[6:7], 2, s[8:9]
	s_clause 0x1
	global_load_b32 v26, v21, s[10:11] scale_offset
	global_load_b32 v28, v5, s[10:11] scale_offset
	s_wait_xcnt 0x1
	v_dual_add_nc_u32 v6, -10, v4 :: v_dual_add_nc_u32 v21, 4, v11
	global_load_b64 v[12:13], v[12:13], off
	s_wait_xcnt 0x1
	v_add_nc_u32_e32 v5, 5, v11
	v_lshl_add_u64 v[14:15], v[6:7], 2, s[8:9]
	v_add_nc_u32_e32 v6, -8, v4
	global_load_b64 v[14:15], v[14:15], off
	v_lshl_add_u64 v[24:25], v[6:7], 2, s[8:9]
	v_add_nc_u32_e32 v6, -6, v4
	global_load_b64 v[24:25], v[24:25], off
	v_lshl_add_u64 v[30:31], v[6:7], 2, s[8:9]
	v_add_nc_u32_e32 v6, -4, v4
	global_load_b32 v32, v21, s[10:11] scale_offset
	global_load_b64 v[34:35], v[30:31], off
	s_wait_xcnt 0x1
	v_add_nc_u32_e32 v21, 6, v11
	s_wait_xcnt 0x0
	v_lshl_add_u64 v[30:31], v[6:7], 2, s[8:9]
	v_add_nc_u32_e32 v6, -2, v4
	global_load_b32 v36, v5, s[10:11] scale_offset
	global_load_b64 v[30:31], v[30:31], off
	v_lshl_add_u64 v[38:39], v[6:7], 2, s[8:9]
	global_load_b32 v6, v21, s[10:11] scale_offset
	s_wait_xcnt 0x2
	v_mov_b32_e32 v5, v7
	global_load_b64 v[38:39], v[38:39], off
	v_lshl_add_u64 v[40:41], v[4:5], 2, s[8:9]
	v_add_nc_u32_e32 v5, 8, v11
	global_load_b32 v42, v23, s[10:11] scale_offset
	global_load_b64 v[44:45], v[40:41], off
	global_load_b32 v46, v5, s[10:11] scale_offset
	v_add_nc_u32_e32 v4, 0x240, v4
	s_wait_loadcnt 0xf
	v_pk_fma_f32 v[0:1], v[16:17], v[20:21], v[0:1] op_sel_hi:[1,0,1]
	s_wait_loadcnt 0xe
	s_delay_alu instid0(VALU_DEP_1) | instskip(SKIP_1) | instid1(VALU_DEP_1)
	v_pk_fma_f32 v[0:1], v[18:19], v[22:23], v[0:1] op_sel_hi:[1,0,1]
	s_wait_loadcnt 0xb
	v_pk_fma_f32 v[0:1], v[12:13], v[26:27], v[0:1] op_sel_hi:[1,0,1]
	s_wait_loadcnt 0xa
	s_delay_alu instid0(VALU_DEP_1) | instskip(SKIP_1) | instid1(VALU_DEP_1)
	v_pk_fma_f32 v[0:1], v[14:15], v[28:29], v[0:1] op_sel_hi:[1,0,1]
	;; [unrolled: 5-line block ×4, first 2 shown]
	s_wait_loadcnt 0x0
	v_pk_fma_f32 v[0:1], v[44:45], v[46:47], v[0:1] op_sel_hi:[1,0,1]
	s_and_not1_b32 exec_lo, exec_lo, s4
	s_cbranch_execnz .LBB38_9
; %bb.10:
	s_or_b32 exec_lo, exec_lo, s4
.LBB38_11:
	s_delay_alu instid0(SALU_CYCLE_1)
	s_or_b32 exec_lo, exec_lo, s3
	s_cbranch_execz .LBB38_13
	s_branch .LBB38_18
.LBB38_12:
                                        ; implicit-def: $vgpr1
.LBB38_13:
	v_mov_b32_e32 v1, 0
	s_delay_alu instid0(VALU_DEP_1)
	v_mov_b32_e32 v0, v1
	s_and_saveexec_b32 s3, s2
	s_cbranch_execz .LBB38_17
; %bb.14:
	v_mad_u32 v6, v9, 18, 17
	v_mov_b32_e32 v5, 0
	s_mov_b32 s2, 0
	s_delay_alu instid0(VALU_DEP_1)
	v_dual_mov_b32 v0, v5 :: v_dual_mov_b32 v1, v5
.LBB38_15:                              ; =>This Inner Loop Header: Depth=1
	global_load_b32 v7, v9, s[6:7] scale_offset
	v_subrev_nc_u32_e32 v4, 17, v6
	v_dual_add_nc_u32 v12, -8, v6 :: v_dual_add_nc_u32 v14, -7, v6
	v_dual_add_nc_u32 v17, -15, v6 :: v_dual_add_nc_u32 v21, -14, v6
	v_add_nc_u32_e32 v24, -5, v6
	s_delay_alu instid0(VALU_DEP_4)
	v_lshl_add_u64 v[10:11], v[4:5], 2, s[8:9]
	v_dual_add_nc_u32 v29, -4, v6 :: v_dual_add_nc_u32 v32, -12, v6
	s_wait_xcnt 0x0
	v_add_nc_u32_e32 v9, 32, v9
	global_load_b64 v[10:11], v[10:11], off
	v_cmp_ge_i32_e32 vcc_lo, v9, v8
	s_or_b32 s2, vcc_lo, s2
	s_wait_loadcnt 0x1
	v_subrev_nc_u32_e32 v4, s16, v7
	v_add_nc_u32_e32 v7, -6, v6
	s_delay_alu instid0(VALU_DEP_2)
	v_lshl_add_u32 v25, v4, 3, v4
	v_add_nc_u32_e32 v28, -13, v6
	global_load_b32 v13, v12, s[8:9] scale_offset
	global_load_b32 v4, v25, s[10:11] scale_offset
	s_wait_xcnt 0x1
	v_add_nc_u32_e32 v12, 1, v25
	global_load_b32 v15, v14, s[8:9] scale_offset
	s_wait_xcnt 0x0
	v_add_nc_u32_e32 v14, 2, v25
	global_load_b32 v16, v12, s[10:11] scale_offset
	s_wait_xcnt 0x0
	v_add_nc_u32_e32 v12, -3, v6
	s_clause 0x1
	global_load_b32 v18, v17, s[8:9] scale_offset
	global_load_b32 v19, v7, s[8:9] scale_offset
	s_wait_xcnt 0x0
	v_add_nc_u32_e32 v7, 3, v25
	global_load_b32 v20, v14, s[10:11] scale_offset
	s_wait_xcnt 0x0
	v_add_nc_u32_e32 v14, -11, v6
	s_clause 0x1
	global_load_b32 v22, v21, s[8:9] scale_offset
	global_load_b32 v23, v24, s[8:9] scale_offset
	v_add_nc_u32_e32 v17, 4, v25
	global_load_b32 v24, v7, s[10:11] scale_offset
	s_wait_xcnt 0x0
	v_add_nc_u32_e32 v7, -2, v6
	s_clause 0x1
	global_load_b32 v26, v28, s[8:9] scale_offset
	global_load_b32 v27, v29, s[8:9] scale_offset
	;; [unrolled: 7-line block ×3, first 2 shown]
	s_wait_xcnt 0x0
	v_add_nc_u32_e32 v12, 6, v25
	global_load_b32 v32, v21, s[10:11] scale_offset
	s_wait_xcnt 0x0
	v_add_nc_u32_e32 v21, -1, v6
	s_clause 0x1
	global_load_b32 v34, v14, s[8:9] scale_offset
	global_load_b32 v35, v7, s[8:9] scale_offset
	s_wait_xcnt 0x0
	v_add_nc_u32_e32 v7, 7, v25
	global_load_b32 v36, v12, s[10:11] scale_offset
	s_wait_xcnt 0x0
	v_add_nc_u32_e32 v12, -9, v6
	s_clause 0x1
	global_load_b32 v38, v17, s[8:9] scale_offset
	global_load_b32 v39, v21, s[8:9] scale_offset
	v_add_nc_u32_e32 v14, 8, v25
	global_load_b32 v40, v7, s[10:11] scale_offset
	s_clause 0x1
	global_load_b32 v43, v6, s[8:9] scale_offset
	global_load_b32 v42, v12, s[8:9] scale_offset
	;; [unrolled: 1-line block ×3, first 2 shown]
	s_wait_loadcnt 0x19
	s_wait_xcnt 0x0
	v_dual_mov_b32 v12, v10 :: v_dual_mov_b32 v14, v11
	v_add_nc_u32_e32 v6, 0x240, v6
	s_wait_loadcnt 0x17
	s_delay_alu instid0(VALU_DEP_2) | instskip(SKIP_1) | instid1(VALU_DEP_1)
	v_pk_fma_f32 v[0:1], v[12:13], v[4:5], v[0:1] op_sel_hi:[1,0,1]
	s_wait_loadcnt 0x15
	v_pk_fma_f32 v[0:1], v[14:15], v[16:17], v[0:1] op_sel_hi:[1,0,1]
	s_wait_loadcnt 0x12
	s_delay_alu instid0(VALU_DEP_1) | instskip(SKIP_1) | instid1(VALU_DEP_1)
	v_pk_fma_f32 v[0:1], v[18:19], v[20:21], v[0:1] op_sel_hi:[1,0,1]
	s_wait_loadcnt 0xf
	v_pk_fma_f32 v[0:1], v[22:23], v[24:25], v[0:1] op_sel_hi:[1,0,1]
	s_wait_loadcnt 0xc
	s_delay_alu instid0(VALU_DEP_1) | instskip(SKIP_1) | instid1(VALU_DEP_1)
	;; [unrolled: 5-line block ×3, first 2 shown]
	v_pk_fma_f32 v[0:1], v[34:35], v[36:37], v[0:1] op_sel_hi:[1,0,1]
	s_wait_loadcnt 0x3
	v_pk_fma_f32 v[0:1], v[38:39], v[40:41], v[0:1] op_sel_hi:[1,0,1]
	s_wait_loadcnt 0x0
	s_delay_alu instid0(VALU_DEP_1)
	v_pk_fma_f32 v[0:1], v[42:43], v[44:45], v[0:1] op_sel_hi:[1,0,1]
	s_and_not1_b32 exec_lo, exec_lo, s2
	s_cbranch_execnz .LBB38_15
; %bb.16:
	s_or_b32 exec_lo, exec_lo, s2
.LBB38_17:
	s_delay_alu instid0(SALU_CYCLE_1)
	s_or_b32 exec_lo, exec_lo, s3
.LBB38_18:
	v_mbcnt_lo_u32_b32 v6, -1, 0
	s_mov_b32 s2, -1
	s_delay_alu instid0(VALU_DEP_1) | instskip(SKIP_1) | instid1(VALU_DEP_1)
	v_xor_b32_e32 v7, 8, v6
	v_xor_b32_e32 v4, 16, v6
	v_cmp_gt_i32_e32 vcc_lo, 32, v4
	v_cndmask_b32_e32 v4, v6, v4, vcc_lo
	s_delay_alu instid0(VALU_DEP_4) | instskip(SKIP_1) | instid1(VALU_DEP_1)
	v_cmp_gt_i32_e32 vcc_lo, 32, v7
	v_cndmask_b32_e32 v7, v6, v7, vcc_lo
	v_dual_lshlrev_b32 v7, 2, v7 :: v_dual_lshlrev_b32 v5, 2, v4
	ds_bpermute_b32 v4, v5, v0
	ds_bpermute_b32 v5, v5, v1
	s_wait_dscnt 0x0
	v_pk_add_f32 v[0:1], v[0:1], v[4:5]
	ds_bpermute_b32 v4, v7, v0
	ds_bpermute_b32 v5, v7, v1
	v_xor_b32_e32 v7, 4, v6
	s_delay_alu instid0(VALU_DEP_1) | instskip(SKIP_1) | instid1(VALU_DEP_1)
	v_cmp_gt_i32_e32 vcc_lo, 32, v7
	v_cndmask_b32_e32 v7, v6, v7, vcc_lo
	v_lshlrev_b32_e32 v7, 2, v7
	s_wait_dscnt 0x0
	v_pk_add_f32 v[0:1], v[0:1], v[4:5]
	ds_bpermute_b32 v4, v7, v0
	ds_bpermute_b32 v5, v7, v1
	v_xor_b32_e32 v7, 2, v6
	s_delay_alu instid0(VALU_DEP_1) | instskip(SKIP_1) | instid1(VALU_DEP_1)
	v_cmp_gt_i32_e32 vcc_lo, 32, v7
	v_cndmask_b32_e32 v7, v6, v7, vcc_lo
	v_lshlrev_b32_e32 v7, 2, v7
	s_wait_dscnt 0x0
	v_pk_add_f32 v[0:1], v[0:1], v[4:5]
	ds_bpermute_b32 v4, v7, v0
	ds_bpermute_b32 v5, v7, v1
	v_xor_b32_e32 v7, 1, v6
	s_delay_alu instid0(VALU_DEP_1) | instskip(SKIP_2) | instid1(VALU_DEP_2)
	v_cmp_gt_i32_e32 vcc_lo, 32, v7
	v_cndmask_b32_e32 v6, v6, v7, vcc_lo
	v_cmp_eq_u32_e32 vcc_lo, 31, v3
	v_lshlrev_b32_e32 v6, 2, v6
	s_wait_dscnt 0x0
	v_pk_add_f32 v[0:1], v[0:1], v[4:5]
	ds_bpermute_b32 v4, v6, v0
	ds_bpermute_b32 v5, v6, v1
	s_and_b32 exec_lo, exec_lo, vcc_lo
	s_cbranch_execz .LBB38_23
; %bb.19:
	s_load_b64 s[0:1], s[0:1], 0x38
	s_wait_dscnt 0x0
	v_pk_add_f32 v[0:1], v[0:1], v[4:5]
	v_lshlrev_b32_e32 v2, 1, v2
	s_cmp_eq_f32 s12, 0
	s_cbranch_scc0 .LBB38_21
; %bb.20:
	s_delay_alu instid0(VALU_DEP_1) | instskip(SKIP_3) | instid1(VALU_DEP_2)
	v_ashrrev_i32_e32 v3, 31, v2
	v_pk_mul_f32 v[6:7], s[14:15], v[0:1] op_sel_hi:[0,1]
	s_mov_b32 s2, 0
	s_wait_kmcnt 0x0
	v_lshl_add_u64 v[4:5], v[2:3], 2, s[0:1]
	global_store_b64 v[4:5], v[6:7], off
.LBB38_21:
	s_and_not1_b32 vcc_lo, exec_lo, s2
	s_cbranch_vccnz .LBB38_23
; %bb.22:
	v_ashrrev_i32_e32 v3, 31, v2
	v_pk_mul_f32 v[0:1], s[14:15], v[0:1] op_sel_hi:[0,1]
	s_wait_kmcnt 0x0
	s_delay_alu instid0(VALU_DEP_2)
	v_lshl_add_u64 v[2:3], v[2:3], 2, s[0:1]
	global_load_b64 v[4:5], v[2:3], off
	s_wait_loadcnt 0x0
	v_pk_fma_f32 v[0:1], s[12:13], v[4:5], v[0:1] op_sel_hi:[0,1,1]
	global_store_b64 v[2:3], v[0:1], off
.LBB38_23:
	s_endpgm
	.section	.rodata,"a",@progbits
	.p2align	6, 0x0
	.amdhsa_kernel _ZN9rocsparseL19gebsrmvn_2xn_kernelILj128ELj9ELj32EfEEvi20rocsparse_direction_NS_24const_host_device_scalarIT2_EEPKiS6_PKS3_S8_S4_PS3_21rocsparse_index_base_b
		.amdhsa_group_segment_fixed_size 0
		.amdhsa_private_segment_fixed_size 0
		.amdhsa_kernarg_size 72
		.amdhsa_user_sgpr_count 2
		.amdhsa_user_sgpr_dispatch_ptr 0
		.amdhsa_user_sgpr_queue_ptr 0
		.amdhsa_user_sgpr_kernarg_segment_ptr 1
		.amdhsa_user_sgpr_dispatch_id 0
		.amdhsa_user_sgpr_kernarg_preload_length 0
		.amdhsa_user_sgpr_kernarg_preload_offset 0
		.amdhsa_user_sgpr_private_segment_size 0
		.amdhsa_wavefront_size32 1
		.amdhsa_uses_dynamic_stack 0
		.amdhsa_enable_private_segment 0
		.amdhsa_system_sgpr_workgroup_id_x 1
		.amdhsa_system_sgpr_workgroup_id_y 0
		.amdhsa_system_sgpr_workgroup_id_z 0
		.amdhsa_system_sgpr_workgroup_info 0
		.amdhsa_system_vgpr_workitem_id 0
		.amdhsa_next_free_vgpr 48
		.amdhsa_next_free_sgpr 18
		.amdhsa_named_barrier_count 0
		.amdhsa_reserve_vcc 1
		.amdhsa_float_round_mode_32 0
		.amdhsa_float_round_mode_16_64 0
		.amdhsa_float_denorm_mode_32 3
		.amdhsa_float_denorm_mode_16_64 3
		.amdhsa_fp16_overflow 0
		.amdhsa_memory_ordered 1
		.amdhsa_forward_progress 1
		.amdhsa_inst_pref_size 17
		.amdhsa_round_robin_scheduling 0
		.amdhsa_exception_fp_ieee_invalid_op 0
		.amdhsa_exception_fp_denorm_src 0
		.amdhsa_exception_fp_ieee_div_zero 0
		.amdhsa_exception_fp_ieee_overflow 0
		.amdhsa_exception_fp_ieee_underflow 0
		.amdhsa_exception_fp_ieee_inexact 0
		.amdhsa_exception_int_div_zero 0
	.end_amdhsa_kernel
	.section	.text._ZN9rocsparseL19gebsrmvn_2xn_kernelILj128ELj9ELj32EfEEvi20rocsparse_direction_NS_24const_host_device_scalarIT2_EEPKiS6_PKS3_S8_S4_PS3_21rocsparse_index_base_b,"axG",@progbits,_ZN9rocsparseL19gebsrmvn_2xn_kernelILj128ELj9ELj32EfEEvi20rocsparse_direction_NS_24const_host_device_scalarIT2_EEPKiS6_PKS3_S8_S4_PS3_21rocsparse_index_base_b,comdat
.Lfunc_end38:
	.size	_ZN9rocsparseL19gebsrmvn_2xn_kernelILj128ELj9ELj32EfEEvi20rocsparse_direction_NS_24const_host_device_scalarIT2_EEPKiS6_PKS3_S8_S4_PS3_21rocsparse_index_base_b, .Lfunc_end38-_ZN9rocsparseL19gebsrmvn_2xn_kernelILj128ELj9ELj32EfEEvi20rocsparse_direction_NS_24const_host_device_scalarIT2_EEPKiS6_PKS3_S8_S4_PS3_21rocsparse_index_base_b
                                        ; -- End function
	.set _ZN9rocsparseL19gebsrmvn_2xn_kernelILj128ELj9ELj32EfEEvi20rocsparse_direction_NS_24const_host_device_scalarIT2_EEPKiS6_PKS3_S8_S4_PS3_21rocsparse_index_base_b.num_vgpr, 48
	.set _ZN9rocsparseL19gebsrmvn_2xn_kernelILj128ELj9ELj32EfEEvi20rocsparse_direction_NS_24const_host_device_scalarIT2_EEPKiS6_PKS3_S8_S4_PS3_21rocsparse_index_base_b.num_agpr, 0
	.set _ZN9rocsparseL19gebsrmvn_2xn_kernelILj128ELj9ELj32EfEEvi20rocsparse_direction_NS_24const_host_device_scalarIT2_EEPKiS6_PKS3_S8_S4_PS3_21rocsparse_index_base_b.numbered_sgpr, 18
	.set _ZN9rocsparseL19gebsrmvn_2xn_kernelILj128ELj9ELj32EfEEvi20rocsparse_direction_NS_24const_host_device_scalarIT2_EEPKiS6_PKS3_S8_S4_PS3_21rocsparse_index_base_b.num_named_barrier, 0
	.set _ZN9rocsparseL19gebsrmvn_2xn_kernelILj128ELj9ELj32EfEEvi20rocsparse_direction_NS_24const_host_device_scalarIT2_EEPKiS6_PKS3_S8_S4_PS3_21rocsparse_index_base_b.private_seg_size, 0
	.set _ZN9rocsparseL19gebsrmvn_2xn_kernelILj128ELj9ELj32EfEEvi20rocsparse_direction_NS_24const_host_device_scalarIT2_EEPKiS6_PKS3_S8_S4_PS3_21rocsparse_index_base_b.uses_vcc, 1
	.set _ZN9rocsparseL19gebsrmvn_2xn_kernelILj128ELj9ELj32EfEEvi20rocsparse_direction_NS_24const_host_device_scalarIT2_EEPKiS6_PKS3_S8_S4_PS3_21rocsparse_index_base_b.uses_flat_scratch, 0
	.set _ZN9rocsparseL19gebsrmvn_2xn_kernelILj128ELj9ELj32EfEEvi20rocsparse_direction_NS_24const_host_device_scalarIT2_EEPKiS6_PKS3_S8_S4_PS3_21rocsparse_index_base_b.has_dyn_sized_stack, 0
	.set _ZN9rocsparseL19gebsrmvn_2xn_kernelILj128ELj9ELj32EfEEvi20rocsparse_direction_NS_24const_host_device_scalarIT2_EEPKiS6_PKS3_S8_S4_PS3_21rocsparse_index_base_b.has_recursion, 0
	.set _ZN9rocsparseL19gebsrmvn_2xn_kernelILj128ELj9ELj32EfEEvi20rocsparse_direction_NS_24const_host_device_scalarIT2_EEPKiS6_PKS3_S8_S4_PS3_21rocsparse_index_base_b.has_indirect_call, 0
	.section	.AMDGPU.csdata,"",@progbits
; Kernel info:
; codeLenInByte = 2132
; TotalNumSgprs: 20
; NumVgprs: 48
; ScratchSize: 0
; MemoryBound: 0
; FloatMode: 240
; IeeeMode: 1
; LDSByteSize: 0 bytes/workgroup (compile time only)
; SGPRBlocks: 0
; VGPRBlocks: 2
; NumSGPRsForWavesPerEU: 20
; NumVGPRsForWavesPerEU: 48
; NamedBarCnt: 0
; Occupancy: 16
; WaveLimiterHint : 1
; COMPUTE_PGM_RSRC2:SCRATCH_EN: 0
; COMPUTE_PGM_RSRC2:USER_SGPR: 2
; COMPUTE_PGM_RSRC2:TRAP_HANDLER: 0
; COMPUTE_PGM_RSRC2:TGID_X_EN: 1
; COMPUTE_PGM_RSRC2:TGID_Y_EN: 0
; COMPUTE_PGM_RSRC2:TGID_Z_EN: 0
; COMPUTE_PGM_RSRC2:TIDIG_COMP_CNT: 0
	.section	.text._ZN9rocsparseL19gebsrmvn_2xn_kernelILj128ELj9ELj64EfEEvi20rocsparse_direction_NS_24const_host_device_scalarIT2_EEPKiS6_PKS3_S8_S4_PS3_21rocsparse_index_base_b,"axG",@progbits,_ZN9rocsparseL19gebsrmvn_2xn_kernelILj128ELj9ELj64EfEEvi20rocsparse_direction_NS_24const_host_device_scalarIT2_EEPKiS6_PKS3_S8_S4_PS3_21rocsparse_index_base_b,comdat
	.globl	_ZN9rocsparseL19gebsrmvn_2xn_kernelILj128ELj9ELj64EfEEvi20rocsparse_direction_NS_24const_host_device_scalarIT2_EEPKiS6_PKS3_S8_S4_PS3_21rocsparse_index_base_b ; -- Begin function _ZN9rocsparseL19gebsrmvn_2xn_kernelILj128ELj9ELj64EfEEvi20rocsparse_direction_NS_24const_host_device_scalarIT2_EEPKiS6_PKS3_S8_S4_PS3_21rocsparse_index_base_b
	.p2align	8
	.type	_ZN9rocsparseL19gebsrmvn_2xn_kernelILj128ELj9ELj64EfEEvi20rocsparse_direction_NS_24const_host_device_scalarIT2_EEPKiS6_PKS3_S8_S4_PS3_21rocsparse_index_base_b,@function
_ZN9rocsparseL19gebsrmvn_2xn_kernelILj128ELj9ELj64EfEEvi20rocsparse_direction_NS_24const_host_device_scalarIT2_EEPKiS6_PKS3_S8_S4_PS3_21rocsparse_index_base_b: ; @_ZN9rocsparseL19gebsrmvn_2xn_kernelILj128ELj9ELj64EfEEvi20rocsparse_direction_NS_24const_host_device_scalarIT2_EEPKiS6_PKS3_S8_S4_PS3_21rocsparse_index_base_b
; %bb.0:
	s_clause 0x2
	s_load_b64 s[16:17], s[0:1], 0x40
	s_load_b64 s[14:15], s[0:1], 0x8
	;; [unrolled: 1-line block ×3, first 2 shown]
	s_wait_kmcnt 0x0
	s_bitcmp1_b32 s17, 0
	s_cselect_b32 s2, -1, 0
	s_delay_alu instid0(SALU_CYCLE_1)
	s_and_b32 vcc_lo, exec_lo, s2
	s_xor_b32 s2, s2, -1
	s_cbranch_vccnz .LBB39_2
; %bb.1:
	s_load_b32 s14, s[14:15], 0x0
.LBB39_2:
	s_and_not1_b32 vcc_lo, exec_lo, s2
	s_cbranch_vccnz .LBB39_4
; %bb.3:
	s_load_b32 s12, s[12:13], 0x0
.LBB39_4:
	s_wait_kmcnt 0x0
	s_cmp_eq_f32 s14, 0
	s_cselect_b32 s2, -1, 0
	s_cmp_eq_f32 s12, 1.0
	s_cselect_b32 s3, -1, 0
	s_delay_alu instid0(SALU_CYCLE_1) | instskip(NEXT) | instid1(SALU_CYCLE_1)
	s_and_b32 s2, s2, s3
	s_and_b32 vcc_lo, exec_lo, s2
	s_cbranch_vccnz .LBB39_23
; %bb.5:
	s_load_b64 s[2:3], s[0:1], 0x0
	s_bfe_u32 s4, ttmp6, 0x4000c
	s_and_b32 s5, ttmp6, 15
	s_add_co_i32 s4, s4, 1
	s_getreg_b32 s6, hwreg(HW_REG_IB_STS2, 6, 4)
	s_mul_i32 s4, ttmp9, s4
	v_lshrrev_b32_e32 v1, 6, v0
	s_add_co_i32 s5, s5, s4
	s_cmp_eq_u32 s6, 0
	s_cselect_b32 s4, ttmp9, s5
	s_delay_alu instid0(VALU_DEP_1) | instid1(SALU_CYCLE_1)
	v_lshl_or_b32 v2, s4, 1, v1
	s_wait_kmcnt 0x0
	s_delay_alu instid0(VALU_DEP_1)
	v_cmp_gt_i32_e32 vcc_lo, s2, v2
	s_and_saveexec_b32 s2, vcc_lo
	s_cbranch_execz .LBB39_23
; %bb.6:
	s_load_b256 s[4:11], s[0:1], 0x10
	v_ashrrev_i32_e32 v3, 31, v2
	s_cmp_lg_u32 s3, 0
	s_wait_kmcnt 0x0
	s_delay_alu instid0(VALU_DEP_1)
	v_lshl_add_u64 v[4:5], v[2:3], 2, s[4:5]
	v_and_b32_e32 v3, 63, v0
	global_load_b64 v[4:5], v[4:5], off
	s_wait_loadcnt 0x0
	v_subrev_nc_u32_e32 v0, s16, v4
	v_subrev_nc_u32_e32 v8, s16, v5
	s_delay_alu instid0(VALU_DEP_2) | instskip(NEXT) | instid1(VALU_DEP_1)
	v_add_nc_u32_e32 v9, v0, v3
	v_cmp_lt_i32_e64 s2, v9, v8
	s_cbranch_scc0 .LBB39_12
; %bb.7:
	v_mov_b32_e32 v1, 0
	s_delay_alu instid0(VALU_DEP_1)
	v_mov_b32_e32 v0, v1
	s_and_saveexec_b32 s3, s2
	s_cbranch_execz .LBB39_11
; %bb.8:
	v_mad_u32 v4, v9, 18, 16
	v_dual_mov_b32 v7, 0 :: v_dual_mov_b32 v10, v9
	s_mov_b32 s4, 0
	s_delay_alu instid0(VALU_DEP_1)
	v_dual_mov_b32 v0, v7 :: v_dual_mov_b32 v1, v7
.LBB39_9:                               ; =>This Inner Loop Header: Depth=1
	global_load_b32 v5, v10, s[6:7] scale_offset
	s_wait_xcnt 0x0
	v_add_nc_u32_e32 v10, 64, v10
	s_delay_alu instid0(VALU_DEP_1) | instskip(SKIP_3) | instid1(VALU_DEP_1)
	v_cmp_ge_i32_e32 vcc_lo, v10, v8
	s_or_b32 s4, vcc_lo, s4
	s_wait_loadcnt 0x0
	v_subrev_nc_u32_e32 v5, s16, v5
	v_lshl_add_u32 v11, v5, 3, v5
	s_delay_alu instid0(VALU_DEP_1) | instskip(NEXT) | instid1(VALU_DEP_1)
	v_dual_add_nc_u32 v6, -16, v4 :: v_dual_add_nc_u32 v5, 1, v11
	v_lshl_add_u64 v[12:13], v[6:7], 2, s[8:9]
	v_dual_add_nc_u32 v6, -14, v4 :: v_dual_add_nc_u32 v21, 2, v11
	v_add_nc_u32_e32 v23, 7, v11
	s_delay_alu instid0(VALU_DEP_2)
	v_lshl_add_u64 v[14:15], v[6:7], 2, s[8:9]
	v_add_nc_u32_e32 v6, -12, v4
	s_clause 0x1
	global_load_b64 v[16:17], v[12:13], off
	global_load_b64 v[18:19], v[14:15], off
	s_clause 0x1
	global_load_b32 v20, v11, s[10:11] scale_offset
	global_load_b32 v22, v5, s[10:11] scale_offset
	s_wait_xcnt 0x0
	v_add_nc_u32_e32 v5, 3, v11
	v_lshl_add_u64 v[12:13], v[6:7], 2, s[8:9]
	s_clause 0x1
	global_load_b32 v26, v21, s[10:11] scale_offset
	global_load_b32 v28, v5, s[10:11] scale_offset
	s_wait_xcnt 0x1
	v_dual_add_nc_u32 v6, -10, v4 :: v_dual_add_nc_u32 v21, 4, v11
	global_load_b64 v[12:13], v[12:13], off
	s_wait_xcnt 0x1
	v_add_nc_u32_e32 v5, 5, v11
	v_lshl_add_u64 v[14:15], v[6:7], 2, s[8:9]
	v_add_nc_u32_e32 v6, -8, v4
	global_load_b64 v[14:15], v[14:15], off
	v_lshl_add_u64 v[24:25], v[6:7], 2, s[8:9]
	v_add_nc_u32_e32 v6, -6, v4
	global_load_b64 v[24:25], v[24:25], off
	v_lshl_add_u64 v[30:31], v[6:7], 2, s[8:9]
	v_add_nc_u32_e32 v6, -4, v4
	global_load_b32 v32, v21, s[10:11] scale_offset
	global_load_b64 v[34:35], v[30:31], off
	s_wait_xcnt 0x1
	v_add_nc_u32_e32 v21, 6, v11
	s_wait_xcnt 0x0
	v_lshl_add_u64 v[30:31], v[6:7], 2, s[8:9]
	v_add_nc_u32_e32 v6, -2, v4
	global_load_b32 v36, v5, s[10:11] scale_offset
	global_load_b64 v[30:31], v[30:31], off
	v_lshl_add_u64 v[38:39], v[6:7], 2, s[8:9]
	global_load_b32 v6, v21, s[10:11] scale_offset
	s_wait_xcnt 0x2
	v_mov_b32_e32 v5, v7
	global_load_b64 v[38:39], v[38:39], off
	v_lshl_add_u64 v[40:41], v[4:5], 2, s[8:9]
	v_add_nc_u32_e32 v5, 8, v11
	global_load_b32 v42, v23, s[10:11] scale_offset
	global_load_b64 v[44:45], v[40:41], off
	global_load_b32 v46, v5, s[10:11] scale_offset
	v_add_nc_u32_e32 v4, 0x480, v4
	s_wait_loadcnt 0xf
	v_pk_fma_f32 v[0:1], v[16:17], v[20:21], v[0:1] op_sel_hi:[1,0,1]
	s_wait_loadcnt 0xe
	s_delay_alu instid0(VALU_DEP_1) | instskip(SKIP_1) | instid1(VALU_DEP_1)
	v_pk_fma_f32 v[0:1], v[18:19], v[22:23], v[0:1] op_sel_hi:[1,0,1]
	s_wait_loadcnt 0xb
	v_pk_fma_f32 v[0:1], v[12:13], v[26:27], v[0:1] op_sel_hi:[1,0,1]
	s_wait_loadcnt 0xa
	s_delay_alu instid0(VALU_DEP_1) | instskip(SKIP_1) | instid1(VALU_DEP_1)
	v_pk_fma_f32 v[0:1], v[14:15], v[28:29], v[0:1] op_sel_hi:[1,0,1]
	;; [unrolled: 5-line block ×4, first 2 shown]
	s_wait_loadcnt 0x0
	v_pk_fma_f32 v[0:1], v[44:45], v[46:47], v[0:1] op_sel_hi:[1,0,1]
	s_and_not1_b32 exec_lo, exec_lo, s4
	s_cbranch_execnz .LBB39_9
; %bb.10:
	s_or_b32 exec_lo, exec_lo, s4
.LBB39_11:
	s_delay_alu instid0(SALU_CYCLE_1)
	s_or_b32 exec_lo, exec_lo, s3
	s_cbranch_execz .LBB39_13
	s_branch .LBB39_18
.LBB39_12:
                                        ; implicit-def: $vgpr1
.LBB39_13:
	v_mov_b32_e32 v1, 0
	s_delay_alu instid0(VALU_DEP_1)
	v_mov_b32_e32 v0, v1
	s_and_saveexec_b32 s3, s2
	s_cbranch_execz .LBB39_17
; %bb.14:
	v_mad_u32 v6, v9, 18, 17
	v_mov_b32_e32 v5, 0
	s_mov_b32 s2, 0
	s_delay_alu instid0(VALU_DEP_1)
	v_dual_mov_b32 v0, v5 :: v_dual_mov_b32 v1, v5
.LBB39_15:                              ; =>This Inner Loop Header: Depth=1
	global_load_b32 v7, v9, s[6:7] scale_offset
	v_subrev_nc_u32_e32 v4, 17, v6
	v_dual_add_nc_u32 v12, -8, v6 :: v_dual_add_nc_u32 v14, -7, v6
	v_dual_add_nc_u32 v17, -15, v6 :: v_dual_add_nc_u32 v21, -14, v6
	v_add_nc_u32_e32 v24, -5, v6
	s_delay_alu instid0(VALU_DEP_4)
	v_lshl_add_u64 v[10:11], v[4:5], 2, s[8:9]
	v_dual_add_nc_u32 v29, -4, v6 :: v_dual_add_nc_u32 v32, -12, v6
	s_wait_xcnt 0x0
	v_add_nc_u32_e32 v9, 64, v9
	global_load_b64 v[10:11], v[10:11], off
	v_cmp_ge_i32_e32 vcc_lo, v9, v8
	s_or_b32 s2, vcc_lo, s2
	s_wait_loadcnt 0x1
	v_subrev_nc_u32_e32 v4, s16, v7
	v_add_nc_u32_e32 v7, -6, v6
	s_delay_alu instid0(VALU_DEP_2)
	v_lshl_add_u32 v25, v4, 3, v4
	v_add_nc_u32_e32 v28, -13, v6
	global_load_b32 v13, v12, s[8:9] scale_offset
	global_load_b32 v4, v25, s[10:11] scale_offset
	s_wait_xcnt 0x1
	v_add_nc_u32_e32 v12, 1, v25
	global_load_b32 v15, v14, s[8:9] scale_offset
	s_wait_xcnt 0x0
	v_add_nc_u32_e32 v14, 2, v25
	global_load_b32 v16, v12, s[10:11] scale_offset
	s_wait_xcnt 0x0
	v_add_nc_u32_e32 v12, -3, v6
	s_clause 0x1
	global_load_b32 v18, v17, s[8:9] scale_offset
	global_load_b32 v19, v7, s[8:9] scale_offset
	s_wait_xcnt 0x0
	v_add_nc_u32_e32 v7, 3, v25
	global_load_b32 v20, v14, s[10:11] scale_offset
	s_wait_xcnt 0x0
	v_add_nc_u32_e32 v14, -11, v6
	s_clause 0x1
	global_load_b32 v22, v21, s[8:9] scale_offset
	global_load_b32 v23, v24, s[8:9] scale_offset
	v_add_nc_u32_e32 v17, 4, v25
	global_load_b32 v24, v7, s[10:11] scale_offset
	s_wait_xcnt 0x0
	v_add_nc_u32_e32 v7, -2, v6
	s_clause 0x1
	global_load_b32 v26, v28, s[8:9] scale_offset
	global_load_b32 v27, v29, s[8:9] scale_offset
	;; [unrolled: 7-line block ×3, first 2 shown]
	s_wait_xcnt 0x0
	v_add_nc_u32_e32 v12, 6, v25
	global_load_b32 v32, v21, s[10:11] scale_offset
	s_wait_xcnt 0x0
	v_add_nc_u32_e32 v21, -1, v6
	s_clause 0x1
	global_load_b32 v34, v14, s[8:9] scale_offset
	global_load_b32 v35, v7, s[8:9] scale_offset
	s_wait_xcnt 0x0
	v_add_nc_u32_e32 v7, 7, v25
	global_load_b32 v36, v12, s[10:11] scale_offset
	s_wait_xcnt 0x0
	v_add_nc_u32_e32 v12, -9, v6
	s_clause 0x1
	global_load_b32 v38, v17, s[8:9] scale_offset
	global_load_b32 v39, v21, s[8:9] scale_offset
	v_add_nc_u32_e32 v14, 8, v25
	global_load_b32 v40, v7, s[10:11] scale_offset
	s_clause 0x1
	global_load_b32 v43, v6, s[8:9] scale_offset
	global_load_b32 v42, v12, s[8:9] scale_offset
	;; [unrolled: 1-line block ×3, first 2 shown]
	s_wait_loadcnt 0x19
	s_wait_xcnt 0x0
	v_dual_mov_b32 v12, v10 :: v_dual_mov_b32 v14, v11
	v_add_nc_u32_e32 v6, 0x480, v6
	s_wait_loadcnt 0x17
	s_delay_alu instid0(VALU_DEP_2) | instskip(SKIP_1) | instid1(VALU_DEP_1)
	v_pk_fma_f32 v[0:1], v[12:13], v[4:5], v[0:1] op_sel_hi:[1,0,1]
	s_wait_loadcnt 0x15
	v_pk_fma_f32 v[0:1], v[14:15], v[16:17], v[0:1] op_sel_hi:[1,0,1]
	s_wait_loadcnt 0x12
	s_delay_alu instid0(VALU_DEP_1) | instskip(SKIP_1) | instid1(VALU_DEP_1)
	v_pk_fma_f32 v[0:1], v[18:19], v[20:21], v[0:1] op_sel_hi:[1,0,1]
	s_wait_loadcnt 0xf
	v_pk_fma_f32 v[0:1], v[22:23], v[24:25], v[0:1] op_sel_hi:[1,0,1]
	s_wait_loadcnt 0xc
	s_delay_alu instid0(VALU_DEP_1) | instskip(SKIP_1) | instid1(VALU_DEP_1)
	;; [unrolled: 5-line block ×3, first 2 shown]
	v_pk_fma_f32 v[0:1], v[34:35], v[36:37], v[0:1] op_sel_hi:[1,0,1]
	s_wait_loadcnt 0x3
	v_pk_fma_f32 v[0:1], v[38:39], v[40:41], v[0:1] op_sel_hi:[1,0,1]
	s_wait_loadcnt 0x0
	s_delay_alu instid0(VALU_DEP_1)
	v_pk_fma_f32 v[0:1], v[42:43], v[44:45], v[0:1] op_sel_hi:[1,0,1]
	s_and_not1_b32 exec_lo, exec_lo, s2
	s_cbranch_execnz .LBB39_15
; %bb.16:
	s_or_b32 exec_lo, exec_lo, s2
.LBB39_17:
	s_delay_alu instid0(SALU_CYCLE_1)
	s_or_b32 exec_lo, exec_lo, s3
.LBB39_18:
	v_mbcnt_lo_u32_b32 v6, -1, 0
	s_mov_b32 s2, -1
	s_delay_alu instid0(VALU_DEP_1) | instskip(SKIP_1) | instid1(VALU_DEP_1)
	v_xor_b32_e32 v7, 16, v6
	v_or_b32_e32 v4, 32, v6
	v_cmp_gt_i32_e32 vcc_lo, 32, v4
	v_cndmask_b32_e32 v4, v6, v4, vcc_lo
	s_delay_alu instid0(VALU_DEP_4) | instskip(SKIP_1) | instid1(VALU_DEP_1)
	v_cmp_gt_i32_e32 vcc_lo, 32, v7
	v_cndmask_b32_e32 v7, v6, v7, vcc_lo
	v_dual_lshlrev_b32 v7, 2, v7 :: v_dual_lshlrev_b32 v5, 2, v4
	ds_bpermute_b32 v4, v5, v0
	ds_bpermute_b32 v5, v5, v1
	s_wait_dscnt 0x0
	v_pk_add_f32 v[0:1], v[0:1], v[4:5]
	ds_bpermute_b32 v4, v7, v0
	ds_bpermute_b32 v5, v7, v1
	v_xor_b32_e32 v7, 8, v6
	s_delay_alu instid0(VALU_DEP_1) | instskip(SKIP_1) | instid1(VALU_DEP_1)
	v_cmp_gt_i32_e32 vcc_lo, 32, v7
	v_cndmask_b32_e32 v7, v6, v7, vcc_lo
	v_lshlrev_b32_e32 v7, 2, v7
	s_wait_dscnt 0x0
	v_pk_add_f32 v[0:1], v[0:1], v[4:5]
	ds_bpermute_b32 v4, v7, v0
	ds_bpermute_b32 v5, v7, v1
	v_xor_b32_e32 v7, 4, v6
	s_delay_alu instid0(VALU_DEP_1) | instskip(SKIP_1) | instid1(VALU_DEP_1)
	v_cmp_gt_i32_e32 vcc_lo, 32, v7
	v_cndmask_b32_e32 v7, v6, v7, vcc_lo
	v_lshlrev_b32_e32 v7, 2, v7
	;; [unrolled: 9-line block ×3, first 2 shown]
	s_wait_dscnt 0x0
	v_pk_add_f32 v[0:1], v[0:1], v[4:5]
	ds_bpermute_b32 v4, v7, v0
	ds_bpermute_b32 v5, v7, v1
	v_xor_b32_e32 v7, 1, v6
	s_delay_alu instid0(VALU_DEP_1) | instskip(SKIP_2) | instid1(VALU_DEP_2)
	v_cmp_gt_i32_e32 vcc_lo, 32, v7
	v_cndmask_b32_e32 v6, v6, v7, vcc_lo
	v_cmp_eq_u32_e32 vcc_lo, 63, v3
	v_lshlrev_b32_e32 v6, 2, v6
	s_wait_dscnt 0x0
	v_pk_add_f32 v[0:1], v[0:1], v[4:5]
	ds_bpermute_b32 v4, v6, v0
	ds_bpermute_b32 v5, v6, v1
	s_and_b32 exec_lo, exec_lo, vcc_lo
	s_cbranch_execz .LBB39_23
; %bb.19:
	s_load_b64 s[0:1], s[0:1], 0x38
	s_wait_dscnt 0x0
	v_pk_add_f32 v[0:1], v[0:1], v[4:5]
	v_lshlrev_b32_e32 v2, 1, v2
	s_cmp_eq_f32 s12, 0
	s_cbranch_scc0 .LBB39_21
; %bb.20:
	s_delay_alu instid0(VALU_DEP_1) | instskip(SKIP_3) | instid1(VALU_DEP_2)
	v_ashrrev_i32_e32 v3, 31, v2
	v_pk_mul_f32 v[6:7], s[14:15], v[0:1] op_sel_hi:[0,1]
	s_mov_b32 s2, 0
	s_wait_kmcnt 0x0
	v_lshl_add_u64 v[4:5], v[2:3], 2, s[0:1]
	global_store_b64 v[4:5], v[6:7], off
.LBB39_21:
	s_and_not1_b32 vcc_lo, exec_lo, s2
	s_cbranch_vccnz .LBB39_23
; %bb.22:
	v_ashrrev_i32_e32 v3, 31, v2
	v_pk_mul_f32 v[0:1], s[14:15], v[0:1] op_sel_hi:[0,1]
	s_wait_kmcnt 0x0
	s_delay_alu instid0(VALU_DEP_2)
	v_lshl_add_u64 v[2:3], v[2:3], 2, s[0:1]
	global_load_b64 v[4:5], v[2:3], off
	s_wait_loadcnt 0x0
	v_pk_fma_f32 v[0:1], s[12:13], v[4:5], v[0:1] op_sel_hi:[0,1,1]
	global_store_b64 v[2:3], v[0:1], off
.LBB39_23:
	s_endpgm
	.section	.rodata,"a",@progbits
	.p2align	6, 0x0
	.amdhsa_kernel _ZN9rocsparseL19gebsrmvn_2xn_kernelILj128ELj9ELj64EfEEvi20rocsparse_direction_NS_24const_host_device_scalarIT2_EEPKiS6_PKS3_S8_S4_PS3_21rocsparse_index_base_b
		.amdhsa_group_segment_fixed_size 0
		.amdhsa_private_segment_fixed_size 0
		.amdhsa_kernarg_size 72
		.amdhsa_user_sgpr_count 2
		.amdhsa_user_sgpr_dispatch_ptr 0
		.amdhsa_user_sgpr_queue_ptr 0
		.amdhsa_user_sgpr_kernarg_segment_ptr 1
		.amdhsa_user_sgpr_dispatch_id 0
		.amdhsa_user_sgpr_kernarg_preload_length 0
		.amdhsa_user_sgpr_kernarg_preload_offset 0
		.amdhsa_user_sgpr_private_segment_size 0
		.amdhsa_wavefront_size32 1
		.amdhsa_uses_dynamic_stack 0
		.amdhsa_enable_private_segment 0
		.amdhsa_system_sgpr_workgroup_id_x 1
		.amdhsa_system_sgpr_workgroup_id_y 0
		.amdhsa_system_sgpr_workgroup_id_z 0
		.amdhsa_system_sgpr_workgroup_info 0
		.amdhsa_system_vgpr_workitem_id 0
		.amdhsa_next_free_vgpr 48
		.amdhsa_next_free_sgpr 18
		.amdhsa_named_barrier_count 0
		.amdhsa_reserve_vcc 1
		.amdhsa_float_round_mode_32 0
		.amdhsa_float_round_mode_16_64 0
		.amdhsa_float_denorm_mode_32 3
		.amdhsa_float_denorm_mode_16_64 3
		.amdhsa_fp16_overflow 0
		.amdhsa_memory_ordered 1
		.amdhsa_forward_progress 1
		.amdhsa_inst_pref_size 18
		.amdhsa_round_robin_scheduling 0
		.amdhsa_exception_fp_ieee_invalid_op 0
		.amdhsa_exception_fp_denorm_src 0
		.amdhsa_exception_fp_ieee_div_zero 0
		.amdhsa_exception_fp_ieee_overflow 0
		.amdhsa_exception_fp_ieee_underflow 0
		.amdhsa_exception_fp_ieee_inexact 0
		.amdhsa_exception_int_div_zero 0
	.end_amdhsa_kernel
	.section	.text._ZN9rocsparseL19gebsrmvn_2xn_kernelILj128ELj9ELj64EfEEvi20rocsparse_direction_NS_24const_host_device_scalarIT2_EEPKiS6_PKS3_S8_S4_PS3_21rocsparse_index_base_b,"axG",@progbits,_ZN9rocsparseL19gebsrmvn_2xn_kernelILj128ELj9ELj64EfEEvi20rocsparse_direction_NS_24const_host_device_scalarIT2_EEPKiS6_PKS3_S8_S4_PS3_21rocsparse_index_base_b,comdat
.Lfunc_end39:
	.size	_ZN9rocsparseL19gebsrmvn_2xn_kernelILj128ELj9ELj64EfEEvi20rocsparse_direction_NS_24const_host_device_scalarIT2_EEPKiS6_PKS3_S8_S4_PS3_21rocsparse_index_base_b, .Lfunc_end39-_ZN9rocsparseL19gebsrmvn_2xn_kernelILj128ELj9ELj64EfEEvi20rocsparse_direction_NS_24const_host_device_scalarIT2_EEPKiS6_PKS3_S8_S4_PS3_21rocsparse_index_base_b
                                        ; -- End function
	.set _ZN9rocsparseL19gebsrmvn_2xn_kernelILj128ELj9ELj64EfEEvi20rocsparse_direction_NS_24const_host_device_scalarIT2_EEPKiS6_PKS3_S8_S4_PS3_21rocsparse_index_base_b.num_vgpr, 48
	.set _ZN9rocsparseL19gebsrmvn_2xn_kernelILj128ELj9ELj64EfEEvi20rocsparse_direction_NS_24const_host_device_scalarIT2_EEPKiS6_PKS3_S8_S4_PS3_21rocsparse_index_base_b.num_agpr, 0
	.set _ZN9rocsparseL19gebsrmvn_2xn_kernelILj128ELj9ELj64EfEEvi20rocsparse_direction_NS_24const_host_device_scalarIT2_EEPKiS6_PKS3_S8_S4_PS3_21rocsparse_index_base_b.numbered_sgpr, 18
	.set _ZN9rocsparseL19gebsrmvn_2xn_kernelILj128ELj9ELj64EfEEvi20rocsparse_direction_NS_24const_host_device_scalarIT2_EEPKiS6_PKS3_S8_S4_PS3_21rocsparse_index_base_b.num_named_barrier, 0
	.set _ZN9rocsparseL19gebsrmvn_2xn_kernelILj128ELj9ELj64EfEEvi20rocsparse_direction_NS_24const_host_device_scalarIT2_EEPKiS6_PKS3_S8_S4_PS3_21rocsparse_index_base_b.private_seg_size, 0
	.set _ZN9rocsparseL19gebsrmvn_2xn_kernelILj128ELj9ELj64EfEEvi20rocsparse_direction_NS_24const_host_device_scalarIT2_EEPKiS6_PKS3_S8_S4_PS3_21rocsparse_index_base_b.uses_vcc, 1
	.set _ZN9rocsparseL19gebsrmvn_2xn_kernelILj128ELj9ELj64EfEEvi20rocsparse_direction_NS_24const_host_device_scalarIT2_EEPKiS6_PKS3_S8_S4_PS3_21rocsparse_index_base_b.uses_flat_scratch, 0
	.set _ZN9rocsparseL19gebsrmvn_2xn_kernelILj128ELj9ELj64EfEEvi20rocsparse_direction_NS_24const_host_device_scalarIT2_EEPKiS6_PKS3_S8_S4_PS3_21rocsparse_index_base_b.has_dyn_sized_stack, 0
	.set _ZN9rocsparseL19gebsrmvn_2xn_kernelILj128ELj9ELj64EfEEvi20rocsparse_direction_NS_24const_host_device_scalarIT2_EEPKiS6_PKS3_S8_S4_PS3_21rocsparse_index_base_b.has_recursion, 0
	.set _ZN9rocsparseL19gebsrmvn_2xn_kernelILj128ELj9ELj64EfEEvi20rocsparse_direction_NS_24const_host_device_scalarIT2_EEPKiS6_PKS3_S8_S4_PS3_21rocsparse_index_base_b.has_indirect_call, 0
	.section	.AMDGPU.csdata,"",@progbits
; Kernel info:
; codeLenInByte = 2180
; TotalNumSgprs: 20
; NumVgprs: 48
; ScratchSize: 0
; MemoryBound: 0
; FloatMode: 240
; IeeeMode: 1
; LDSByteSize: 0 bytes/workgroup (compile time only)
; SGPRBlocks: 0
; VGPRBlocks: 2
; NumSGPRsForWavesPerEU: 20
; NumVGPRsForWavesPerEU: 48
; NamedBarCnt: 0
; Occupancy: 16
; WaveLimiterHint : 1
; COMPUTE_PGM_RSRC2:SCRATCH_EN: 0
; COMPUTE_PGM_RSRC2:USER_SGPR: 2
; COMPUTE_PGM_RSRC2:TRAP_HANDLER: 0
; COMPUTE_PGM_RSRC2:TGID_X_EN: 1
; COMPUTE_PGM_RSRC2:TGID_Y_EN: 0
; COMPUTE_PGM_RSRC2:TGID_Z_EN: 0
; COMPUTE_PGM_RSRC2:TIDIG_COMP_CNT: 0
	.section	.text._ZN9rocsparseL19gebsrmvn_2xn_kernelILj128ELj10ELj4EfEEvi20rocsparse_direction_NS_24const_host_device_scalarIT2_EEPKiS6_PKS3_S8_S4_PS3_21rocsparse_index_base_b,"axG",@progbits,_ZN9rocsparseL19gebsrmvn_2xn_kernelILj128ELj10ELj4EfEEvi20rocsparse_direction_NS_24const_host_device_scalarIT2_EEPKiS6_PKS3_S8_S4_PS3_21rocsparse_index_base_b,comdat
	.globl	_ZN9rocsparseL19gebsrmvn_2xn_kernelILj128ELj10ELj4EfEEvi20rocsparse_direction_NS_24const_host_device_scalarIT2_EEPKiS6_PKS3_S8_S4_PS3_21rocsparse_index_base_b ; -- Begin function _ZN9rocsparseL19gebsrmvn_2xn_kernelILj128ELj10ELj4EfEEvi20rocsparse_direction_NS_24const_host_device_scalarIT2_EEPKiS6_PKS3_S8_S4_PS3_21rocsparse_index_base_b
	.p2align	8
	.type	_ZN9rocsparseL19gebsrmvn_2xn_kernelILj128ELj10ELj4EfEEvi20rocsparse_direction_NS_24const_host_device_scalarIT2_EEPKiS6_PKS3_S8_S4_PS3_21rocsparse_index_base_b,@function
_ZN9rocsparseL19gebsrmvn_2xn_kernelILj128ELj10ELj4EfEEvi20rocsparse_direction_NS_24const_host_device_scalarIT2_EEPKiS6_PKS3_S8_S4_PS3_21rocsparse_index_base_b: ; @_ZN9rocsparseL19gebsrmvn_2xn_kernelILj128ELj10ELj4EfEEvi20rocsparse_direction_NS_24const_host_device_scalarIT2_EEPKiS6_PKS3_S8_S4_PS3_21rocsparse_index_base_b
; %bb.0:
	s_clause 0x2
	s_load_b64 s[16:17], s[0:1], 0x40
	s_load_b64 s[14:15], s[0:1], 0x8
	;; [unrolled: 1-line block ×3, first 2 shown]
	s_wait_kmcnt 0x0
	s_bitcmp1_b32 s17, 0
	s_cselect_b32 s2, -1, 0
	s_delay_alu instid0(SALU_CYCLE_1)
	s_and_b32 vcc_lo, exec_lo, s2
	s_xor_b32 s2, s2, -1
	s_cbranch_vccnz .LBB40_2
; %bb.1:
	s_load_b32 s14, s[14:15], 0x0
.LBB40_2:
	s_and_not1_b32 vcc_lo, exec_lo, s2
	s_cbranch_vccnz .LBB40_4
; %bb.3:
	s_load_b32 s12, s[12:13], 0x0
.LBB40_4:
	s_wait_kmcnt 0x0
	s_cmp_eq_f32 s14, 0
	s_cselect_b32 s2, -1, 0
	s_cmp_eq_f32 s12, 1.0
	s_cselect_b32 s3, -1, 0
	s_delay_alu instid0(SALU_CYCLE_1) | instskip(NEXT) | instid1(SALU_CYCLE_1)
	s_and_b32 s2, s2, s3
	s_and_b32 vcc_lo, exec_lo, s2
	s_cbranch_vccnz .LBB40_23
; %bb.5:
	s_load_b64 s[2:3], s[0:1], 0x0
	s_bfe_u32 s4, ttmp6, 0x4000c
	s_and_b32 s5, ttmp6, 15
	s_add_co_i32 s4, s4, 1
	s_getreg_b32 s6, hwreg(HW_REG_IB_STS2, 6, 4)
	s_mul_i32 s4, ttmp9, s4
	v_lshrrev_b32_e32 v1, 2, v0
	s_add_co_i32 s5, s5, s4
	s_cmp_eq_u32 s6, 0
	s_cselect_b32 s4, ttmp9, s5
	s_delay_alu instid0(VALU_DEP_1) | instid1(SALU_CYCLE_1)
	v_lshl_or_b32 v2, s4, 5, v1
	s_wait_kmcnt 0x0
	s_delay_alu instid0(VALU_DEP_1)
	v_cmp_gt_i32_e32 vcc_lo, s2, v2
	s_and_saveexec_b32 s2, vcc_lo
	s_cbranch_execz .LBB40_23
; %bb.6:
	s_load_b256 s[4:11], s[0:1], 0x10
	v_ashrrev_i32_e32 v3, 31, v2
	s_cmp_lg_u32 s3, 0
	s_wait_kmcnt 0x0
	s_delay_alu instid0(VALU_DEP_1)
	v_lshl_add_u64 v[4:5], v[2:3], 2, s[4:5]
	v_and_b32_e32 v3, 3, v0
	global_load_b64 v[4:5], v[4:5], off
	s_wait_loadcnt 0x0
	v_subrev_nc_u32_e32 v0, s16, v4
	v_subrev_nc_u32_e32 v8, s16, v5
	s_delay_alu instid0(VALU_DEP_2) | instskip(NEXT) | instid1(VALU_DEP_1)
	v_add_nc_u32_e32 v9, v0, v3
	v_cmp_lt_i32_e64 s2, v9, v8
	s_cbranch_scc0 .LBB40_12
; %bb.7:
	v_mov_b32_e32 v1, 0
	s_delay_alu instid0(VALU_DEP_1)
	v_mov_b32_e32 v0, v1
	s_and_saveexec_b32 s3, s2
	s_cbranch_execz .LBB40_11
; %bb.8:
	v_mad_u32 v4, v9, 20, 18
	v_dual_mov_b32 v7, 0 :: v_dual_mov_b32 v10, v9
	s_mov_b32 s4, 0
	s_delay_alu instid0(VALU_DEP_1)
	v_dual_mov_b32 v0, v7 :: v_dual_mov_b32 v1, v7
.LBB40_9:                               ; =>This Inner Loop Header: Depth=1
	global_load_b32 v5, v10, s[6:7] scale_offset
	v_subrev_nc_u32_e32 v6, 18, v4
	s_wait_xcnt 0x0
	v_dual_mov_b32 v17, v7 :: v_dual_add_nc_u32 v10, 4, v10
	s_delay_alu instid0(VALU_DEP_2) | instskip(SKIP_1) | instid1(VALU_DEP_3)
	v_lshl_add_u64 v[12:13], v[6:7], 2, s[8:9]
	v_add_nc_u32_e32 v6, -14, v4
	v_cmp_ge_i32_e32 vcc_lo, v10, v8
	global_load_b128 v[12:15], v[12:13], off
	v_lshl_add_u64 v[18:19], v[6:7], 2, s[8:9]
	s_or_b32 s4, vcc_lo, s4
	global_load_b64 v[18:19], v[18:19], off
	s_wait_loadcnt 0x2
	v_subrev_nc_u32_e32 v5, s16, v5
	s_delay_alu instid0(VALU_DEP_1) | instskip(NEXT) | instid1(VALU_DEP_1)
	v_mul_lo_u32 v16, v5, 10
	v_dual_mov_b32 v5, v7 :: v_dual_add_nc_u32 v6, 2, v16
	v_lshl_add_u64 v[20:21], v[16:17], 2, s[10:11]
	s_delay_alu instid0(VALU_DEP_2)
	v_lshl_add_u64 v[22:23], v[6:7], 2, s[10:11]
	v_add_nc_u32_e32 v6, -12, v4
	s_clause 0x1
	global_load_b64 v[20:21], v[20:21], off
	global_load_b64 v[22:23], v[22:23], off
	v_lshl_add_u64 v[24:25], v[6:7], 2, s[8:9]
	v_add_nc_u32_e32 v6, -10, v4
	global_load_b64 v[24:25], v[24:25], off
	v_lshl_add_u64 v[26:27], v[6:7], 2, s[8:9]
	v_add_nc_u32_e32 v6, 4, v16
	global_load_b64 v[26:27], v[26:27], off
	v_lshl_add_u64 v[28:29], v[6:7], 2, s[10:11]
	v_add_nc_u32_e32 v6, -8, v4
	global_load_b64 v[28:29], v[28:29], off
	v_lshl_add_u64 v[30:31], v[6:7], 2, s[8:9]
	v_add_nc_u32_e32 v6, -6, v4
	global_load_b64 v[30:31], v[30:31], off
	v_lshl_add_u64 v[32:33], v[6:7], 2, s[8:9]
	v_add_nc_u32_e32 v6, 6, v16
	s_delay_alu instid0(VALU_DEP_1)
	v_lshl_add_u64 v[34:35], v[6:7], 2, s[10:11]
	v_add_nc_u32_e32 v6, -4, v4
	global_load_b64 v[38:39], v[32:33], off
	global_load_b64 v[40:41], v[34:35], off
	v_lshl_add_u64 v[36:37], v[6:7], 2, s[8:9]
	v_add_nc_u32_e32 v6, -2, v4
	s_wait_xcnt 0x1
	s_delay_alu instid0(VALU_DEP_1)
	v_lshl_add_u64 v[32:33], v[6:7], 2, s[8:9]
	v_add_nc_u32_e32 v6, 8, v16
	global_load_b64 v[16:17], v[36:37], off
	s_wait_xcnt 0x0
	v_lshl_add_u64 v[36:37], v[4:5], 2, s[8:9]
	v_add_nc_u32_e32 v4, 0x50, v4
	v_lshl_add_u64 v[34:35], v[6:7], 2, s[10:11]
	global_load_b64 v[42:43], v[32:33], off
	global_load_b64 v[44:45], v[34:35], off
	;; [unrolled: 1-line block ×3, first 2 shown]
	s_wait_loadcnt 0xb
	v_pk_fma_f32 v[0:1], v[12:13], v[20:21], v[0:1] op_sel_hi:[1,0,1]
	s_delay_alu instid0(VALU_DEP_1) | instskip(SKIP_1) | instid1(VALU_DEP_1)
	v_pk_fma_f32 v[0:1], v[14:15], v[20:21], v[0:1] op_sel:[0,1,0]
	s_wait_loadcnt 0xa
	v_pk_fma_f32 v[0:1], v[18:19], v[22:23], v[0:1] op_sel_hi:[1,0,1]
	s_wait_loadcnt 0x9
	s_delay_alu instid0(VALU_DEP_1) | instskip(SKIP_1) | instid1(VALU_DEP_1)
	v_pk_fma_f32 v[0:1], v[24:25], v[22:23], v[0:1] op_sel:[0,1,0]
	s_wait_loadcnt 0x7
	v_pk_fma_f32 v[0:1], v[26:27], v[28:29], v[0:1] op_sel_hi:[1,0,1]
	s_wait_loadcnt 0x6
	;; [unrolled: 5-line block ×4, first 2 shown]
	s_delay_alu instid0(VALU_DEP_1)
	v_pk_fma_f32 v[0:1], v[46:47], v[44:45], v[0:1] op_sel:[0,1,0]
	s_and_not1_b32 exec_lo, exec_lo, s4
	s_cbranch_execnz .LBB40_9
; %bb.10:
	s_or_b32 exec_lo, exec_lo, s4
.LBB40_11:
	s_delay_alu instid0(SALU_CYCLE_1)
	s_or_b32 exec_lo, exec_lo, s3
	s_cbranch_execz .LBB40_13
	s_branch .LBB40_18
.LBB40_12:
                                        ; implicit-def: $vgpr1
.LBB40_13:
	v_mov_b32_e32 v1, 0
	s_delay_alu instid0(VALU_DEP_1)
	v_mov_b32_e32 v0, v1
	s_and_saveexec_b32 s3, s2
	s_cbranch_execz .LBB40_17
; %bb.14:
	v_mad_u32 v6, v9, 20, 19
	v_mov_b32_e32 v5, 0
	s_mov_b32 s2, 0
	s_delay_alu instid0(VALU_DEP_1)
	v_dual_mov_b32 v0, v5 :: v_dual_mov_b32 v1, v5
.LBB40_15:                              ; =>This Inner Loop Header: Depth=1
	global_load_b32 v4, v9, s[6:7] scale_offset
	v_dual_mov_b32 v15, v5 :: v_dual_add_nc_u32 v7, -8, v6
	v_dual_add_nc_u32 v18, -7, v6 :: v_dual_add_nc_u32 v32, -4, v6
	s_wait_xcnt 0x0
	v_dual_add_nc_u32 v9, 4, v9 :: v_dual_add_nc_u32 v22, -15, v6
	s_clause 0x1
	global_load_b32 v19, v7, s[8:9] scale_offset
	global_load_b32 v23, v18, s[8:9] scale_offset
	s_wait_xcnt 0x0
	v_dual_add_nc_u32 v7, -6, v6 :: v_dual_add_nc_u32 v18, -5, v6
	v_add_nc_u32_e32 v24, -14, v6
	v_cmp_ge_i32_e32 vcc_lo, v9, v8
	global_load_b32 v25, v7, s[8:9] scale_offset
	s_wait_xcnt 0x0
	v_add_nc_u32_e32 v7, -13, v6
	s_or_b32 s2, vcc_lo, s2
	s_wait_loadcnt 0x3
	v_subrev_nc_u32_e32 v4, s16, v4
	s_delay_alu instid0(VALU_DEP_1) | instskip(SKIP_1) | instid1(VALU_DEP_1)
	v_mul_lo_u32 v14, v4, 10
	v_subrev_nc_u32_e32 v4, 19, v6
	v_lshl_add_u64 v[10:11], v[4:5], 2, s[8:9]
	v_add_nc_u32_e32 v4, -9, v6
	global_load_b128 v[10:13], v[10:11], off
	v_lshl_add_u64 v[16:17], v[14:15], 2, s[10:11]
	global_load_b32 v15, v4, s[8:9] scale_offset
	s_wait_xcnt 0x0
	v_add_nc_u32_e32 v4, 2, v14
	global_load_b64 v[16:17], v[16:17], off
	v_lshl_add_u64 v[20:21], v[4:5], 2, s[10:11]
	v_add_nc_u32_e32 v4, 4, v14
	global_load_b64 v[20:21], v[20:21], off
	v_lshl_add_u64 v[26:27], v[4:5], 2, s[10:11]
	s_clause 0x1
	global_load_b32 v28, v22, s[8:9] scale_offset
	global_load_b32 v29, v18, s[8:9] scale_offset
	v_add_nc_u32_e32 v4, 6, v14
	s_wait_xcnt 0x0
	v_dual_add_nc_u32 v18, -3, v6 :: v_dual_add_nc_u32 v22, -12, v6
	global_load_b64 v[26:27], v[26:27], off
	s_clause 0x1
	global_load_b32 v30, v24, s[8:9] scale_offset
	global_load_b32 v31, v32, s[8:9] scale_offset
	s_wait_xcnt 0x0
	v_lshl_add_u64 v[32:33], v[4:5], 2, s[10:11]
	s_clause 0x1
	global_load_b32 v34, v7, s[8:9] scale_offset
	global_load_b32 v35, v18, s[8:9] scale_offset
	s_wait_xcnt 0x1
	v_dual_add_nc_u32 v24, -2, v6 :: v_dual_add_nc_u32 v7, -11, v6
	v_add_nc_u32_e32 v4, 8, v14
	global_load_b64 v[32:33], v[32:33], off
	s_clause 0x1
	global_load_b32 v36, v22, s[8:9] scale_offset
	global_load_b32 v37, v24, s[8:9] scale_offset
	s_wait_loadcnt 0xd
	s_wait_xcnt 0x0
	v_dual_add_nc_u32 v14, -1, v6 :: v_dual_mov_b32 v24, v13
	v_lshl_add_u64 v[38:39], v[4:5], 2, s[10:11]
	v_add_nc_u32_e32 v4, -10, v6
	s_clause 0x1
	global_load_b32 v40, v7, s[8:9] scale_offset
	global_load_b32 v41, v14, s[8:9] scale_offset
	global_load_b64 v[42:43], v[38:39], off
	s_clause 0x1
	global_load_b32 v44, v4, s[8:9] scale_offset
	global_load_b32 v45, v6, s[8:9] scale_offset
	s_wait_xcnt 0x3
	v_dual_mov_b32 v14, v10 :: v_dual_mov_b32 v18, v11
	v_mov_b32_e32 v22, v12
	s_wait_xcnt 0x0
	v_add_nc_u32_e32 v6, 0x50, v6
	s_wait_loadcnt 0x10
	v_pk_fma_f32 v[0:1], v[14:15], v[16:17], v[0:1] op_sel_hi:[1,0,1]
	s_delay_alu instid0(VALU_DEP_1) | instskip(SKIP_1) | instid1(VALU_DEP_1)
	v_pk_fma_f32 v[0:1], v[18:19], v[16:17], v[0:1] op_sel:[0,1,0]
	s_wait_loadcnt 0xf
	v_pk_fma_f32 v[0:1], v[22:23], v[20:21], v[0:1] op_sel_hi:[1,0,1]
	s_delay_alu instid0(VALU_DEP_1) | instskip(SKIP_1) | instid1(VALU_DEP_1)
	v_pk_fma_f32 v[0:1], v[24:25], v[20:21], v[0:1] op_sel:[0,1,0]
	s_wait_loadcnt 0xc
	v_pk_fma_f32 v[0:1], v[28:29], v[26:27], v[0:1] op_sel_hi:[1,0,1]
	s_wait_loadcnt 0xa
	s_delay_alu instid0(VALU_DEP_1) | instskip(SKIP_1) | instid1(VALU_DEP_1)
	v_pk_fma_f32 v[0:1], v[30:31], v[26:27], v[0:1] op_sel:[0,1,0]
	s_wait_loadcnt 0x7
	v_pk_fma_f32 v[0:1], v[34:35], v[32:33], v[0:1] op_sel_hi:[1,0,1]
	s_wait_loadcnt 0x5
	;; [unrolled: 5-line block ×3, first 2 shown]
	s_delay_alu instid0(VALU_DEP_1)
	v_pk_fma_f32 v[0:1], v[44:45], v[42:43], v[0:1] op_sel:[0,1,0]
	s_and_not1_b32 exec_lo, exec_lo, s2
	s_cbranch_execnz .LBB40_15
; %bb.16:
	s_or_b32 exec_lo, exec_lo, s2
.LBB40_17:
	s_delay_alu instid0(SALU_CYCLE_1)
	s_or_b32 exec_lo, exec_lo, s3
.LBB40_18:
	v_mbcnt_lo_u32_b32 v6, -1, 0
	s_mov_b32 s2, -1
	s_delay_alu instid0(VALU_DEP_1) | instskip(SKIP_1) | instid1(VALU_DEP_1)
	v_xor_b32_e32 v7, 1, v6
	v_xor_b32_e32 v4, 2, v6
	v_cmp_gt_i32_e32 vcc_lo, 32, v4
	v_cndmask_b32_e32 v4, v6, v4, vcc_lo
	s_delay_alu instid0(VALU_DEP_4) | instskip(SKIP_2) | instid1(VALU_DEP_2)
	v_cmp_gt_i32_e32 vcc_lo, 32, v7
	v_cndmask_b32_e32 v6, v6, v7, vcc_lo
	v_cmp_eq_u32_e32 vcc_lo, 3, v3
	v_dual_lshlrev_b32 v6, 2, v6 :: v_dual_lshlrev_b32 v5, 2, v4
	ds_bpermute_b32 v4, v5, v0
	ds_bpermute_b32 v5, v5, v1
	s_wait_dscnt 0x0
	v_pk_add_f32 v[0:1], v[0:1], v[4:5]
	ds_bpermute_b32 v4, v6, v0
	ds_bpermute_b32 v5, v6, v1
	s_and_b32 exec_lo, exec_lo, vcc_lo
	s_cbranch_execz .LBB40_23
; %bb.19:
	s_load_b64 s[0:1], s[0:1], 0x38
	s_wait_dscnt 0x0
	v_pk_add_f32 v[0:1], v[0:1], v[4:5]
	v_lshlrev_b32_e32 v2, 1, v2
	s_cmp_eq_f32 s12, 0
	s_cbranch_scc0 .LBB40_21
; %bb.20:
	s_delay_alu instid0(VALU_DEP_1) | instskip(SKIP_3) | instid1(VALU_DEP_2)
	v_ashrrev_i32_e32 v3, 31, v2
	v_pk_mul_f32 v[6:7], s[14:15], v[0:1] op_sel_hi:[0,1]
	s_mov_b32 s2, 0
	s_wait_kmcnt 0x0
	v_lshl_add_u64 v[4:5], v[2:3], 2, s[0:1]
	global_store_b64 v[4:5], v[6:7], off
.LBB40_21:
	s_and_not1_b32 vcc_lo, exec_lo, s2
	s_cbranch_vccnz .LBB40_23
; %bb.22:
	v_ashrrev_i32_e32 v3, 31, v2
	v_pk_mul_f32 v[0:1], s[14:15], v[0:1] op_sel_hi:[0,1]
	s_wait_kmcnt 0x0
	s_delay_alu instid0(VALU_DEP_2)
	v_lshl_add_u64 v[2:3], v[2:3], 2, s[0:1]
	global_load_b64 v[4:5], v[2:3], off
	s_wait_loadcnt 0x0
	v_pk_fma_f32 v[0:1], s[12:13], v[4:5], v[0:1] op_sel_hi:[0,1,1]
	global_store_b64 v[2:3], v[0:1], off
.LBB40_23:
	s_endpgm
	.section	.rodata,"a",@progbits
	.p2align	6, 0x0
	.amdhsa_kernel _ZN9rocsparseL19gebsrmvn_2xn_kernelILj128ELj10ELj4EfEEvi20rocsparse_direction_NS_24const_host_device_scalarIT2_EEPKiS6_PKS3_S8_S4_PS3_21rocsparse_index_base_b
		.amdhsa_group_segment_fixed_size 0
		.amdhsa_private_segment_fixed_size 0
		.amdhsa_kernarg_size 72
		.amdhsa_user_sgpr_count 2
		.amdhsa_user_sgpr_dispatch_ptr 0
		.amdhsa_user_sgpr_queue_ptr 0
		.amdhsa_user_sgpr_kernarg_segment_ptr 1
		.amdhsa_user_sgpr_dispatch_id 0
		.amdhsa_user_sgpr_kernarg_preload_length 0
		.amdhsa_user_sgpr_kernarg_preload_offset 0
		.amdhsa_user_sgpr_private_segment_size 0
		.amdhsa_wavefront_size32 1
		.amdhsa_uses_dynamic_stack 0
		.amdhsa_enable_private_segment 0
		.amdhsa_system_sgpr_workgroup_id_x 1
		.amdhsa_system_sgpr_workgroup_id_y 0
		.amdhsa_system_sgpr_workgroup_id_z 0
		.amdhsa_system_sgpr_workgroup_info 0
		.amdhsa_system_vgpr_workitem_id 0
		.amdhsa_next_free_vgpr 48
		.amdhsa_next_free_sgpr 18
		.amdhsa_named_barrier_count 0
		.amdhsa_reserve_vcc 1
		.amdhsa_float_round_mode_32 0
		.amdhsa_float_round_mode_16_64 0
		.amdhsa_float_denorm_mode_32 3
		.amdhsa_float_denorm_mode_16_64 3
		.amdhsa_fp16_overflow 0
		.amdhsa_memory_ordered 1
		.amdhsa_forward_progress 1
		.amdhsa_inst_pref_size 16
		.amdhsa_round_robin_scheduling 0
		.amdhsa_exception_fp_ieee_invalid_op 0
		.amdhsa_exception_fp_denorm_src 0
		.amdhsa_exception_fp_ieee_div_zero 0
		.amdhsa_exception_fp_ieee_overflow 0
		.amdhsa_exception_fp_ieee_underflow 0
		.amdhsa_exception_fp_ieee_inexact 0
		.amdhsa_exception_int_div_zero 0
	.end_amdhsa_kernel
	.section	.text._ZN9rocsparseL19gebsrmvn_2xn_kernelILj128ELj10ELj4EfEEvi20rocsparse_direction_NS_24const_host_device_scalarIT2_EEPKiS6_PKS3_S8_S4_PS3_21rocsparse_index_base_b,"axG",@progbits,_ZN9rocsparseL19gebsrmvn_2xn_kernelILj128ELj10ELj4EfEEvi20rocsparse_direction_NS_24const_host_device_scalarIT2_EEPKiS6_PKS3_S8_S4_PS3_21rocsparse_index_base_b,comdat
.Lfunc_end40:
	.size	_ZN9rocsparseL19gebsrmvn_2xn_kernelILj128ELj10ELj4EfEEvi20rocsparse_direction_NS_24const_host_device_scalarIT2_EEPKiS6_PKS3_S8_S4_PS3_21rocsparse_index_base_b, .Lfunc_end40-_ZN9rocsparseL19gebsrmvn_2xn_kernelILj128ELj10ELj4EfEEvi20rocsparse_direction_NS_24const_host_device_scalarIT2_EEPKiS6_PKS3_S8_S4_PS3_21rocsparse_index_base_b
                                        ; -- End function
	.set _ZN9rocsparseL19gebsrmvn_2xn_kernelILj128ELj10ELj4EfEEvi20rocsparse_direction_NS_24const_host_device_scalarIT2_EEPKiS6_PKS3_S8_S4_PS3_21rocsparse_index_base_b.num_vgpr, 48
	.set _ZN9rocsparseL19gebsrmvn_2xn_kernelILj128ELj10ELj4EfEEvi20rocsparse_direction_NS_24const_host_device_scalarIT2_EEPKiS6_PKS3_S8_S4_PS3_21rocsparse_index_base_b.num_agpr, 0
	.set _ZN9rocsparseL19gebsrmvn_2xn_kernelILj128ELj10ELj4EfEEvi20rocsparse_direction_NS_24const_host_device_scalarIT2_EEPKiS6_PKS3_S8_S4_PS3_21rocsparse_index_base_b.numbered_sgpr, 18
	.set _ZN9rocsparseL19gebsrmvn_2xn_kernelILj128ELj10ELj4EfEEvi20rocsparse_direction_NS_24const_host_device_scalarIT2_EEPKiS6_PKS3_S8_S4_PS3_21rocsparse_index_base_b.num_named_barrier, 0
	.set _ZN9rocsparseL19gebsrmvn_2xn_kernelILj128ELj10ELj4EfEEvi20rocsparse_direction_NS_24const_host_device_scalarIT2_EEPKiS6_PKS3_S8_S4_PS3_21rocsparse_index_base_b.private_seg_size, 0
	.set _ZN9rocsparseL19gebsrmvn_2xn_kernelILj128ELj10ELj4EfEEvi20rocsparse_direction_NS_24const_host_device_scalarIT2_EEPKiS6_PKS3_S8_S4_PS3_21rocsparse_index_base_b.uses_vcc, 1
	.set _ZN9rocsparseL19gebsrmvn_2xn_kernelILj128ELj10ELj4EfEEvi20rocsparse_direction_NS_24const_host_device_scalarIT2_EEPKiS6_PKS3_S8_S4_PS3_21rocsparse_index_base_b.uses_flat_scratch, 0
	.set _ZN9rocsparseL19gebsrmvn_2xn_kernelILj128ELj10ELj4EfEEvi20rocsparse_direction_NS_24const_host_device_scalarIT2_EEPKiS6_PKS3_S8_S4_PS3_21rocsparse_index_base_b.has_dyn_sized_stack, 0
	.set _ZN9rocsparseL19gebsrmvn_2xn_kernelILj128ELj10ELj4EfEEvi20rocsparse_direction_NS_24const_host_device_scalarIT2_EEPKiS6_PKS3_S8_S4_PS3_21rocsparse_index_base_b.has_recursion, 0
	.set _ZN9rocsparseL19gebsrmvn_2xn_kernelILj128ELj10ELj4EfEEvi20rocsparse_direction_NS_24const_host_device_scalarIT2_EEPKiS6_PKS3_S8_S4_PS3_21rocsparse_index_base_b.has_indirect_call, 0
	.section	.AMDGPU.csdata,"",@progbits
; Kernel info:
; codeLenInByte = 1944
; TotalNumSgprs: 20
; NumVgprs: 48
; ScratchSize: 0
; MemoryBound: 0
; FloatMode: 240
; IeeeMode: 1
; LDSByteSize: 0 bytes/workgroup (compile time only)
; SGPRBlocks: 0
; VGPRBlocks: 2
; NumSGPRsForWavesPerEU: 20
; NumVGPRsForWavesPerEU: 48
; NamedBarCnt: 0
; Occupancy: 16
; WaveLimiterHint : 1
; COMPUTE_PGM_RSRC2:SCRATCH_EN: 0
; COMPUTE_PGM_RSRC2:USER_SGPR: 2
; COMPUTE_PGM_RSRC2:TRAP_HANDLER: 0
; COMPUTE_PGM_RSRC2:TGID_X_EN: 1
; COMPUTE_PGM_RSRC2:TGID_Y_EN: 0
; COMPUTE_PGM_RSRC2:TGID_Z_EN: 0
; COMPUTE_PGM_RSRC2:TIDIG_COMP_CNT: 0
	.section	.text._ZN9rocsparseL19gebsrmvn_2xn_kernelILj128ELj10ELj8EfEEvi20rocsparse_direction_NS_24const_host_device_scalarIT2_EEPKiS6_PKS3_S8_S4_PS3_21rocsparse_index_base_b,"axG",@progbits,_ZN9rocsparseL19gebsrmvn_2xn_kernelILj128ELj10ELj8EfEEvi20rocsparse_direction_NS_24const_host_device_scalarIT2_EEPKiS6_PKS3_S8_S4_PS3_21rocsparse_index_base_b,comdat
	.globl	_ZN9rocsparseL19gebsrmvn_2xn_kernelILj128ELj10ELj8EfEEvi20rocsparse_direction_NS_24const_host_device_scalarIT2_EEPKiS6_PKS3_S8_S4_PS3_21rocsparse_index_base_b ; -- Begin function _ZN9rocsparseL19gebsrmvn_2xn_kernelILj128ELj10ELj8EfEEvi20rocsparse_direction_NS_24const_host_device_scalarIT2_EEPKiS6_PKS3_S8_S4_PS3_21rocsparse_index_base_b
	.p2align	8
	.type	_ZN9rocsparseL19gebsrmvn_2xn_kernelILj128ELj10ELj8EfEEvi20rocsparse_direction_NS_24const_host_device_scalarIT2_EEPKiS6_PKS3_S8_S4_PS3_21rocsparse_index_base_b,@function
_ZN9rocsparseL19gebsrmvn_2xn_kernelILj128ELj10ELj8EfEEvi20rocsparse_direction_NS_24const_host_device_scalarIT2_EEPKiS6_PKS3_S8_S4_PS3_21rocsparse_index_base_b: ; @_ZN9rocsparseL19gebsrmvn_2xn_kernelILj128ELj10ELj8EfEEvi20rocsparse_direction_NS_24const_host_device_scalarIT2_EEPKiS6_PKS3_S8_S4_PS3_21rocsparse_index_base_b
; %bb.0:
	s_clause 0x2
	s_load_b64 s[16:17], s[0:1], 0x40
	s_load_b64 s[14:15], s[0:1], 0x8
	s_load_b64 s[12:13], s[0:1], 0x30
	s_wait_kmcnt 0x0
	s_bitcmp1_b32 s17, 0
	s_cselect_b32 s2, -1, 0
	s_delay_alu instid0(SALU_CYCLE_1)
	s_and_b32 vcc_lo, exec_lo, s2
	s_xor_b32 s2, s2, -1
	s_cbranch_vccnz .LBB41_2
; %bb.1:
	s_load_b32 s14, s[14:15], 0x0
.LBB41_2:
	s_and_not1_b32 vcc_lo, exec_lo, s2
	s_cbranch_vccnz .LBB41_4
; %bb.3:
	s_load_b32 s12, s[12:13], 0x0
.LBB41_4:
	s_wait_kmcnt 0x0
	s_cmp_eq_f32 s14, 0
	s_cselect_b32 s2, -1, 0
	s_cmp_eq_f32 s12, 1.0
	s_cselect_b32 s3, -1, 0
	s_delay_alu instid0(SALU_CYCLE_1) | instskip(NEXT) | instid1(SALU_CYCLE_1)
	s_and_b32 s2, s2, s3
	s_and_b32 vcc_lo, exec_lo, s2
	s_cbranch_vccnz .LBB41_23
; %bb.5:
	s_load_b64 s[2:3], s[0:1], 0x0
	s_bfe_u32 s4, ttmp6, 0x4000c
	s_and_b32 s5, ttmp6, 15
	s_add_co_i32 s4, s4, 1
	s_getreg_b32 s6, hwreg(HW_REG_IB_STS2, 6, 4)
	s_mul_i32 s4, ttmp9, s4
	v_lshrrev_b32_e32 v1, 3, v0
	s_add_co_i32 s5, s5, s4
	s_cmp_eq_u32 s6, 0
	s_cselect_b32 s4, ttmp9, s5
	s_delay_alu instid0(VALU_DEP_1) | instid1(SALU_CYCLE_1)
	v_lshl_or_b32 v2, s4, 4, v1
	s_wait_kmcnt 0x0
	s_delay_alu instid0(VALU_DEP_1)
	v_cmp_gt_i32_e32 vcc_lo, s2, v2
	s_and_saveexec_b32 s2, vcc_lo
	s_cbranch_execz .LBB41_23
; %bb.6:
	s_load_b256 s[4:11], s[0:1], 0x10
	v_ashrrev_i32_e32 v3, 31, v2
	s_cmp_lg_u32 s3, 0
	s_wait_kmcnt 0x0
	s_delay_alu instid0(VALU_DEP_1)
	v_lshl_add_u64 v[4:5], v[2:3], 2, s[4:5]
	v_and_b32_e32 v3, 7, v0
	global_load_b64 v[4:5], v[4:5], off
	s_wait_loadcnt 0x0
	v_subrev_nc_u32_e32 v0, s16, v4
	v_subrev_nc_u32_e32 v8, s16, v5
	s_delay_alu instid0(VALU_DEP_2) | instskip(NEXT) | instid1(VALU_DEP_1)
	v_add_nc_u32_e32 v9, v0, v3
	v_cmp_lt_i32_e64 s2, v9, v8
	s_cbranch_scc0 .LBB41_12
; %bb.7:
	v_mov_b32_e32 v1, 0
	s_delay_alu instid0(VALU_DEP_1)
	v_mov_b32_e32 v0, v1
	s_and_saveexec_b32 s3, s2
	s_cbranch_execz .LBB41_11
; %bb.8:
	v_mad_u32 v4, v9, 20, 18
	v_dual_mov_b32 v7, 0 :: v_dual_mov_b32 v10, v9
	s_mov_b32 s4, 0
	s_delay_alu instid0(VALU_DEP_1)
	v_dual_mov_b32 v0, v7 :: v_dual_mov_b32 v1, v7
.LBB41_9:                               ; =>This Inner Loop Header: Depth=1
	global_load_b32 v5, v10, s[6:7] scale_offset
	v_subrev_nc_u32_e32 v6, 18, v4
	s_wait_xcnt 0x0
	v_dual_mov_b32 v17, v7 :: v_dual_add_nc_u32 v10, 8, v10
	s_delay_alu instid0(VALU_DEP_2) | instskip(SKIP_1) | instid1(VALU_DEP_3)
	v_lshl_add_u64 v[12:13], v[6:7], 2, s[8:9]
	v_add_nc_u32_e32 v6, -14, v4
	v_cmp_ge_i32_e32 vcc_lo, v10, v8
	global_load_b128 v[12:15], v[12:13], off
	v_lshl_add_u64 v[18:19], v[6:7], 2, s[8:9]
	s_or_b32 s4, vcc_lo, s4
	global_load_b64 v[18:19], v[18:19], off
	s_wait_loadcnt 0x2
	v_subrev_nc_u32_e32 v5, s16, v5
	s_delay_alu instid0(VALU_DEP_1) | instskip(NEXT) | instid1(VALU_DEP_1)
	v_mul_lo_u32 v16, v5, 10
	v_dual_mov_b32 v5, v7 :: v_dual_add_nc_u32 v6, 2, v16
	v_lshl_add_u64 v[20:21], v[16:17], 2, s[10:11]
	s_delay_alu instid0(VALU_DEP_2)
	v_lshl_add_u64 v[22:23], v[6:7], 2, s[10:11]
	v_add_nc_u32_e32 v6, -12, v4
	s_clause 0x1
	global_load_b64 v[20:21], v[20:21], off
	global_load_b64 v[22:23], v[22:23], off
	v_lshl_add_u64 v[24:25], v[6:7], 2, s[8:9]
	v_add_nc_u32_e32 v6, -10, v4
	global_load_b64 v[24:25], v[24:25], off
	v_lshl_add_u64 v[26:27], v[6:7], 2, s[8:9]
	v_add_nc_u32_e32 v6, 4, v16
	global_load_b64 v[26:27], v[26:27], off
	v_lshl_add_u64 v[28:29], v[6:7], 2, s[10:11]
	v_add_nc_u32_e32 v6, -8, v4
	global_load_b64 v[28:29], v[28:29], off
	v_lshl_add_u64 v[30:31], v[6:7], 2, s[8:9]
	v_add_nc_u32_e32 v6, -6, v4
	global_load_b64 v[30:31], v[30:31], off
	v_lshl_add_u64 v[32:33], v[6:7], 2, s[8:9]
	v_add_nc_u32_e32 v6, 6, v16
	s_delay_alu instid0(VALU_DEP_1)
	v_lshl_add_u64 v[34:35], v[6:7], 2, s[10:11]
	v_add_nc_u32_e32 v6, -4, v4
	global_load_b64 v[38:39], v[32:33], off
	global_load_b64 v[40:41], v[34:35], off
	v_lshl_add_u64 v[36:37], v[6:7], 2, s[8:9]
	v_add_nc_u32_e32 v6, -2, v4
	s_wait_xcnt 0x1
	s_delay_alu instid0(VALU_DEP_1)
	v_lshl_add_u64 v[32:33], v[6:7], 2, s[8:9]
	v_add_nc_u32_e32 v6, 8, v16
	global_load_b64 v[16:17], v[36:37], off
	s_wait_xcnt 0x0
	v_lshl_add_u64 v[36:37], v[4:5], 2, s[8:9]
	v_add_nc_u32_e32 v4, 0xa0, v4
	v_lshl_add_u64 v[34:35], v[6:7], 2, s[10:11]
	global_load_b64 v[42:43], v[32:33], off
	global_load_b64 v[44:45], v[34:35], off
	;; [unrolled: 1-line block ×3, first 2 shown]
	s_wait_loadcnt 0xb
	v_pk_fma_f32 v[0:1], v[12:13], v[20:21], v[0:1] op_sel_hi:[1,0,1]
	s_delay_alu instid0(VALU_DEP_1) | instskip(SKIP_1) | instid1(VALU_DEP_1)
	v_pk_fma_f32 v[0:1], v[14:15], v[20:21], v[0:1] op_sel:[0,1,0]
	s_wait_loadcnt 0xa
	v_pk_fma_f32 v[0:1], v[18:19], v[22:23], v[0:1] op_sel_hi:[1,0,1]
	s_wait_loadcnt 0x9
	s_delay_alu instid0(VALU_DEP_1) | instskip(SKIP_1) | instid1(VALU_DEP_1)
	v_pk_fma_f32 v[0:1], v[24:25], v[22:23], v[0:1] op_sel:[0,1,0]
	s_wait_loadcnt 0x7
	v_pk_fma_f32 v[0:1], v[26:27], v[28:29], v[0:1] op_sel_hi:[1,0,1]
	s_wait_loadcnt 0x6
	;; [unrolled: 5-line block ×4, first 2 shown]
	s_delay_alu instid0(VALU_DEP_1)
	v_pk_fma_f32 v[0:1], v[46:47], v[44:45], v[0:1] op_sel:[0,1,0]
	s_and_not1_b32 exec_lo, exec_lo, s4
	s_cbranch_execnz .LBB41_9
; %bb.10:
	s_or_b32 exec_lo, exec_lo, s4
.LBB41_11:
	s_delay_alu instid0(SALU_CYCLE_1)
	s_or_b32 exec_lo, exec_lo, s3
	s_cbranch_execz .LBB41_13
	s_branch .LBB41_18
.LBB41_12:
                                        ; implicit-def: $vgpr1
.LBB41_13:
	v_mov_b32_e32 v1, 0
	s_delay_alu instid0(VALU_DEP_1)
	v_mov_b32_e32 v0, v1
	s_and_saveexec_b32 s3, s2
	s_cbranch_execz .LBB41_17
; %bb.14:
	v_mad_u32 v6, v9, 20, 19
	v_mov_b32_e32 v5, 0
	s_mov_b32 s2, 0
	s_delay_alu instid0(VALU_DEP_1)
	v_dual_mov_b32 v0, v5 :: v_dual_mov_b32 v1, v5
.LBB41_15:                              ; =>This Inner Loop Header: Depth=1
	global_load_b32 v4, v9, s[6:7] scale_offset
	v_dual_mov_b32 v15, v5 :: v_dual_add_nc_u32 v7, -8, v6
	v_dual_add_nc_u32 v18, -7, v6 :: v_dual_add_nc_u32 v32, -4, v6
	s_wait_xcnt 0x0
	v_dual_add_nc_u32 v9, 8, v9 :: v_dual_add_nc_u32 v22, -15, v6
	s_clause 0x1
	global_load_b32 v19, v7, s[8:9] scale_offset
	global_load_b32 v23, v18, s[8:9] scale_offset
	s_wait_xcnt 0x0
	v_dual_add_nc_u32 v7, -6, v6 :: v_dual_add_nc_u32 v18, -5, v6
	v_add_nc_u32_e32 v24, -14, v6
	v_cmp_ge_i32_e32 vcc_lo, v9, v8
	global_load_b32 v25, v7, s[8:9] scale_offset
	s_wait_xcnt 0x0
	v_add_nc_u32_e32 v7, -13, v6
	s_or_b32 s2, vcc_lo, s2
	s_wait_loadcnt 0x3
	v_subrev_nc_u32_e32 v4, s16, v4
	s_delay_alu instid0(VALU_DEP_1) | instskip(SKIP_1) | instid1(VALU_DEP_1)
	v_mul_lo_u32 v14, v4, 10
	v_subrev_nc_u32_e32 v4, 19, v6
	v_lshl_add_u64 v[10:11], v[4:5], 2, s[8:9]
	v_add_nc_u32_e32 v4, -9, v6
	global_load_b128 v[10:13], v[10:11], off
	v_lshl_add_u64 v[16:17], v[14:15], 2, s[10:11]
	global_load_b32 v15, v4, s[8:9] scale_offset
	s_wait_xcnt 0x0
	v_add_nc_u32_e32 v4, 2, v14
	global_load_b64 v[16:17], v[16:17], off
	v_lshl_add_u64 v[20:21], v[4:5], 2, s[10:11]
	v_add_nc_u32_e32 v4, 4, v14
	global_load_b64 v[20:21], v[20:21], off
	v_lshl_add_u64 v[26:27], v[4:5], 2, s[10:11]
	s_clause 0x1
	global_load_b32 v28, v22, s[8:9] scale_offset
	global_load_b32 v29, v18, s[8:9] scale_offset
	v_add_nc_u32_e32 v4, 6, v14
	s_wait_xcnt 0x0
	v_dual_add_nc_u32 v18, -3, v6 :: v_dual_add_nc_u32 v22, -12, v6
	global_load_b64 v[26:27], v[26:27], off
	s_clause 0x1
	global_load_b32 v30, v24, s[8:9] scale_offset
	global_load_b32 v31, v32, s[8:9] scale_offset
	s_wait_xcnt 0x0
	v_lshl_add_u64 v[32:33], v[4:5], 2, s[10:11]
	s_clause 0x1
	global_load_b32 v34, v7, s[8:9] scale_offset
	global_load_b32 v35, v18, s[8:9] scale_offset
	s_wait_xcnt 0x1
	v_dual_add_nc_u32 v24, -2, v6 :: v_dual_add_nc_u32 v7, -11, v6
	v_add_nc_u32_e32 v4, 8, v14
	global_load_b64 v[32:33], v[32:33], off
	s_clause 0x1
	global_load_b32 v36, v22, s[8:9] scale_offset
	global_load_b32 v37, v24, s[8:9] scale_offset
	s_wait_loadcnt 0xd
	s_wait_xcnt 0x0
	v_dual_add_nc_u32 v14, -1, v6 :: v_dual_mov_b32 v24, v13
	v_lshl_add_u64 v[38:39], v[4:5], 2, s[10:11]
	v_add_nc_u32_e32 v4, -10, v6
	s_clause 0x1
	global_load_b32 v40, v7, s[8:9] scale_offset
	global_load_b32 v41, v14, s[8:9] scale_offset
	global_load_b64 v[42:43], v[38:39], off
	s_clause 0x1
	global_load_b32 v44, v4, s[8:9] scale_offset
	global_load_b32 v45, v6, s[8:9] scale_offset
	s_wait_xcnt 0x3
	v_dual_mov_b32 v14, v10 :: v_dual_mov_b32 v18, v11
	v_mov_b32_e32 v22, v12
	s_wait_xcnt 0x0
	v_add_nc_u32_e32 v6, 0xa0, v6
	s_wait_loadcnt 0x10
	v_pk_fma_f32 v[0:1], v[14:15], v[16:17], v[0:1] op_sel_hi:[1,0,1]
	s_delay_alu instid0(VALU_DEP_1) | instskip(SKIP_1) | instid1(VALU_DEP_1)
	v_pk_fma_f32 v[0:1], v[18:19], v[16:17], v[0:1] op_sel:[0,1,0]
	s_wait_loadcnt 0xf
	v_pk_fma_f32 v[0:1], v[22:23], v[20:21], v[0:1] op_sel_hi:[1,0,1]
	s_delay_alu instid0(VALU_DEP_1) | instskip(SKIP_1) | instid1(VALU_DEP_1)
	v_pk_fma_f32 v[0:1], v[24:25], v[20:21], v[0:1] op_sel:[0,1,0]
	s_wait_loadcnt 0xc
	v_pk_fma_f32 v[0:1], v[28:29], v[26:27], v[0:1] op_sel_hi:[1,0,1]
	s_wait_loadcnt 0xa
	s_delay_alu instid0(VALU_DEP_1) | instskip(SKIP_1) | instid1(VALU_DEP_1)
	v_pk_fma_f32 v[0:1], v[30:31], v[26:27], v[0:1] op_sel:[0,1,0]
	s_wait_loadcnt 0x7
	v_pk_fma_f32 v[0:1], v[34:35], v[32:33], v[0:1] op_sel_hi:[1,0,1]
	s_wait_loadcnt 0x5
	;; [unrolled: 5-line block ×3, first 2 shown]
	s_delay_alu instid0(VALU_DEP_1)
	v_pk_fma_f32 v[0:1], v[44:45], v[42:43], v[0:1] op_sel:[0,1,0]
	s_and_not1_b32 exec_lo, exec_lo, s2
	s_cbranch_execnz .LBB41_15
; %bb.16:
	s_or_b32 exec_lo, exec_lo, s2
.LBB41_17:
	s_delay_alu instid0(SALU_CYCLE_1)
	s_or_b32 exec_lo, exec_lo, s3
.LBB41_18:
	v_mbcnt_lo_u32_b32 v6, -1, 0
	s_mov_b32 s2, -1
	s_delay_alu instid0(VALU_DEP_1) | instskip(SKIP_1) | instid1(VALU_DEP_1)
	v_xor_b32_e32 v7, 2, v6
	v_xor_b32_e32 v4, 4, v6
	v_cmp_gt_i32_e32 vcc_lo, 32, v4
	v_cndmask_b32_e32 v4, v6, v4, vcc_lo
	s_delay_alu instid0(VALU_DEP_4) | instskip(SKIP_1) | instid1(VALU_DEP_1)
	v_cmp_gt_i32_e32 vcc_lo, 32, v7
	v_cndmask_b32_e32 v7, v6, v7, vcc_lo
	v_dual_lshlrev_b32 v7, 2, v7 :: v_dual_lshlrev_b32 v5, 2, v4
	ds_bpermute_b32 v4, v5, v0
	ds_bpermute_b32 v5, v5, v1
	s_wait_dscnt 0x0
	v_pk_add_f32 v[0:1], v[0:1], v[4:5]
	ds_bpermute_b32 v4, v7, v0
	ds_bpermute_b32 v5, v7, v1
	v_xor_b32_e32 v7, 1, v6
	s_delay_alu instid0(VALU_DEP_1) | instskip(SKIP_2) | instid1(VALU_DEP_2)
	v_cmp_gt_i32_e32 vcc_lo, 32, v7
	v_cndmask_b32_e32 v6, v6, v7, vcc_lo
	v_cmp_eq_u32_e32 vcc_lo, 7, v3
	v_lshlrev_b32_e32 v6, 2, v6
	s_wait_dscnt 0x0
	v_pk_add_f32 v[0:1], v[0:1], v[4:5]
	ds_bpermute_b32 v4, v6, v0
	ds_bpermute_b32 v5, v6, v1
	s_and_b32 exec_lo, exec_lo, vcc_lo
	s_cbranch_execz .LBB41_23
; %bb.19:
	s_load_b64 s[0:1], s[0:1], 0x38
	s_wait_dscnt 0x0
	v_pk_add_f32 v[0:1], v[0:1], v[4:5]
	v_lshlrev_b32_e32 v2, 1, v2
	s_cmp_eq_f32 s12, 0
	s_cbranch_scc0 .LBB41_21
; %bb.20:
	s_delay_alu instid0(VALU_DEP_1) | instskip(SKIP_3) | instid1(VALU_DEP_2)
	v_ashrrev_i32_e32 v3, 31, v2
	v_pk_mul_f32 v[6:7], s[14:15], v[0:1] op_sel_hi:[0,1]
	s_mov_b32 s2, 0
	s_wait_kmcnt 0x0
	v_lshl_add_u64 v[4:5], v[2:3], 2, s[0:1]
	global_store_b64 v[4:5], v[6:7], off
.LBB41_21:
	s_and_not1_b32 vcc_lo, exec_lo, s2
	s_cbranch_vccnz .LBB41_23
; %bb.22:
	v_ashrrev_i32_e32 v3, 31, v2
	v_pk_mul_f32 v[0:1], s[14:15], v[0:1] op_sel_hi:[0,1]
	s_wait_kmcnt 0x0
	s_delay_alu instid0(VALU_DEP_2)
	v_lshl_add_u64 v[2:3], v[2:3], 2, s[0:1]
	global_load_b64 v[4:5], v[2:3], off
	s_wait_loadcnt 0x0
	v_pk_fma_f32 v[0:1], s[12:13], v[4:5], v[0:1] op_sel_hi:[0,1,1]
	global_store_b64 v[2:3], v[0:1], off
.LBB41_23:
	s_endpgm
	.section	.rodata,"a",@progbits
	.p2align	6, 0x0
	.amdhsa_kernel _ZN9rocsparseL19gebsrmvn_2xn_kernelILj128ELj10ELj8EfEEvi20rocsparse_direction_NS_24const_host_device_scalarIT2_EEPKiS6_PKS3_S8_S4_PS3_21rocsparse_index_base_b
		.amdhsa_group_segment_fixed_size 0
		.amdhsa_private_segment_fixed_size 0
		.amdhsa_kernarg_size 72
		.amdhsa_user_sgpr_count 2
		.amdhsa_user_sgpr_dispatch_ptr 0
		.amdhsa_user_sgpr_queue_ptr 0
		.amdhsa_user_sgpr_kernarg_segment_ptr 1
		.amdhsa_user_sgpr_dispatch_id 0
		.amdhsa_user_sgpr_kernarg_preload_length 0
		.amdhsa_user_sgpr_kernarg_preload_offset 0
		.amdhsa_user_sgpr_private_segment_size 0
		.amdhsa_wavefront_size32 1
		.amdhsa_uses_dynamic_stack 0
		.amdhsa_enable_private_segment 0
		.amdhsa_system_sgpr_workgroup_id_x 1
		.amdhsa_system_sgpr_workgroup_id_y 0
		.amdhsa_system_sgpr_workgroup_id_z 0
		.amdhsa_system_sgpr_workgroup_info 0
		.amdhsa_system_vgpr_workitem_id 0
		.amdhsa_next_free_vgpr 48
		.amdhsa_next_free_sgpr 18
		.amdhsa_named_barrier_count 0
		.amdhsa_reserve_vcc 1
		.amdhsa_float_round_mode_32 0
		.amdhsa_float_round_mode_16_64 0
		.amdhsa_float_denorm_mode_32 3
		.amdhsa_float_denorm_mode_16_64 3
		.amdhsa_fp16_overflow 0
		.amdhsa_memory_ordered 1
		.amdhsa_forward_progress 1
		.amdhsa_inst_pref_size 16
		.amdhsa_round_robin_scheduling 0
		.amdhsa_exception_fp_ieee_invalid_op 0
		.amdhsa_exception_fp_denorm_src 0
		.amdhsa_exception_fp_ieee_div_zero 0
		.amdhsa_exception_fp_ieee_overflow 0
		.amdhsa_exception_fp_ieee_underflow 0
		.amdhsa_exception_fp_ieee_inexact 0
		.amdhsa_exception_int_div_zero 0
	.end_amdhsa_kernel
	.section	.text._ZN9rocsparseL19gebsrmvn_2xn_kernelILj128ELj10ELj8EfEEvi20rocsparse_direction_NS_24const_host_device_scalarIT2_EEPKiS6_PKS3_S8_S4_PS3_21rocsparse_index_base_b,"axG",@progbits,_ZN9rocsparseL19gebsrmvn_2xn_kernelILj128ELj10ELj8EfEEvi20rocsparse_direction_NS_24const_host_device_scalarIT2_EEPKiS6_PKS3_S8_S4_PS3_21rocsparse_index_base_b,comdat
.Lfunc_end41:
	.size	_ZN9rocsparseL19gebsrmvn_2xn_kernelILj128ELj10ELj8EfEEvi20rocsparse_direction_NS_24const_host_device_scalarIT2_EEPKiS6_PKS3_S8_S4_PS3_21rocsparse_index_base_b, .Lfunc_end41-_ZN9rocsparseL19gebsrmvn_2xn_kernelILj128ELj10ELj8EfEEvi20rocsparse_direction_NS_24const_host_device_scalarIT2_EEPKiS6_PKS3_S8_S4_PS3_21rocsparse_index_base_b
                                        ; -- End function
	.set _ZN9rocsparseL19gebsrmvn_2xn_kernelILj128ELj10ELj8EfEEvi20rocsparse_direction_NS_24const_host_device_scalarIT2_EEPKiS6_PKS3_S8_S4_PS3_21rocsparse_index_base_b.num_vgpr, 48
	.set _ZN9rocsparseL19gebsrmvn_2xn_kernelILj128ELj10ELj8EfEEvi20rocsparse_direction_NS_24const_host_device_scalarIT2_EEPKiS6_PKS3_S8_S4_PS3_21rocsparse_index_base_b.num_agpr, 0
	.set _ZN9rocsparseL19gebsrmvn_2xn_kernelILj128ELj10ELj8EfEEvi20rocsparse_direction_NS_24const_host_device_scalarIT2_EEPKiS6_PKS3_S8_S4_PS3_21rocsparse_index_base_b.numbered_sgpr, 18
	.set _ZN9rocsparseL19gebsrmvn_2xn_kernelILj128ELj10ELj8EfEEvi20rocsparse_direction_NS_24const_host_device_scalarIT2_EEPKiS6_PKS3_S8_S4_PS3_21rocsparse_index_base_b.num_named_barrier, 0
	.set _ZN9rocsparseL19gebsrmvn_2xn_kernelILj128ELj10ELj8EfEEvi20rocsparse_direction_NS_24const_host_device_scalarIT2_EEPKiS6_PKS3_S8_S4_PS3_21rocsparse_index_base_b.private_seg_size, 0
	.set _ZN9rocsparseL19gebsrmvn_2xn_kernelILj128ELj10ELj8EfEEvi20rocsparse_direction_NS_24const_host_device_scalarIT2_EEPKiS6_PKS3_S8_S4_PS3_21rocsparse_index_base_b.uses_vcc, 1
	.set _ZN9rocsparseL19gebsrmvn_2xn_kernelILj128ELj10ELj8EfEEvi20rocsparse_direction_NS_24const_host_device_scalarIT2_EEPKiS6_PKS3_S8_S4_PS3_21rocsparse_index_base_b.uses_flat_scratch, 0
	.set _ZN9rocsparseL19gebsrmvn_2xn_kernelILj128ELj10ELj8EfEEvi20rocsparse_direction_NS_24const_host_device_scalarIT2_EEPKiS6_PKS3_S8_S4_PS3_21rocsparse_index_base_b.has_dyn_sized_stack, 0
	.set _ZN9rocsparseL19gebsrmvn_2xn_kernelILj128ELj10ELj8EfEEvi20rocsparse_direction_NS_24const_host_device_scalarIT2_EEPKiS6_PKS3_S8_S4_PS3_21rocsparse_index_base_b.has_recursion, 0
	.set _ZN9rocsparseL19gebsrmvn_2xn_kernelILj128ELj10ELj8EfEEvi20rocsparse_direction_NS_24const_host_device_scalarIT2_EEPKiS6_PKS3_S8_S4_PS3_21rocsparse_index_base_b.has_indirect_call, 0
	.section	.AMDGPU.csdata,"",@progbits
; Kernel info:
; codeLenInByte = 1992
; TotalNumSgprs: 20
; NumVgprs: 48
; ScratchSize: 0
; MemoryBound: 0
; FloatMode: 240
; IeeeMode: 1
; LDSByteSize: 0 bytes/workgroup (compile time only)
; SGPRBlocks: 0
; VGPRBlocks: 2
; NumSGPRsForWavesPerEU: 20
; NumVGPRsForWavesPerEU: 48
; NamedBarCnt: 0
; Occupancy: 16
; WaveLimiterHint : 1
; COMPUTE_PGM_RSRC2:SCRATCH_EN: 0
; COMPUTE_PGM_RSRC2:USER_SGPR: 2
; COMPUTE_PGM_RSRC2:TRAP_HANDLER: 0
; COMPUTE_PGM_RSRC2:TGID_X_EN: 1
; COMPUTE_PGM_RSRC2:TGID_Y_EN: 0
; COMPUTE_PGM_RSRC2:TGID_Z_EN: 0
; COMPUTE_PGM_RSRC2:TIDIG_COMP_CNT: 0
	.section	.text._ZN9rocsparseL19gebsrmvn_2xn_kernelILj128ELj10ELj16EfEEvi20rocsparse_direction_NS_24const_host_device_scalarIT2_EEPKiS6_PKS3_S8_S4_PS3_21rocsparse_index_base_b,"axG",@progbits,_ZN9rocsparseL19gebsrmvn_2xn_kernelILj128ELj10ELj16EfEEvi20rocsparse_direction_NS_24const_host_device_scalarIT2_EEPKiS6_PKS3_S8_S4_PS3_21rocsparse_index_base_b,comdat
	.globl	_ZN9rocsparseL19gebsrmvn_2xn_kernelILj128ELj10ELj16EfEEvi20rocsparse_direction_NS_24const_host_device_scalarIT2_EEPKiS6_PKS3_S8_S4_PS3_21rocsparse_index_base_b ; -- Begin function _ZN9rocsparseL19gebsrmvn_2xn_kernelILj128ELj10ELj16EfEEvi20rocsparse_direction_NS_24const_host_device_scalarIT2_EEPKiS6_PKS3_S8_S4_PS3_21rocsparse_index_base_b
	.p2align	8
	.type	_ZN9rocsparseL19gebsrmvn_2xn_kernelILj128ELj10ELj16EfEEvi20rocsparse_direction_NS_24const_host_device_scalarIT2_EEPKiS6_PKS3_S8_S4_PS3_21rocsparse_index_base_b,@function
_ZN9rocsparseL19gebsrmvn_2xn_kernelILj128ELj10ELj16EfEEvi20rocsparse_direction_NS_24const_host_device_scalarIT2_EEPKiS6_PKS3_S8_S4_PS3_21rocsparse_index_base_b: ; @_ZN9rocsparseL19gebsrmvn_2xn_kernelILj128ELj10ELj16EfEEvi20rocsparse_direction_NS_24const_host_device_scalarIT2_EEPKiS6_PKS3_S8_S4_PS3_21rocsparse_index_base_b
; %bb.0:
	s_clause 0x2
	s_load_b64 s[16:17], s[0:1], 0x40
	s_load_b64 s[14:15], s[0:1], 0x8
	;; [unrolled: 1-line block ×3, first 2 shown]
	s_wait_kmcnt 0x0
	s_bitcmp1_b32 s17, 0
	s_cselect_b32 s2, -1, 0
	s_delay_alu instid0(SALU_CYCLE_1)
	s_and_b32 vcc_lo, exec_lo, s2
	s_xor_b32 s2, s2, -1
	s_cbranch_vccnz .LBB42_2
; %bb.1:
	s_load_b32 s14, s[14:15], 0x0
.LBB42_2:
	s_and_not1_b32 vcc_lo, exec_lo, s2
	s_cbranch_vccnz .LBB42_4
; %bb.3:
	s_load_b32 s12, s[12:13], 0x0
.LBB42_4:
	s_wait_kmcnt 0x0
	s_cmp_eq_f32 s14, 0
	s_cselect_b32 s2, -1, 0
	s_cmp_eq_f32 s12, 1.0
	s_cselect_b32 s3, -1, 0
	s_delay_alu instid0(SALU_CYCLE_1) | instskip(NEXT) | instid1(SALU_CYCLE_1)
	s_and_b32 s2, s2, s3
	s_and_b32 vcc_lo, exec_lo, s2
	s_cbranch_vccnz .LBB42_23
; %bb.5:
	s_load_b64 s[2:3], s[0:1], 0x0
	s_bfe_u32 s4, ttmp6, 0x4000c
	s_and_b32 s5, ttmp6, 15
	s_add_co_i32 s4, s4, 1
	s_getreg_b32 s6, hwreg(HW_REG_IB_STS2, 6, 4)
	s_mul_i32 s4, ttmp9, s4
	v_lshrrev_b32_e32 v1, 4, v0
	s_add_co_i32 s5, s5, s4
	s_cmp_eq_u32 s6, 0
	s_cselect_b32 s4, ttmp9, s5
	s_delay_alu instid0(VALU_DEP_1) | instid1(SALU_CYCLE_1)
	v_lshl_or_b32 v2, s4, 3, v1
	s_wait_kmcnt 0x0
	s_delay_alu instid0(VALU_DEP_1)
	v_cmp_gt_i32_e32 vcc_lo, s2, v2
	s_and_saveexec_b32 s2, vcc_lo
	s_cbranch_execz .LBB42_23
; %bb.6:
	s_load_b256 s[4:11], s[0:1], 0x10
	v_ashrrev_i32_e32 v3, 31, v2
	s_cmp_lg_u32 s3, 0
	s_wait_kmcnt 0x0
	s_delay_alu instid0(VALU_DEP_1)
	v_lshl_add_u64 v[4:5], v[2:3], 2, s[4:5]
	v_and_b32_e32 v3, 15, v0
	global_load_b64 v[4:5], v[4:5], off
	s_wait_loadcnt 0x0
	v_subrev_nc_u32_e32 v0, s16, v4
	v_subrev_nc_u32_e32 v8, s16, v5
	s_delay_alu instid0(VALU_DEP_2) | instskip(NEXT) | instid1(VALU_DEP_1)
	v_add_nc_u32_e32 v9, v0, v3
	v_cmp_lt_i32_e64 s2, v9, v8
	s_cbranch_scc0 .LBB42_12
; %bb.7:
	v_mov_b32_e32 v1, 0
	s_delay_alu instid0(VALU_DEP_1)
	v_mov_b32_e32 v0, v1
	s_and_saveexec_b32 s3, s2
	s_cbranch_execz .LBB42_11
; %bb.8:
	v_mad_u32 v4, v9, 20, 18
	v_dual_mov_b32 v7, 0 :: v_dual_mov_b32 v10, v9
	s_mov_b32 s4, 0
	s_delay_alu instid0(VALU_DEP_1)
	v_dual_mov_b32 v0, v7 :: v_dual_mov_b32 v1, v7
.LBB42_9:                               ; =>This Inner Loop Header: Depth=1
	global_load_b32 v5, v10, s[6:7] scale_offset
	v_subrev_nc_u32_e32 v6, 18, v4
	s_wait_xcnt 0x0
	v_dual_mov_b32 v17, v7 :: v_dual_add_nc_u32 v10, 16, v10
	s_delay_alu instid0(VALU_DEP_2) | instskip(SKIP_1) | instid1(VALU_DEP_3)
	v_lshl_add_u64 v[12:13], v[6:7], 2, s[8:9]
	v_add_nc_u32_e32 v6, -14, v4
	v_cmp_ge_i32_e32 vcc_lo, v10, v8
	global_load_b128 v[12:15], v[12:13], off
	v_lshl_add_u64 v[18:19], v[6:7], 2, s[8:9]
	s_or_b32 s4, vcc_lo, s4
	global_load_b64 v[18:19], v[18:19], off
	s_wait_loadcnt 0x2
	v_subrev_nc_u32_e32 v5, s16, v5
	s_delay_alu instid0(VALU_DEP_1) | instskip(NEXT) | instid1(VALU_DEP_1)
	v_mul_lo_u32 v16, v5, 10
	v_dual_mov_b32 v5, v7 :: v_dual_add_nc_u32 v6, 2, v16
	v_lshl_add_u64 v[20:21], v[16:17], 2, s[10:11]
	s_delay_alu instid0(VALU_DEP_2)
	v_lshl_add_u64 v[22:23], v[6:7], 2, s[10:11]
	v_add_nc_u32_e32 v6, -12, v4
	s_clause 0x1
	global_load_b64 v[20:21], v[20:21], off
	global_load_b64 v[22:23], v[22:23], off
	v_lshl_add_u64 v[24:25], v[6:7], 2, s[8:9]
	v_add_nc_u32_e32 v6, -10, v4
	global_load_b64 v[24:25], v[24:25], off
	v_lshl_add_u64 v[26:27], v[6:7], 2, s[8:9]
	v_add_nc_u32_e32 v6, 4, v16
	global_load_b64 v[26:27], v[26:27], off
	v_lshl_add_u64 v[28:29], v[6:7], 2, s[10:11]
	v_add_nc_u32_e32 v6, -8, v4
	global_load_b64 v[28:29], v[28:29], off
	v_lshl_add_u64 v[30:31], v[6:7], 2, s[8:9]
	v_add_nc_u32_e32 v6, -6, v4
	global_load_b64 v[30:31], v[30:31], off
	v_lshl_add_u64 v[32:33], v[6:7], 2, s[8:9]
	v_add_nc_u32_e32 v6, 6, v16
	s_delay_alu instid0(VALU_DEP_1)
	v_lshl_add_u64 v[34:35], v[6:7], 2, s[10:11]
	v_add_nc_u32_e32 v6, -4, v4
	global_load_b64 v[38:39], v[32:33], off
	global_load_b64 v[40:41], v[34:35], off
	v_lshl_add_u64 v[36:37], v[6:7], 2, s[8:9]
	v_add_nc_u32_e32 v6, -2, v4
	s_wait_xcnt 0x1
	s_delay_alu instid0(VALU_DEP_1)
	v_lshl_add_u64 v[32:33], v[6:7], 2, s[8:9]
	v_add_nc_u32_e32 v6, 8, v16
	global_load_b64 v[16:17], v[36:37], off
	s_wait_xcnt 0x0
	v_lshl_add_u64 v[36:37], v[4:5], 2, s[8:9]
	v_add_nc_u32_e32 v4, 0x140, v4
	v_lshl_add_u64 v[34:35], v[6:7], 2, s[10:11]
	global_load_b64 v[42:43], v[32:33], off
	global_load_b64 v[44:45], v[34:35], off
	;; [unrolled: 1-line block ×3, first 2 shown]
	s_wait_loadcnt 0xb
	v_pk_fma_f32 v[0:1], v[12:13], v[20:21], v[0:1] op_sel_hi:[1,0,1]
	s_delay_alu instid0(VALU_DEP_1) | instskip(SKIP_1) | instid1(VALU_DEP_1)
	v_pk_fma_f32 v[0:1], v[14:15], v[20:21], v[0:1] op_sel:[0,1,0]
	s_wait_loadcnt 0xa
	v_pk_fma_f32 v[0:1], v[18:19], v[22:23], v[0:1] op_sel_hi:[1,0,1]
	s_wait_loadcnt 0x9
	s_delay_alu instid0(VALU_DEP_1) | instskip(SKIP_1) | instid1(VALU_DEP_1)
	v_pk_fma_f32 v[0:1], v[24:25], v[22:23], v[0:1] op_sel:[0,1,0]
	s_wait_loadcnt 0x7
	v_pk_fma_f32 v[0:1], v[26:27], v[28:29], v[0:1] op_sel_hi:[1,0,1]
	s_wait_loadcnt 0x6
	;; [unrolled: 5-line block ×4, first 2 shown]
	s_delay_alu instid0(VALU_DEP_1)
	v_pk_fma_f32 v[0:1], v[46:47], v[44:45], v[0:1] op_sel:[0,1,0]
	s_and_not1_b32 exec_lo, exec_lo, s4
	s_cbranch_execnz .LBB42_9
; %bb.10:
	s_or_b32 exec_lo, exec_lo, s4
.LBB42_11:
	s_delay_alu instid0(SALU_CYCLE_1)
	s_or_b32 exec_lo, exec_lo, s3
	s_cbranch_execz .LBB42_13
	s_branch .LBB42_18
.LBB42_12:
                                        ; implicit-def: $vgpr1
.LBB42_13:
	v_mov_b32_e32 v1, 0
	s_delay_alu instid0(VALU_DEP_1)
	v_mov_b32_e32 v0, v1
	s_and_saveexec_b32 s3, s2
	s_cbranch_execz .LBB42_17
; %bb.14:
	v_mad_u32 v6, v9, 20, 19
	v_mov_b32_e32 v5, 0
	s_mov_b32 s2, 0
	s_delay_alu instid0(VALU_DEP_1)
	v_dual_mov_b32 v0, v5 :: v_dual_mov_b32 v1, v5
.LBB42_15:                              ; =>This Inner Loop Header: Depth=1
	global_load_b32 v4, v9, s[6:7] scale_offset
	v_dual_mov_b32 v15, v5 :: v_dual_add_nc_u32 v7, -8, v6
	v_dual_add_nc_u32 v18, -7, v6 :: v_dual_add_nc_u32 v32, -4, v6
	s_wait_xcnt 0x0
	v_dual_add_nc_u32 v9, 16, v9 :: v_dual_add_nc_u32 v22, -15, v6
	s_clause 0x1
	global_load_b32 v19, v7, s[8:9] scale_offset
	global_load_b32 v23, v18, s[8:9] scale_offset
	s_wait_xcnt 0x0
	v_dual_add_nc_u32 v7, -6, v6 :: v_dual_add_nc_u32 v18, -5, v6
	v_add_nc_u32_e32 v24, -14, v6
	v_cmp_ge_i32_e32 vcc_lo, v9, v8
	global_load_b32 v25, v7, s[8:9] scale_offset
	s_wait_xcnt 0x0
	v_add_nc_u32_e32 v7, -13, v6
	s_or_b32 s2, vcc_lo, s2
	s_wait_loadcnt 0x3
	v_subrev_nc_u32_e32 v4, s16, v4
	s_delay_alu instid0(VALU_DEP_1) | instskip(SKIP_1) | instid1(VALU_DEP_1)
	v_mul_lo_u32 v14, v4, 10
	v_subrev_nc_u32_e32 v4, 19, v6
	v_lshl_add_u64 v[10:11], v[4:5], 2, s[8:9]
	v_add_nc_u32_e32 v4, -9, v6
	global_load_b128 v[10:13], v[10:11], off
	v_lshl_add_u64 v[16:17], v[14:15], 2, s[10:11]
	global_load_b32 v15, v4, s[8:9] scale_offset
	s_wait_xcnt 0x0
	v_add_nc_u32_e32 v4, 2, v14
	global_load_b64 v[16:17], v[16:17], off
	v_lshl_add_u64 v[20:21], v[4:5], 2, s[10:11]
	v_add_nc_u32_e32 v4, 4, v14
	global_load_b64 v[20:21], v[20:21], off
	v_lshl_add_u64 v[26:27], v[4:5], 2, s[10:11]
	s_clause 0x1
	global_load_b32 v28, v22, s[8:9] scale_offset
	global_load_b32 v29, v18, s[8:9] scale_offset
	v_add_nc_u32_e32 v4, 6, v14
	s_wait_xcnt 0x0
	v_dual_add_nc_u32 v18, -3, v6 :: v_dual_add_nc_u32 v22, -12, v6
	global_load_b64 v[26:27], v[26:27], off
	s_clause 0x1
	global_load_b32 v30, v24, s[8:9] scale_offset
	global_load_b32 v31, v32, s[8:9] scale_offset
	s_wait_xcnt 0x0
	v_lshl_add_u64 v[32:33], v[4:5], 2, s[10:11]
	s_clause 0x1
	global_load_b32 v34, v7, s[8:9] scale_offset
	global_load_b32 v35, v18, s[8:9] scale_offset
	s_wait_xcnt 0x1
	v_dual_add_nc_u32 v24, -2, v6 :: v_dual_add_nc_u32 v7, -11, v6
	v_add_nc_u32_e32 v4, 8, v14
	global_load_b64 v[32:33], v[32:33], off
	s_clause 0x1
	global_load_b32 v36, v22, s[8:9] scale_offset
	global_load_b32 v37, v24, s[8:9] scale_offset
	s_wait_loadcnt 0xd
	s_wait_xcnt 0x0
	v_dual_add_nc_u32 v14, -1, v6 :: v_dual_mov_b32 v24, v13
	v_lshl_add_u64 v[38:39], v[4:5], 2, s[10:11]
	v_add_nc_u32_e32 v4, -10, v6
	s_clause 0x1
	global_load_b32 v40, v7, s[8:9] scale_offset
	global_load_b32 v41, v14, s[8:9] scale_offset
	global_load_b64 v[42:43], v[38:39], off
	s_clause 0x1
	global_load_b32 v44, v4, s[8:9] scale_offset
	global_load_b32 v45, v6, s[8:9] scale_offset
	s_wait_xcnt 0x3
	v_dual_mov_b32 v14, v10 :: v_dual_mov_b32 v18, v11
	v_mov_b32_e32 v22, v12
	s_wait_xcnt 0x0
	v_add_nc_u32_e32 v6, 0x140, v6
	s_wait_loadcnt 0x10
	v_pk_fma_f32 v[0:1], v[14:15], v[16:17], v[0:1] op_sel_hi:[1,0,1]
	s_delay_alu instid0(VALU_DEP_1) | instskip(SKIP_1) | instid1(VALU_DEP_1)
	v_pk_fma_f32 v[0:1], v[18:19], v[16:17], v[0:1] op_sel:[0,1,0]
	s_wait_loadcnt 0xf
	v_pk_fma_f32 v[0:1], v[22:23], v[20:21], v[0:1] op_sel_hi:[1,0,1]
	s_delay_alu instid0(VALU_DEP_1) | instskip(SKIP_1) | instid1(VALU_DEP_1)
	v_pk_fma_f32 v[0:1], v[24:25], v[20:21], v[0:1] op_sel:[0,1,0]
	s_wait_loadcnt 0xc
	v_pk_fma_f32 v[0:1], v[28:29], v[26:27], v[0:1] op_sel_hi:[1,0,1]
	s_wait_loadcnt 0xa
	s_delay_alu instid0(VALU_DEP_1) | instskip(SKIP_1) | instid1(VALU_DEP_1)
	v_pk_fma_f32 v[0:1], v[30:31], v[26:27], v[0:1] op_sel:[0,1,0]
	s_wait_loadcnt 0x7
	v_pk_fma_f32 v[0:1], v[34:35], v[32:33], v[0:1] op_sel_hi:[1,0,1]
	s_wait_loadcnt 0x5
	;; [unrolled: 5-line block ×3, first 2 shown]
	s_delay_alu instid0(VALU_DEP_1)
	v_pk_fma_f32 v[0:1], v[44:45], v[42:43], v[0:1] op_sel:[0,1,0]
	s_and_not1_b32 exec_lo, exec_lo, s2
	s_cbranch_execnz .LBB42_15
; %bb.16:
	s_or_b32 exec_lo, exec_lo, s2
.LBB42_17:
	s_delay_alu instid0(SALU_CYCLE_1)
	s_or_b32 exec_lo, exec_lo, s3
.LBB42_18:
	v_mbcnt_lo_u32_b32 v6, -1, 0
	s_mov_b32 s2, -1
	s_delay_alu instid0(VALU_DEP_1) | instskip(SKIP_1) | instid1(VALU_DEP_1)
	v_xor_b32_e32 v7, 4, v6
	v_xor_b32_e32 v4, 8, v6
	v_cmp_gt_i32_e32 vcc_lo, 32, v4
	v_cndmask_b32_e32 v4, v6, v4, vcc_lo
	s_delay_alu instid0(VALU_DEP_4) | instskip(SKIP_1) | instid1(VALU_DEP_1)
	v_cmp_gt_i32_e32 vcc_lo, 32, v7
	v_cndmask_b32_e32 v7, v6, v7, vcc_lo
	v_dual_lshlrev_b32 v7, 2, v7 :: v_dual_lshlrev_b32 v5, 2, v4
	ds_bpermute_b32 v4, v5, v0
	ds_bpermute_b32 v5, v5, v1
	s_wait_dscnt 0x0
	v_pk_add_f32 v[0:1], v[0:1], v[4:5]
	ds_bpermute_b32 v4, v7, v0
	ds_bpermute_b32 v5, v7, v1
	v_xor_b32_e32 v7, 2, v6
	s_delay_alu instid0(VALU_DEP_1) | instskip(SKIP_1) | instid1(VALU_DEP_1)
	v_cmp_gt_i32_e32 vcc_lo, 32, v7
	v_cndmask_b32_e32 v7, v6, v7, vcc_lo
	v_lshlrev_b32_e32 v7, 2, v7
	s_wait_dscnt 0x0
	v_pk_add_f32 v[0:1], v[0:1], v[4:5]
	ds_bpermute_b32 v4, v7, v0
	ds_bpermute_b32 v5, v7, v1
	v_xor_b32_e32 v7, 1, v6
	s_delay_alu instid0(VALU_DEP_1) | instskip(SKIP_2) | instid1(VALU_DEP_2)
	v_cmp_gt_i32_e32 vcc_lo, 32, v7
	v_cndmask_b32_e32 v6, v6, v7, vcc_lo
	v_cmp_eq_u32_e32 vcc_lo, 15, v3
	v_lshlrev_b32_e32 v6, 2, v6
	s_wait_dscnt 0x0
	v_pk_add_f32 v[0:1], v[0:1], v[4:5]
	ds_bpermute_b32 v4, v6, v0
	ds_bpermute_b32 v5, v6, v1
	s_and_b32 exec_lo, exec_lo, vcc_lo
	s_cbranch_execz .LBB42_23
; %bb.19:
	s_load_b64 s[0:1], s[0:1], 0x38
	s_wait_dscnt 0x0
	v_pk_add_f32 v[0:1], v[0:1], v[4:5]
	v_lshlrev_b32_e32 v2, 1, v2
	s_cmp_eq_f32 s12, 0
	s_cbranch_scc0 .LBB42_21
; %bb.20:
	s_delay_alu instid0(VALU_DEP_1) | instskip(SKIP_3) | instid1(VALU_DEP_2)
	v_ashrrev_i32_e32 v3, 31, v2
	v_pk_mul_f32 v[6:7], s[14:15], v[0:1] op_sel_hi:[0,1]
	s_mov_b32 s2, 0
	s_wait_kmcnt 0x0
	v_lshl_add_u64 v[4:5], v[2:3], 2, s[0:1]
	global_store_b64 v[4:5], v[6:7], off
.LBB42_21:
	s_and_not1_b32 vcc_lo, exec_lo, s2
	s_cbranch_vccnz .LBB42_23
; %bb.22:
	v_ashrrev_i32_e32 v3, 31, v2
	v_pk_mul_f32 v[0:1], s[14:15], v[0:1] op_sel_hi:[0,1]
	s_wait_kmcnt 0x0
	s_delay_alu instid0(VALU_DEP_2)
	v_lshl_add_u64 v[2:3], v[2:3], 2, s[0:1]
	global_load_b64 v[4:5], v[2:3], off
	s_wait_loadcnt 0x0
	v_pk_fma_f32 v[0:1], s[12:13], v[4:5], v[0:1] op_sel_hi:[0,1,1]
	global_store_b64 v[2:3], v[0:1], off
.LBB42_23:
	s_endpgm
	.section	.rodata,"a",@progbits
	.p2align	6, 0x0
	.amdhsa_kernel _ZN9rocsparseL19gebsrmvn_2xn_kernelILj128ELj10ELj16EfEEvi20rocsparse_direction_NS_24const_host_device_scalarIT2_EEPKiS6_PKS3_S8_S4_PS3_21rocsparse_index_base_b
		.amdhsa_group_segment_fixed_size 0
		.amdhsa_private_segment_fixed_size 0
		.amdhsa_kernarg_size 72
		.amdhsa_user_sgpr_count 2
		.amdhsa_user_sgpr_dispatch_ptr 0
		.amdhsa_user_sgpr_queue_ptr 0
		.amdhsa_user_sgpr_kernarg_segment_ptr 1
		.amdhsa_user_sgpr_dispatch_id 0
		.amdhsa_user_sgpr_kernarg_preload_length 0
		.amdhsa_user_sgpr_kernarg_preload_offset 0
		.amdhsa_user_sgpr_private_segment_size 0
		.amdhsa_wavefront_size32 1
		.amdhsa_uses_dynamic_stack 0
		.amdhsa_enable_private_segment 0
		.amdhsa_system_sgpr_workgroup_id_x 1
		.amdhsa_system_sgpr_workgroup_id_y 0
		.amdhsa_system_sgpr_workgroup_id_z 0
		.amdhsa_system_sgpr_workgroup_info 0
		.amdhsa_system_vgpr_workitem_id 0
		.amdhsa_next_free_vgpr 48
		.amdhsa_next_free_sgpr 18
		.amdhsa_named_barrier_count 0
		.amdhsa_reserve_vcc 1
		.amdhsa_float_round_mode_32 0
		.amdhsa_float_round_mode_16_64 0
		.amdhsa_float_denorm_mode_32 3
		.amdhsa_float_denorm_mode_16_64 3
		.amdhsa_fp16_overflow 0
		.amdhsa_memory_ordered 1
		.amdhsa_forward_progress 1
		.amdhsa_inst_pref_size 16
		.amdhsa_round_robin_scheduling 0
		.amdhsa_exception_fp_ieee_invalid_op 0
		.amdhsa_exception_fp_denorm_src 0
		.amdhsa_exception_fp_ieee_div_zero 0
		.amdhsa_exception_fp_ieee_overflow 0
		.amdhsa_exception_fp_ieee_underflow 0
		.amdhsa_exception_fp_ieee_inexact 0
		.amdhsa_exception_int_div_zero 0
	.end_amdhsa_kernel
	.section	.text._ZN9rocsparseL19gebsrmvn_2xn_kernelILj128ELj10ELj16EfEEvi20rocsparse_direction_NS_24const_host_device_scalarIT2_EEPKiS6_PKS3_S8_S4_PS3_21rocsparse_index_base_b,"axG",@progbits,_ZN9rocsparseL19gebsrmvn_2xn_kernelILj128ELj10ELj16EfEEvi20rocsparse_direction_NS_24const_host_device_scalarIT2_EEPKiS6_PKS3_S8_S4_PS3_21rocsparse_index_base_b,comdat
.Lfunc_end42:
	.size	_ZN9rocsparseL19gebsrmvn_2xn_kernelILj128ELj10ELj16EfEEvi20rocsparse_direction_NS_24const_host_device_scalarIT2_EEPKiS6_PKS3_S8_S4_PS3_21rocsparse_index_base_b, .Lfunc_end42-_ZN9rocsparseL19gebsrmvn_2xn_kernelILj128ELj10ELj16EfEEvi20rocsparse_direction_NS_24const_host_device_scalarIT2_EEPKiS6_PKS3_S8_S4_PS3_21rocsparse_index_base_b
                                        ; -- End function
	.set _ZN9rocsparseL19gebsrmvn_2xn_kernelILj128ELj10ELj16EfEEvi20rocsparse_direction_NS_24const_host_device_scalarIT2_EEPKiS6_PKS3_S8_S4_PS3_21rocsparse_index_base_b.num_vgpr, 48
	.set _ZN9rocsparseL19gebsrmvn_2xn_kernelILj128ELj10ELj16EfEEvi20rocsparse_direction_NS_24const_host_device_scalarIT2_EEPKiS6_PKS3_S8_S4_PS3_21rocsparse_index_base_b.num_agpr, 0
	.set _ZN9rocsparseL19gebsrmvn_2xn_kernelILj128ELj10ELj16EfEEvi20rocsparse_direction_NS_24const_host_device_scalarIT2_EEPKiS6_PKS3_S8_S4_PS3_21rocsparse_index_base_b.numbered_sgpr, 18
	.set _ZN9rocsparseL19gebsrmvn_2xn_kernelILj128ELj10ELj16EfEEvi20rocsparse_direction_NS_24const_host_device_scalarIT2_EEPKiS6_PKS3_S8_S4_PS3_21rocsparse_index_base_b.num_named_barrier, 0
	.set _ZN9rocsparseL19gebsrmvn_2xn_kernelILj128ELj10ELj16EfEEvi20rocsparse_direction_NS_24const_host_device_scalarIT2_EEPKiS6_PKS3_S8_S4_PS3_21rocsparse_index_base_b.private_seg_size, 0
	.set _ZN9rocsparseL19gebsrmvn_2xn_kernelILj128ELj10ELj16EfEEvi20rocsparse_direction_NS_24const_host_device_scalarIT2_EEPKiS6_PKS3_S8_S4_PS3_21rocsparse_index_base_b.uses_vcc, 1
	.set _ZN9rocsparseL19gebsrmvn_2xn_kernelILj128ELj10ELj16EfEEvi20rocsparse_direction_NS_24const_host_device_scalarIT2_EEPKiS6_PKS3_S8_S4_PS3_21rocsparse_index_base_b.uses_flat_scratch, 0
	.set _ZN9rocsparseL19gebsrmvn_2xn_kernelILj128ELj10ELj16EfEEvi20rocsparse_direction_NS_24const_host_device_scalarIT2_EEPKiS6_PKS3_S8_S4_PS3_21rocsparse_index_base_b.has_dyn_sized_stack, 0
	.set _ZN9rocsparseL19gebsrmvn_2xn_kernelILj128ELj10ELj16EfEEvi20rocsparse_direction_NS_24const_host_device_scalarIT2_EEPKiS6_PKS3_S8_S4_PS3_21rocsparse_index_base_b.has_recursion, 0
	.set _ZN9rocsparseL19gebsrmvn_2xn_kernelILj128ELj10ELj16EfEEvi20rocsparse_direction_NS_24const_host_device_scalarIT2_EEPKiS6_PKS3_S8_S4_PS3_21rocsparse_index_base_b.has_indirect_call, 0
	.section	.AMDGPU.csdata,"",@progbits
; Kernel info:
; codeLenInByte = 2040
; TotalNumSgprs: 20
; NumVgprs: 48
; ScratchSize: 0
; MemoryBound: 0
; FloatMode: 240
; IeeeMode: 1
; LDSByteSize: 0 bytes/workgroup (compile time only)
; SGPRBlocks: 0
; VGPRBlocks: 2
; NumSGPRsForWavesPerEU: 20
; NumVGPRsForWavesPerEU: 48
; NamedBarCnt: 0
; Occupancy: 16
; WaveLimiterHint : 1
; COMPUTE_PGM_RSRC2:SCRATCH_EN: 0
; COMPUTE_PGM_RSRC2:USER_SGPR: 2
; COMPUTE_PGM_RSRC2:TRAP_HANDLER: 0
; COMPUTE_PGM_RSRC2:TGID_X_EN: 1
; COMPUTE_PGM_RSRC2:TGID_Y_EN: 0
; COMPUTE_PGM_RSRC2:TGID_Z_EN: 0
; COMPUTE_PGM_RSRC2:TIDIG_COMP_CNT: 0
	.section	.text._ZN9rocsparseL19gebsrmvn_2xn_kernelILj128ELj10ELj32EfEEvi20rocsparse_direction_NS_24const_host_device_scalarIT2_EEPKiS6_PKS3_S8_S4_PS3_21rocsparse_index_base_b,"axG",@progbits,_ZN9rocsparseL19gebsrmvn_2xn_kernelILj128ELj10ELj32EfEEvi20rocsparse_direction_NS_24const_host_device_scalarIT2_EEPKiS6_PKS3_S8_S4_PS3_21rocsparse_index_base_b,comdat
	.globl	_ZN9rocsparseL19gebsrmvn_2xn_kernelILj128ELj10ELj32EfEEvi20rocsparse_direction_NS_24const_host_device_scalarIT2_EEPKiS6_PKS3_S8_S4_PS3_21rocsparse_index_base_b ; -- Begin function _ZN9rocsparseL19gebsrmvn_2xn_kernelILj128ELj10ELj32EfEEvi20rocsparse_direction_NS_24const_host_device_scalarIT2_EEPKiS6_PKS3_S8_S4_PS3_21rocsparse_index_base_b
	.p2align	8
	.type	_ZN9rocsparseL19gebsrmvn_2xn_kernelILj128ELj10ELj32EfEEvi20rocsparse_direction_NS_24const_host_device_scalarIT2_EEPKiS6_PKS3_S8_S4_PS3_21rocsparse_index_base_b,@function
_ZN9rocsparseL19gebsrmvn_2xn_kernelILj128ELj10ELj32EfEEvi20rocsparse_direction_NS_24const_host_device_scalarIT2_EEPKiS6_PKS3_S8_S4_PS3_21rocsparse_index_base_b: ; @_ZN9rocsparseL19gebsrmvn_2xn_kernelILj128ELj10ELj32EfEEvi20rocsparse_direction_NS_24const_host_device_scalarIT2_EEPKiS6_PKS3_S8_S4_PS3_21rocsparse_index_base_b
; %bb.0:
	s_clause 0x2
	s_load_b64 s[16:17], s[0:1], 0x40
	s_load_b64 s[14:15], s[0:1], 0x8
	;; [unrolled: 1-line block ×3, first 2 shown]
	s_wait_kmcnt 0x0
	s_bitcmp1_b32 s17, 0
	s_cselect_b32 s2, -1, 0
	s_delay_alu instid0(SALU_CYCLE_1)
	s_and_b32 vcc_lo, exec_lo, s2
	s_xor_b32 s2, s2, -1
	s_cbranch_vccnz .LBB43_2
; %bb.1:
	s_load_b32 s14, s[14:15], 0x0
.LBB43_2:
	s_and_not1_b32 vcc_lo, exec_lo, s2
	s_cbranch_vccnz .LBB43_4
; %bb.3:
	s_load_b32 s12, s[12:13], 0x0
.LBB43_4:
	s_wait_kmcnt 0x0
	s_cmp_eq_f32 s14, 0
	s_cselect_b32 s2, -1, 0
	s_cmp_eq_f32 s12, 1.0
	s_cselect_b32 s3, -1, 0
	s_delay_alu instid0(SALU_CYCLE_1) | instskip(NEXT) | instid1(SALU_CYCLE_1)
	s_and_b32 s2, s2, s3
	s_and_b32 vcc_lo, exec_lo, s2
	s_cbranch_vccnz .LBB43_23
; %bb.5:
	s_load_b64 s[2:3], s[0:1], 0x0
	s_bfe_u32 s4, ttmp6, 0x4000c
	s_and_b32 s5, ttmp6, 15
	s_add_co_i32 s4, s4, 1
	s_getreg_b32 s6, hwreg(HW_REG_IB_STS2, 6, 4)
	s_mul_i32 s4, ttmp9, s4
	v_lshrrev_b32_e32 v1, 5, v0
	s_add_co_i32 s5, s5, s4
	s_cmp_eq_u32 s6, 0
	s_cselect_b32 s4, ttmp9, s5
	s_delay_alu instid0(VALU_DEP_1) | instid1(SALU_CYCLE_1)
	v_lshl_or_b32 v2, s4, 2, v1
	s_wait_kmcnt 0x0
	s_delay_alu instid0(VALU_DEP_1)
	v_cmp_gt_i32_e32 vcc_lo, s2, v2
	s_and_saveexec_b32 s2, vcc_lo
	s_cbranch_execz .LBB43_23
; %bb.6:
	s_load_b256 s[4:11], s[0:1], 0x10
	v_ashrrev_i32_e32 v3, 31, v2
	s_cmp_lg_u32 s3, 0
	s_wait_kmcnt 0x0
	s_delay_alu instid0(VALU_DEP_1)
	v_lshl_add_u64 v[4:5], v[2:3], 2, s[4:5]
	v_and_b32_e32 v3, 31, v0
	global_load_b64 v[4:5], v[4:5], off
	s_wait_loadcnt 0x0
	v_subrev_nc_u32_e32 v0, s16, v4
	v_subrev_nc_u32_e32 v8, s16, v5
	s_delay_alu instid0(VALU_DEP_2) | instskip(NEXT) | instid1(VALU_DEP_1)
	v_add_nc_u32_e32 v9, v0, v3
	v_cmp_lt_i32_e64 s2, v9, v8
	s_cbranch_scc0 .LBB43_12
; %bb.7:
	v_mov_b32_e32 v1, 0
	s_delay_alu instid0(VALU_DEP_1)
	v_mov_b32_e32 v0, v1
	s_and_saveexec_b32 s3, s2
	s_cbranch_execz .LBB43_11
; %bb.8:
	v_mad_u32 v4, v9, 20, 18
	v_dual_mov_b32 v7, 0 :: v_dual_mov_b32 v10, v9
	s_mov_b32 s4, 0
	s_delay_alu instid0(VALU_DEP_1)
	v_dual_mov_b32 v0, v7 :: v_dual_mov_b32 v1, v7
.LBB43_9:                               ; =>This Inner Loop Header: Depth=1
	global_load_b32 v5, v10, s[6:7] scale_offset
	v_subrev_nc_u32_e32 v6, 18, v4
	s_wait_xcnt 0x0
	v_dual_mov_b32 v17, v7 :: v_dual_add_nc_u32 v10, 32, v10
	s_delay_alu instid0(VALU_DEP_2) | instskip(SKIP_1) | instid1(VALU_DEP_3)
	v_lshl_add_u64 v[12:13], v[6:7], 2, s[8:9]
	v_add_nc_u32_e32 v6, -14, v4
	v_cmp_ge_i32_e32 vcc_lo, v10, v8
	global_load_b128 v[12:15], v[12:13], off
	v_lshl_add_u64 v[18:19], v[6:7], 2, s[8:9]
	s_or_b32 s4, vcc_lo, s4
	global_load_b64 v[18:19], v[18:19], off
	s_wait_loadcnt 0x2
	v_subrev_nc_u32_e32 v5, s16, v5
	s_delay_alu instid0(VALU_DEP_1) | instskip(NEXT) | instid1(VALU_DEP_1)
	v_mul_lo_u32 v16, v5, 10
	v_dual_mov_b32 v5, v7 :: v_dual_add_nc_u32 v6, 2, v16
	v_lshl_add_u64 v[20:21], v[16:17], 2, s[10:11]
	s_delay_alu instid0(VALU_DEP_2)
	v_lshl_add_u64 v[22:23], v[6:7], 2, s[10:11]
	v_add_nc_u32_e32 v6, -12, v4
	s_clause 0x1
	global_load_b64 v[20:21], v[20:21], off
	global_load_b64 v[22:23], v[22:23], off
	v_lshl_add_u64 v[24:25], v[6:7], 2, s[8:9]
	v_add_nc_u32_e32 v6, -10, v4
	global_load_b64 v[24:25], v[24:25], off
	v_lshl_add_u64 v[26:27], v[6:7], 2, s[8:9]
	v_add_nc_u32_e32 v6, 4, v16
	global_load_b64 v[26:27], v[26:27], off
	v_lshl_add_u64 v[28:29], v[6:7], 2, s[10:11]
	v_add_nc_u32_e32 v6, -8, v4
	global_load_b64 v[28:29], v[28:29], off
	v_lshl_add_u64 v[30:31], v[6:7], 2, s[8:9]
	v_add_nc_u32_e32 v6, -6, v4
	global_load_b64 v[30:31], v[30:31], off
	v_lshl_add_u64 v[32:33], v[6:7], 2, s[8:9]
	v_add_nc_u32_e32 v6, 6, v16
	s_delay_alu instid0(VALU_DEP_1)
	v_lshl_add_u64 v[34:35], v[6:7], 2, s[10:11]
	v_add_nc_u32_e32 v6, -4, v4
	global_load_b64 v[38:39], v[32:33], off
	global_load_b64 v[40:41], v[34:35], off
	v_lshl_add_u64 v[36:37], v[6:7], 2, s[8:9]
	v_add_nc_u32_e32 v6, -2, v4
	s_wait_xcnt 0x1
	s_delay_alu instid0(VALU_DEP_1)
	v_lshl_add_u64 v[32:33], v[6:7], 2, s[8:9]
	v_add_nc_u32_e32 v6, 8, v16
	global_load_b64 v[16:17], v[36:37], off
	s_wait_xcnt 0x0
	v_lshl_add_u64 v[36:37], v[4:5], 2, s[8:9]
	v_add_nc_u32_e32 v4, 0x280, v4
	v_lshl_add_u64 v[34:35], v[6:7], 2, s[10:11]
	global_load_b64 v[42:43], v[32:33], off
	global_load_b64 v[44:45], v[34:35], off
	;; [unrolled: 1-line block ×3, first 2 shown]
	s_wait_loadcnt 0xb
	v_pk_fma_f32 v[0:1], v[12:13], v[20:21], v[0:1] op_sel_hi:[1,0,1]
	s_delay_alu instid0(VALU_DEP_1) | instskip(SKIP_1) | instid1(VALU_DEP_1)
	v_pk_fma_f32 v[0:1], v[14:15], v[20:21], v[0:1] op_sel:[0,1,0]
	s_wait_loadcnt 0xa
	v_pk_fma_f32 v[0:1], v[18:19], v[22:23], v[0:1] op_sel_hi:[1,0,1]
	s_wait_loadcnt 0x9
	s_delay_alu instid0(VALU_DEP_1) | instskip(SKIP_1) | instid1(VALU_DEP_1)
	v_pk_fma_f32 v[0:1], v[24:25], v[22:23], v[0:1] op_sel:[0,1,0]
	s_wait_loadcnt 0x7
	v_pk_fma_f32 v[0:1], v[26:27], v[28:29], v[0:1] op_sel_hi:[1,0,1]
	s_wait_loadcnt 0x6
	;; [unrolled: 5-line block ×4, first 2 shown]
	s_delay_alu instid0(VALU_DEP_1)
	v_pk_fma_f32 v[0:1], v[46:47], v[44:45], v[0:1] op_sel:[0,1,0]
	s_and_not1_b32 exec_lo, exec_lo, s4
	s_cbranch_execnz .LBB43_9
; %bb.10:
	s_or_b32 exec_lo, exec_lo, s4
.LBB43_11:
	s_delay_alu instid0(SALU_CYCLE_1)
	s_or_b32 exec_lo, exec_lo, s3
	s_cbranch_execz .LBB43_13
	s_branch .LBB43_18
.LBB43_12:
                                        ; implicit-def: $vgpr1
.LBB43_13:
	v_mov_b32_e32 v1, 0
	s_delay_alu instid0(VALU_DEP_1)
	v_mov_b32_e32 v0, v1
	s_and_saveexec_b32 s3, s2
	s_cbranch_execz .LBB43_17
; %bb.14:
	v_mad_u32 v6, v9, 20, 19
	v_mov_b32_e32 v5, 0
	s_mov_b32 s2, 0
	s_delay_alu instid0(VALU_DEP_1)
	v_dual_mov_b32 v0, v5 :: v_dual_mov_b32 v1, v5
.LBB43_15:                              ; =>This Inner Loop Header: Depth=1
	global_load_b32 v4, v9, s[6:7] scale_offset
	v_dual_mov_b32 v15, v5 :: v_dual_add_nc_u32 v7, -8, v6
	v_dual_add_nc_u32 v18, -7, v6 :: v_dual_add_nc_u32 v32, -4, v6
	s_wait_xcnt 0x0
	v_dual_add_nc_u32 v9, 32, v9 :: v_dual_add_nc_u32 v22, -15, v6
	s_clause 0x1
	global_load_b32 v19, v7, s[8:9] scale_offset
	global_load_b32 v23, v18, s[8:9] scale_offset
	s_wait_xcnt 0x0
	v_dual_add_nc_u32 v7, -6, v6 :: v_dual_add_nc_u32 v18, -5, v6
	v_add_nc_u32_e32 v24, -14, v6
	v_cmp_ge_i32_e32 vcc_lo, v9, v8
	global_load_b32 v25, v7, s[8:9] scale_offset
	s_wait_xcnt 0x0
	v_add_nc_u32_e32 v7, -13, v6
	s_or_b32 s2, vcc_lo, s2
	s_wait_loadcnt 0x3
	v_subrev_nc_u32_e32 v4, s16, v4
	s_delay_alu instid0(VALU_DEP_1) | instskip(SKIP_1) | instid1(VALU_DEP_1)
	v_mul_lo_u32 v14, v4, 10
	v_subrev_nc_u32_e32 v4, 19, v6
	v_lshl_add_u64 v[10:11], v[4:5], 2, s[8:9]
	v_add_nc_u32_e32 v4, -9, v6
	global_load_b128 v[10:13], v[10:11], off
	v_lshl_add_u64 v[16:17], v[14:15], 2, s[10:11]
	global_load_b32 v15, v4, s[8:9] scale_offset
	s_wait_xcnt 0x0
	v_add_nc_u32_e32 v4, 2, v14
	global_load_b64 v[16:17], v[16:17], off
	v_lshl_add_u64 v[20:21], v[4:5], 2, s[10:11]
	v_add_nc_u32_e32 v4, 4, v14
	global_load_b64 v[20:21], v[20:21], off
	v_lshl_add_u64 v[26:27], v[4:5], 2, s[10:11]
	s_clause 0x1
	global_load_b32 v28, v22, s[8:9] scale_offset
	global_load_b32 v29, v18, s[8:9] scale_offset
	v_add_nc_u32_e32 v4, 6, v14
	s_wait_xcnt 0x0
	v_dual_add_nc_u32 v18, -3, v6 :: v_dual_add_nc_u32 v22, -12, v6
	global_load_b64 v[26:27], v[26:27], off
	s_clause 0x1
	global_load_b32 v30, v24, s[8:9] scale_offset
	global_load_b32 v31, v32, s[8:9] scale_offset
	s_wait_xcnt 0x0
	v_lshl_add_u64 v[32:33], v[4:5], 2, s[10:11]
	s_clause 0x1
	global_load_b32 v34, v7, s[8:9] scale_offset
	global_load_b32 v35, v18, s[8:9] scale_offset
	s_wait_xcnt 0x1
	v_dual_add_nc_u32 v24, -2, v6 :: v_dual_add_nc_u32 v7, -11, v6
	v_add_nc_u32_e32 v4, 8, v14
	global_load_b64 v[32:33], v[32:33], off
	s_clause 0x1
	global_load_b32 v36, v22, s[8:9] scale_offset
	global_load_b32 v37, v24, s[8:9] scale_offset
	s_wait_loadcnt 0xd
	s_wait_xcnt 0x0
	v_dual_add_nc_u32 v14, -1, v6 :: v_dual_mov_b32 v24, v13
	v_lshl_add_u64 v[38:39], v[4:5], 2, s[10:11]
	v_add_nc_u32_e32 v4, -10, v6
	s_clause 0x1
	global_load_b32 v40, v7, s[8:9] scale_offset
	global_load_b32 v41, v14, s[8:9] scale_offset
	global_load_b64 v[42:43], v[38:39], off
	s_clause 0x1
	global_load_b32 v44, v4, s[8:9] scale_offset
	global_load_b32 v45, v6, s[8:9] scale_offset
	s_wait_xcnt 0x3
	v_dual_mov_b32 v14, v10 :: v_dual_mov_b32 v18, v11
	v_mov_b32_e32 v22, v12
	s_wait_xcnt 0x0
	v_add_nc_u32_e32 v6, 0x280, v6
	s_wait_loadcnt 0x10
	v_pk_fma_f32 v[0:1], v[14:15], v[16:17], v[0:1] op_sel_hi:[1,0,1]
	s_delay_alu instid0(VALU_DEP_1) | instskip(SKIP_1) | instid1(VALU_DEP_1)
	v_pk_fma_f32 v[0:1], v[18:19], v[16:17], v[0:1] op_sel:[0,1,0]
	s_wait_loadcnt 0xf
	v_pk_fma_f32 v[0:1], v[22:23], v[20:21], v[0:1] op_sel_hi:[1,0,1]
	s_delay_alu instid0(VALU_DEP_1) | instskip(SKIP_1) | instid1(VALU_DEP_1)
	v_pk_fma_f32 v[0:1], v[24:25], v[20:21], v[0:1] op_sel:[0,1,0]
	s_wait_loadcnt 0xc
	v_pk_fma_f32 v[0:1], v[28:29], v[26:27], v[0:1] op_sel_hi:[1,0,1]
	s_wait_loadcnt 0xa
	s_delay_alu instid0(VALU_DEP_1) | instskip(SKIP_1) | instid1(VALU_DEP_1)
	v_pk_fma_f32 v[0:1], v[30:31], v[26:27], v[0:1] op_sel:[0,1,0]
	s_wait_loadcnt 0x7
	v_pk_fma_f32 v[0:1], v[34:35], v[32:33], v[0:1] op_sel_hi:[1,0,1]
	s_wait_loadcnt 0x5
	;; [unrolled: 5-line block ×3, first 2 shown]
	s_delay_alu instid0(VALU_DEP_1)
	v_pk_fma_f32 v[0:1], v[44:45], v[42:43], v[0:1] op_sel:[0,1,0]
	s_and_not1_b32 exec_lo, exec_lo, s2
	s_cbranch_execnz .LBB43_15
; %bb.16:
	s_or_b32 exec_lo, exec_lo, s2
.LBB43_17:
	s_delay_alu instid0(SALU_CYCLE_1)
	s_or_b32 exec_lo, exec_lo, s3
.LBB43_18:
	v_mbcnt_lo_u32_b32 v6, -1, 0
	s_mov_b32 s2, -1
	s_delay_alu instid0(VALU_DEP_1) | instskip(SKIP_1) | instid1(VALU_DEP_1)
	v_xor_b32_e32 v7, 8, v6
	v_xor_b32_e32 v4, 16, v6
	v_cmp_gt_i32_e32 vcc_lo, 32, v4
	v_cndmask_b32_e32 v4, v6, v4, vcc_lo
	s_delay_alu instid0(VALU_DEP_4) | instskip(SKIP_1) | instid1(VALU_DEP_1)
	v_cmp_gt_i32_e32 vcc_lo, 32, v7
	v_cndmask_b32_e32 v7, v6, v7, vcc_lo
	v_dual_lshlrev_b32 v7, 2, v7 :: v_dual_lshlrev_b32 v5, 2, v4
	ds_bpermute_b32 v4, v5, v0
	ds_bpermute_b32 v5, v5, v1
	s_wait_dscnt 0x0
	v_pk_add_f32 v[0:1], v[0:1], v[4:5]
	ds_bpermute_b32 v4, v7, v0
	ds_bpermute_b32 v5, v7, v1
	v_xor_b32_e32 v7, 4, v6
	s_delay_alu instid0(VALU_DEP_1) | instskip(SKIP_1) | instid1(VALU_DEP_1)
	v_cmp_gt_i32_e32 vcc_lo, 32, v7
	v_cndmask_b32_e32 v7, v6, v7, vcc_lo
	v_lshlrev_b32_e32 v7, 2, v7
	s_wait_dscnt 0x0
	v_pk_add_f32 v[0:1], v[0:1], v[4:5]
	ds_bpermute_b32 v4, v7, v0
	ds_bpermute_b32 v5, v7, v1
	v_xor_b32_e32 v7, 2, v6
	s_delay_alu instid0(VALU_DEP_1) | instskip(SKIP_1) | instid1(VALU_DEP_1)
	v_cmp_gt_i32_e32 vcc_lo, 32, v7
	v_cndmask_b32_e32 v7, v6, v7, vcc_lo
	v_lshlrev_b32_e32 v7, 2, v7
	s_wait_dscnt 0x0
	v_pk_add_f32 v[0:1], v[0:1], v[4:5]
	ds_bpermute_b32 v4, v7, v0
	ds_bpermute_b32 v5, v7, v1
	v_xor_b32_e32 v7, 1, v6
	s_delay_alu instid0(VALU_DEP_1) | instskip(SKIP_2) | instid1(VALU_DEP_2)
	v_cmp_gt_i32_e32 vcc_lo, 32, v7
	v_cndmask_b32_e32 v6, v6, v7, vcc_lo
	v_cmp_eq_u32_e32 vcc_lo, 31, v3
	v_lshlrev_b32_e32 v6, 2, v6
	s_wait_dscnt 0x0
	v_pk_add_f32 v[0:1], v[0:1], v[4:5]
	ds_bpermute_b32 v4, v6, v0
	ds_bpermute_b32 v5, v6, v1
	s_and_b32 exec_lo, exec_lo, vcc_lo
	s_cbranch_execz .LBB43_23
; %bb.19:
	s_load_b64 s[0:1], s[0:1], 0x38
	s_wait_dscnt 0x0
	v_pk_add_f32 v[0:1], v[0:1], v[4:5]
	v_lshlrev_b32_e32 v2, 1, v2
	s_cmp_eq_f32 s12, 0
	s_cbranch_scc0 .LBB43_21
; %bb.20:
	s_delay_alu instid0(VALU_DEP_1) | instskip(SKIP_3) | instid1(VALU_DEP_2)
	v_ashrrev_i32_e32 v3, 31, v2
	v_pk_mul_f32 v[6:7], s[14:15], v[0:1] op_sel_hi:[0,1]
	s_mov_b32 s2, 0
	s_wait_kmcnt 0x0
	v_lshl_add_u64 v[4:5], v[2:3], 2, s[0:1]
	global_store_b64 v[4:5], v[6:7], off
.LBB43_21:
	s_and_not1_b32 vcc_lo, exec_lo, s2
	s_cbranch_vccnz .LBB43_23
; %bb.22:
	v_ashrrev_i32_e32 v3, 31, v2
	v_pk_mul_f32 v[0:1], s[14:15], v[0:1] op_sel_hi:[0,1]
	s_wait_kmcnt 0x0
	s_delay_alu instid0(VALU_DEP_2)
	v_lshl_add_u64 v[2:3], v[2:3], 2, s[0:1]
	global_load_b64 v[4:5], v[2:3], off
	s_wait_loadcnt 0x0
	v_pk_fma_f32 v[0:1], s[12:13], v[4:5], v[0:1] op_sel_hi:[0,1,1]
	global_store_b64 v[2:3], v[0:1], off
.LBB43_23:
	s_endpgm
	.section	.rodata,"a",@progbits
	.p2align	6, 0x0
	.amdhsa_kernel _ZN9rocsparseL19gebsrmvn_2xn_kernelILj128ELj10ELj32EfEEvi20rocsparse_direction_NS_24const_host_device_scalarIT2_EEPKiS6_PKS3_S8_S4_PS3_21rocsparse_index_base_b
		.amdhsa_group_segment_fixed_size 0
		.amdhsa_private_segment_fixed_size 0
		.amdhsa_kernarg_size 72
		.amdhsa_user_sgpr_count 2
		.amdhsa_user_sgpr_dispatch_ptr 0
		.amdhsa_user_sgpr_queue_ptr 0
		.amdhsa_user_sgpr_kernarg_segment_ptr 1
		.amdhsa_user_sgpr_dispatch_id 0
		.amdhsa_user_sgpr_kernarg_preload_length 0
		.amdhsa_user_sgpr_kernarg_preload_offset 0
		.amdhsa_user_sgpr_private_segment_size 0
		.amdhsa_wavefront_size32 1
		.amdhsa_uses_dynamic_stack 0
		.amdhsa_enable_private_segment 0
		.amdhsa_system_sgpr_workgroup_id_x 1
		.amdhsa_system_sgpr_workgroup_id_y 0
		.amdhsa_system_sgpr_workgroup_id_z 0
		.amdhsa_system_sgpr_workgroup_info 0
		.amdhsa_system_vgpr_workitem_id 0
		.amdhsa_next_free_vgpr 48
		.amdhsa_next_free_sgpr 18
		.amdhsa_named_barrier_count 0
		.amdhsa_reserve_vcc 1
		.amdhsa_float_round_mode_32 0
		.amdhsa_float_round_mode_16_64 0
		.amdhsa_float_denorm_mode_32 3
		.amdhsa_float_denorm_mode_16_64 3
		.amdhsa_fp16_overflow 0
		.amdhsa_memory_ordered 1
		.amdhsa_forward_progress 1
		.amdhsa_inst_pref_size 17
		.amdhsa_round_robin_scheduling 0
		.amdhsa_exception_fp_ieee_invalid_op 0
		.amdhsa_exception_fp_denorm_src 0
		.amdhsa_exception_fp_ieee_div_zero 0
		.amdhsa_exception_fp_ieee_overflow 0
		.amdhsa_exception_fp_ieee_underflow 0
		.amdhsa_exception_fp_ieee_inexact 0
		.amdhsa_exception_int_div_zero 0
	.end_amdhsa_kernel
	.section	.text._ZN9rocsparseL19gebsrmvn_2xn_kernelILj128ELj10ELj32EfEEvi20rocsparse_direction_NS_24const_host_device_scalarIT2_EEPKiS6_PKS3_S8_S4_PS3_21rocsparse_index_base_b,"axG",@progbits,_ZN9rocsparseL19gebsrmvn_2xn_kernelILj128ELj10ELj32EfEEvi20rocsparse_direction_NS_24const_host_device_scalarIT2_EEPKiS6_PKS3_S8_S4_PS3_21rocsparse_index_base_b,comdat
.Lfunc_end43:
	.size	_ZN9rocsparseL19gebsrmvn_2xn_kernelILj128ELj10ELj32EfEEvi20rocsparse_direction_NS_24const_host_device_scalarIT2_EEPKiS6_PKS3_S8_S4_PS3_21rocsparse_index_base_b, .Lfunc_end43-_ZN9rocsparseL19gebsrmvn_2xn_kernelILj128ELj10ELj32EfEEvi20rocsparse_direction_NS_24const_host_device_scalarIT2_EEPKiS6_PKS3_S8_S4_PS3_21rocsparse_index_base_b
                                        ; -- End function
	.set _ZN9rocsparseL19gebsrmvn_2xn_kernelILj128ELj10ELj32EfEEvi20rocsparse_direction_NS_24const_host_device_scalarIT2_EEPKiS6_PKS3_S8_S4_PS3_21rocsparse_index_base_b.num_vgpr, 48
	.set _ZN9rocsparseL19gebsrmvn_2xn_kernelILj128ELj10ELj32EfEEvi20rocsparse_direction_NS_24const_host_device_scalarIT2_EEPKiS6_PKS3_S8_S4_PS3_21rocsparse_index_base_b.num_agpr, 0
	.set _ZN9rocsparseL19gebsrmvn_2xn_kernelILj128ELj10ELj32EfEEvi20rocsparse_direction_NS_24const_host_device_scalarIT2_EEPKiS6_PKS3_S8_S4_PS3_21rocsparse_index_base_b.numbered_sgpr, 18
	.set _ZN9rocsparseL19gebsrmvn_2xn_kernelILj128ELj10ELj32EfEEvi20rocsparse_direction_NS_24const_host_device_scalarIT2_EEPKiS6_PKS3_S8_S4_PS3_21rocsparse_index_base_b.num_named_barrier, 0
	.set _ZN9rocsparseL19gebsrmvn_2xn_kernelILj128ELj10ELj32EfEEvi20rocsparse_direction_NS_24const_host_device_scalarIT2_EEPKiS6_PKS3_S8_S4_PS3_21rocsparse_index_base_b.private_seg_size, 0
	.set _ZN9rocsparseL19gebsrmvn_2xn_kernelILj128ELj10ELj32EfEEvi20rocsparse_direction_NS_24const_host_device_scalarIT2_EEPKiS6_PKS3_S8_S4_PS3_21rocsparse_index_base_b.uses_vcc, 1
	.set _ZN9rocsparseL19gebsrmvn_2xn_kernelILj128ELj10ELj32EfEEvi20rocsparse_direction_NS_24const_host_device_scalarIT2_EEPKiS6_PKS3_S8_S4_PS3_21rocsparse_index_base_b.uses_flat_scratch, 0
	.set _ZN9rocsparseL19gebsrmvn_2xn_kernelILj128ELj10ELj32EfEEvi20rocsparse_direction_NS_24const_host_device_scalarIT2_EEPKiS6_PKS3_S8_S4_PS3_21rocsparse_index_base_b.has_dyn_sized_stack, 0
	.set _ZN9rocsparseL19gebsrmvn_2xn_kernelILj128ELj10ELj32EfEEvi20rocsparse_direction_NS_24const_host_device_scalarIT2_EEPKiS6_PKS3_S8_S4_PS3_21rocsparse_index_base_b.has_recursion, 0
	.set _ZN9rocsparseL19gebsrmvn_2xn_kernelILj128ELj10ELj32EfEEvi20rocsparse_direction_NS_24const_host_device_scalarIT2_EEPKiS6_PKS3_S8_S4_PS3_21rocsparse_index_base_b.has_indirect_call, 0
	.section	.AMDGPU.csdata,"",@progbits
; Kernel info:
; codeLenInByte = 2088
; TotalNumSgprs: 20
; NumVgprs: 48
; ScratchSize: 0
; MemoryBound: 0
; FloatMode: 240
; IeeeMode: 1
; LDSByteSize: 0 bytes/workgroup (compile time only)
; SGPRBlocks: 0
; VGPRBlocks: 2
; NumSGPRsForWavesPerEU: 20
; NumVGPRsForWavesPerEU: 48
; NamedBarCnt: 0
; Occupancy: 16
; WaveLimiterHint : 1
; COMPUTE_PGM_RSRC2:SCRATCH_EN: 0
; COMPUTE_PGM_RSRC2:USER_SGPR: 2
; COMPUTE_PGM_RSRC2:TRAP_HANDLER: 0
; COMPUTE_PGM_RSRC2:TGID_X_EN: 1
; COMPUTE_PGM_RSRC2:TGID_Y_EN: 0
; COMPUTE_PGM_RSRC2:TGID_Z_EN: 0
; COMPUTE_PGM_RSRC2:TIDIG_COMP_CNT: 0
	.section	.text._ZN9rocsparseL19gebsrmvn_2xn_kernelILj128ELj10ELj64EfEEvi20rocsparse_direction_NS_24const_host_device_scalarIT2_EEPKiS6_PKS3_S8_S4_PS3_21rocsparse_index_base_b,"axG",@progbits,_ZN9rocsparseL19gebsrmvn_2xn_kernelILj128ELj10ELj64EfEEvi20rocsparse_direction_NS_24const_host_device_scalarIT2_EEPKiS6_PKS3_S8_S4_PS3_21rocsparse_index_base_b,comdat
	.globl	_ZN9rocsparseL19gebsrmvn_2xn_kernelILj128ELj10ELj64EfEEvi20rocsparse_direction_NS_24const_host_device_scalarIT2_EEPKiS6_PKS3_S8_S4_PS3_21rocsparse_index_base_b ; -- Begin function _ZN9rocsparseL19gebsrmvn_2xn_kernelILj128ELj10ELj64EfEEvi20rocsparse_direction_NS_24const_host_device_scalarIT2_EEPKiS6_PKS3_S8_S4_PS3_21rocsparse_index_base_b
	.p2align	8
	.type	_ZN9rocsparseL19gebsrmvn_2xn_kernelILj128ELj10ELj64EfEEvi20rocsparse_direction_NS_24const_host_device_scalarIT2_EEPKiS6_PKS3_S8_S4_PS3_21rocsparse_index_base_b,@function
_ZN9rocsparseL19gebsrmvn_2xn_kernelILj128ELj10ELj64EfEEvi20rocsparse_direction_NS_24const_host_device_scalarIT2_EEPKiS6_PKS3_S8_S4_PS3_21rocsparse_index_base_b: ; @_ZN9rocsparseL19gebsrmvn_2xn_kernelILj128ELj10ELj64EfEEvi20rocsparse_direction_NS_24const_host_device_scalarIT2_EEPKiS6_PKS3_S8_S4_PS3_21rocsparse_index_base_b
; %bb.0:
	s_clause 0x2
	s_load_b64 s[16:17], s[0:1], 0x40
	s_load_b64 s[14:15], s[0:1], 0x8
	s_load_b64 s[12:13], s[0:1], 0x30
	s_wait_kmcnt 0x0
	s_bitcmp1_b32 s17, 0
	s_cselect_b32 s2, -1, 0
	s_delay_alu instid0(SALU_CYCLE_1)
	s_and_b32 vcc_lo, exec_lo, s2
	s_xor_b32 s2, s2, -1
	s_cbranch_vccnz .LBB44_2
; %bb.1:
	s_load_b32 s14, s[14:15], 0x0
.LBB44_2:
	s_and_not1_b32 vcc_lo, exec_lo, s2
	s_cbranch_vccnz .LBB44_4
; %bb.3:
	s_load_b32 s12, s[12:13], 0x0
.LBB44_4:
	s_wait_kmcnt 0x0
	s_cmp_eq_f32 s14, 0
	s_cselect_b32 s2, -1, 0
	s_cmp_eq_f32 s12, 1.0
	s_cselect_b32 s3, -1, 0
	s_delay_alu instid0(SALU_CYCLE_1) | instskip(NEXT) | instid1(SALU_CYCLE_1)
	s_and_b32 s2, s2, s3
	s_and_b32 vcc_lo, exec_lo, s2
	s_cbranch_vccnz .LBB44_23
; %bb.5:
	s_load_b64 s[2:3], s[0:1], 0x0
	s_bfe_u32 s4, ttmp6, 0x4000c
	s_and_b32 s5, ttmp6, 15
	s_add_co_i32 s4, s4, 1
	s_getreg_b32 s6, hwreg(HW_REG_IB_STS2, 6, 4)
	s_mul_i32 s4, ttmp9, s4
	v_lshrrev_b32_e32 v1, 6, v0
	s_add_co_i32 s5, s5, s4
	s_cmp_eq_u32 s6, 0
	s_cselect_b32 s4, ttmp9, s5
	s_delay_alu instid0(VALU_DEP_1) | instid1(SALU_CYCLE_1)
	v_lshl_or_b32 v2, s4, 1, v1
	s_wait_kmcnt 0x0
	s_delay_alu instid0(VALU_DEP_1)
	v_cmp_gt_i32_e32 vcc_lo, s2, v2
	s_and_saveexec_b32 s2, vcc_lo
	s_cbranch_execz .LBB44_23
; %bb.6:
	s_load_b256 s[4:11], s[0:1], 0x10
	v_ashrrev_i32_e32 v3, 31, v2
	s_cmp_lg_u32 s3, 0
	s_wait_kmcnt 0x0
	s_delay_alu instid0(VALU_DEP_1)
	v_lshl_add_u64 v[4:5], v[2:3], 2, s[4:5]
	v_and_b32_e32 v3, 63, v0
	global_load_b64 v[4:5], v[4:5], off
	s_wait_loadcnt 0x0
	v_subrev_nc_u32_e32 v0, s16, v4
	v_subrev_nc_u32_e32 v8, s16, v5
	s_delay_alu instid0(VALU_DEP_2) | instskip(NEXT) | instid1(VALU_DEP_1)
	v_add_nc_u32_e32 v9, v0, v3
	v_cmp_lt_i32_e64 s2, v9, v8
	s_cbranch_scc0 .LBB44_12
; %bb.7:
	v_mov_b32_e32 v1, 0
	s_delay_alu instid0(VALU_DEP_1)
	v_mov_b32_e32 v0, v1
	s_and_saveexec_b32 s3, s2
	s_cbranch_execz .LBB44_11
; %bb.8:
	v_mad_u32 v4, v9, 20, 18
	v_dual_mov_b32 v7, 0 :: v_dual_mov_b32 v10, v9
	s_mov_b32 s4, 0
	s_delay_alu instid0(VALU_DEP_1)
	v_dual_mov_b32 v0, v7 :: v_dual_mov_b32 v1, v7
.LBB44_9:                               ; =>This Inner Loop Header: Depth=1
	global_load_b32 v5, v10, s[6:7] scale_offset
	v_subrev_nc_u32_e32 v6, 18, v4
	s_wait_xcnt 0x0
	v_dual_mov_b32 v17, v7 :: v_dual_add_nc_u32 v10, 64, v10
	s_delay_alu instid0(VALU_DEP_2) | instskip(SKIP_1) | instid1(VALU_DEP_3)
	v_lshl_add_u64 v[12:13], v[6:7], 2, s[8:9]
	v_add_nc_u32_e32 v6, -14, v4
	v_cmp_ge_i32_e32 vcc_lo, v10, v8
	global_load_b128 v[12:15], v[12:13], off
	v_lshl_add_u64 v[18:19], v[6:7], 2, s[8:9]
	s_or_b32 s4, vcc_lo, s4
	global_load_b64 v[18:19], v[18:19], off
	s_wait_loadcnt 0x2
	v_subrev_nc_u32_e32 v5, s16, v5
	s_delay_alu instid0(VALU_DEP_1) | instskip(NEXT) | instid1(VALU_DEP_1)
	v_mul_lo_u32 v16, v5, 10
	v_dual_mov_b32 v5, v7 :: v_dual_add_nc_u32 v6, 2, v16
	v_lshl_add_u64 v[20:21], v[16:17], 2, s[10:11]
	s_delay_alu instid0(VALU_DEP_2)
	v_lshl_add_u64 v[22:23], v[6:7], 2, s[10:11]
	v_add_nc_u32_e32 v6, -12, v4
	s_clause 0x1
	global_load_b64 v[20:21], v[20:21], off
	global_load_b64 v[22:23], v[22:23], off
	v_lshl_add_u64 v[24:25], v[6:7], 2, s[8:9]
	v_add_nc_u32_e32 v6, -10, v4
	global_load_b64 v[24:25], v[24:25], off
	v_lshl_add_u64 v[26:27], v[6:7], 2, s[8:9]
	v_add_nc_u32_e32 v6, 4, v16
	global_load_b64 v[26:27], v[26:27], off
	v_lshl_add_u64 v[28:29], v[6:7], 2, s[10:11]
	v_add_nc_u32_e32 v6, -8, v4
	global_load_b64 v[28:29], v[28:29], off
	v_lshl_add_u64 v[30:31], v[6:7], 2, s[8:9]
	v_add_nc_u32_e32 v6, -6, v4
	global_load_b64 v[30:31], v[30:31], off
	v_lshl_add_u64 v[32:33], v[6:7], 2, s[8:9]
	v_add_nc_u32_e32 v6, 6, v16
	s_delay_alu instid0(VALU_DEP_1)
	v_lshl_add_u64 v[34:35], v[6:7], 2, s[10:11]
	v_add_nc_u32_e32 v6, -4, v4
	global_load_b64 v[38:39], v[32:33], off
	global_load_b64 v[40:41], v[34:35], off
	v_lshl_add_u64 v[36:37], v[6:7], 2, s[8:9]
	v_add_nc_u32_e32 v6, -2, v4
	s_wait_xcnt 0x1
	s_delay_alu instid0(VALU_DEP_1)
	v_lshl_add_u64 v[32:33], v[6:7], 2, s[8:9]
	v_add_nc_u32_e32 v6, 8, v16
	global_load_b64 v[16:17], v[36:37], off
	s_wait_xcnt 0x0
	v_lshl_add_u64 v[36:37], v[4:5], 2, s[8:9]
	v_add_nc_u32_e32 v4, 0x500, v4
	v_lshl_add_u64 v[34:35], v[6:7], 2, s[10:11]
	global_load_b64 v[42:43], v[32:33], off
	global_load_b64 v[44:45], v[34:35], off
	;; [unrolled: 1-line block ×3, first 2 shown]
	s_wait_loadcnt 0xb
	v_pk_fma_f32 v[0:1], v[12:13], v[20:21], v[0:1] op_sel_hi:[1,0,1]
	s_delay_alu instid0(VALU_DEP_1) | instskip(SKIP_1) | instid1(VALU_DEP_1)
	v_pk_fma_f32 v[0:1], v[14:15], v[20:21], v[0:1] op_sel:[0,1,0]
	s_wait_loadcnt 0xa
	v_pk_fma_f32 v[0:1], v[18:19], v[22:23], v[0:1] op_sel_hi:[1,0,1]
	s_wait_loadcnt 0x9
	s_delay_alu instid0(VALU_DEP_1) | instskip(SKIP_1) | instid1(VALU_DEP_1)
	v_pk_fma_f32 v[0:1], v[24:25], v[22:23], v[0:1] op_sel:[0,1,0]
	s_wait_loadcnt 0x7
	v_pk_fma_f32 v[0:1], v[26:27], v[28:29], v[0:1] op_sel_hi:[1,0,1]
	s_wait_loadcnt 0x6
	;; [unrolled: 5-line block ×4, first 2 shown]
	s_delay_alu instid0(VALU_DEP_1)
	v_pk_fma_f32 v[0:1], v[46:47], v[44:45], v[0:1] op_sel:[0,1,0]
	s_and_not1_b32 exec_lo, exec_lo, s4
	s_cbranch_execnz .LBB44_9
; %bb.10:
	s_or_b32 exec_lo, exec_lo, s4
.LBB44_11:
	s_delay_alu instid0(SALU_CYCLE_1)
	s_or_b32 exec_lo, exec_lo, s3
	s_cbranch_execz .LBB44_13
	s_branch .LBB44_18
.LBB44_12:
                                        ; implicit-def: $vgpr1
.LBB44_13:
	v_mov_b32_e32 v1, 0
	s_delay_alu instid0(VALU_DEP_1)
	v_mov_b32_e32 v0, v1
	s_and_saveexec_b32 s3, s2
	s_cbranch_execz .LBB44_17
; %bb.14:
	v_mad_u32 v6, v9, 20, 19
	v_mov_b32_e32 v5, 0
	s_mov_b32 s2, 0
	s_delay_alu instid0(VALU_DEP_1)
	v_dual_mov_b32 v0, v5 :: v_dual_mov_b32 v1, v5
.LBB44_15:                              ; =>This Inner Loop Header: Depth=1
	global_load_b32 v4, v9, s[6:7] scale_offset
	v_dual_mov_b32 v15, v5 :: v_dual_add_nc_u32 v7, -8, v6
	v_dual_add_nc_u32 v18, -7, v6 :: v_dual_add_nc_u32 v32, -4, v6
	s_wait_xcnt 0x0
	v_dual_add_nc_u32 v9, 64, v9 :: v_dual_add_nc_u32 v22, -15, v6
	s_clause 0x1
	global_load_b32 v19, v7, s[8:9] scale_offset
	global_load_b32 v23, v18, s[8:9] scale_offset
	s_wait_xcnt 0x0
	v_dual_add_nc_u32 v7, -6, v6 :: v_dual_add_nc_u32 v18, -5, v6
	v_add_nc_u32_e32 v24, -14, v6
	v_cmp_ge_i32_e32 vcc_lo, v9, v8
	global_load_b32 v25, v7, s[8:9] scale_offset
	s_wait_xcnt 0x0
	v_add_nc_u32_e32 v7, -13, v6
	s_or_b32 s2, vcc_lo, s2
	s_wait_loadcnt 0x3
	v_subrev_nc_u32_e32 v4, s16, v4
	s_delay_alu instid0(VALU_DEP_1) | instskip(SKIP_1) | instid1(VALU_DEP_1)
	v_mul_lo_u32 v14, v4, 10
	v_subrev_nc_u32_e32 v4, 19, v6
	v_lshl_add_u64 v[10:11], v[4:5], 2, s[8:9]
	v_add_nc_u32_e32 v4, -9, v6
	global_load_b128 v[10:13], v[10:11], off
	v_lshl_add_u64 v[16:17], v[14:15], 2, s[10:11]
	global_load_b32 v15, v4, s[8:9] scale_offset
	s_wait_xcnt 0x0
	v_add_nc_u32_e32 v4, 2, v14
	global_load_b64 v[16:17], v[16:17], off
	v_lshl_add_u64 v[20:21], v[4:5], 2, s[10:11]
	v_add_nc_u32_e32 v4, 4, v14
	global_load_b64 v[20:21], v[20:21], off
	v_lshl_add_u64 v[26:27], v[4:5], 2, s[10:11]
	s_clause 0x1
	global_load_b32 v28, v22, s[8:9] scale_offset
	global_load_b32 v29, v18, s[8:9] scale_offset
	v_add_nc_u32_e32 v4, 6, v14
	s_wait_xcnt 0x0
	v_dual_add_nc_u32 v18, -3, v6 :: v_dual_add_nc_u32 v22, -12, v6
	global_load_b64 v[26:27], v[26:27], off
	s_clause 0x1
	global_load_b32 v30, v24, s[8:9] scale_offset
	global_load_b32 v31, v32, s[8:9] scale_offset
	s_wait_xcnt 0x0
	v_lshl_add_u64 v[32:33], v[4:5], 2, s[10:11]
	s_clause 0x1
	global_load_b32 v34, v7, s[8:9] scale_offset
	global_load_b32 v35, v18, s[8:9] scale_offset
	s_wait_xcnt 0x1
	v_dual_add_nc_u32 v24, -2, v6 :: v_dual_add_nc_u32 v7, -11, v6
	v_add_nc_u32_e32 v4, 8, v14
	global_load_b64 v[32:33], v[32:33], off
	s_clause 0x1
	global_load_b32 v36, v22, s[8:9] scale_offset
	global_load_b32 v37, v24, s[8:9] scale_offset
	s_wait_loadcnt 0xd
	s_wait_xcnt 0x0
	v_dual_add_nc_u32 v14, -1, v6 :: v_dual_mov_b32 v24, v13
	v_lshl_add_u64 v[38:39], v[4:5], 2, s[10:11]
	v_add_nc_u32_e32 v4, -10, v6
	s_clause 0x1
	global_load_b32 v40, v7, s[8:9] scale_offset
	global_load_b32 v41, v14, s[8:9] scale_offset
	global_load_b64 v[42:43], v[38:39], off
	s_clause 0x1
	global_load_b32 v44, v4, s[8:9] scale_offset
	global_load_b32 v45, v6, s[8:9] scale_offset
	s_wait_xcnt 0x3
	v_dual_mov_b32 v14, v10 :: v_dual_mov_b32 v18, v11
	v_mov_b32_e32 v22, v12
	s_wait_xcnt 0x0
	v_add_nc_u32_e32 v6, 0x500, v6
	s_wait_loadcnt 0x10
	v_pk_fma_f32 v[0:1], v[14:15], v[16:17], v[0:1] op_sel_hi:[1,0,1]
	s_delay_alu instid0(VALU_DEP_1) | instskip(SKIP_1) | instid1(VALU_DEP_1)
	v_pk_fma_f32 v[0:1], v[18:19], v[16:17], v[0:1] op_sel:[0,1,0]
	s_wait_loadcnt 0xf
	v_pk_fma_f32 v[0:1], v[22:23], v[20:21], v[0:1] op_sel_hi:[1,0,1]
	s_delay_alu instid0(VALU_DEP_1) | instskip(SKIP_1) | instid1(VALU_DEP_1)
	v_pk_fma_f32 v[0:1], v[24:25], v[20:21], v[0:1] op_sel:[0,1,0]
	s_wait_loadcnt 0xc
	v_pk_fma_f32 v[0:1], v[28:29], v[26:27], v[0:1] op_sel_hi:[1,0,1]
	s_wait_loadcnt 0xa
	s_delay_alu instid0(VALU_DEP_1) | instskip(SKIP_1) | instid1(VALU_DEP_1)
	v_pk_fma_f32 v[0:1], v[30:31], v[26:27], v[0:1] op_sel:[0,1,0]
	s_wait_loadcnt 0x7
	v_pk_fma_f32 v[0:1], v[34:35], v[32:33], v[0:1] op_sel_hi:[1,0,1]
	s_wait_loadcnt 0x5
	;; [unrolled: 5-line block ×3, first 2 shown]
	s_delay_alu instid0(VALU_DEP_1)
	v_pk_fma_f32 v[0:1], v[44:45], v[42:43], v[0:1] op_sel:[0,1,0]
	s_and_not1_b32 exec_lo, exec_lo, s2
	s_cbranch_execnz .LBB44_15
; %bb.16:
	s_or_b32 exec_lo, exec_lo, s2
.LBB44_17:
	s_delay_alu instid0(SALU_CYCLE_1)
	s_or_b32 exec_lo, exec_lo, s3
.LBB44_18:
	v_mbcnt_lo_u32_b32 v6, -1, 0
	s_mov_b32 s2, -1
	s_delay_alu instid0(VALU_DEP_1) | instskip(SKIP_1) | instid1(VALU_DEP_1)
	v_xor_b32_e32 v7, 16, v6
	v_or_b32_e32 v4, 32, v6
	v_cmp_gt_i32_e32 vcc_lo, 32, v4
	v_cndmask_b32_e32 v4, v6, v4, vcc_lo
	s_delay_alu instid0(VALU_DEP_4) | instskip(SKIP_1) | instid1(VALU_DEP_1)
	v_cmp_gt_i32_e32 vcc_lo, 32, v7
	v_cndmask_b32_e32 v7, v6, v7, vcc_lo
	v_dual_lshlrev_b32 v7, 2, v7 :: v_dual_lshlrev_b32 v5, 2, v4
	ds_bpermute_b32 v4, v5, v0
	ds_bpermute_b32 v5, v5, v1
	s_wait_dscnt 0x0
	v_pk_add_f32 v[0:1], v[0:1], v[4:5]
	ds_bpermute_b32 v4, v7, v0
	ds_bpermute_b32 v5, v7, v1
	v_xor_b32_e32 v7, 8, v6
	s_delay_alu instid0(VALU_DEP_1) | instskip(SKIP_1) | instid1(VALU_DEP_1)
	v_cmp_gt_i32_e32 vcc_lo, 32, v7
	v_cndmask_b32_e32 v7, v6, v7, vcc_lo
	v_lshlrev_b32_e32 v7, 2, v7
	s_wait_dscnt 0x0
	v_pk_add_f32 v[0:1], v[0:1], v[4:5]
	ds_bpermute_b32 v4, v7, v0
	ds_bpermute_b32 v5, v7, v1
	v_xor_b32_e32 v7, 4, v6
	s_delay_alu instid0(VALU_DEP_1) | instskip(SKIP_1) | instid1(VALU_DEP_1)
	v_cmp_gt_i32_e32 vcc_lo, 32, v7
	v_cndmask_b32_e32 v7, v6, v7, vcc_lo
	v_lshlrev_b32_e32 v7, 2, v7
	;; [unrolled: 9-line block ×3, first 2 shown]
	s_wait_dscnt 0x0
	v_pk_add_f32 v[0:1], v[0:1], v[4:5]
	ds_bpermute_b32 v4, v7, v0
	ds_bpermute_b32 v5, v7, v1
	v_xor_b32_e32 v7, 1, v6
	s_delay_alu instid0(VALU_DEP_1) | instskip(SKIP_2) | instid1(VALU_DEP_2)
	v_cmp_gt_i32_e32 vcc_lo, 32, v7
	v_cndmask_b32_e32 v6, v6, v7, vcc_lo
	v_cmp_eq_u32_e32 vcc_lo, 63, v3
	v_lshlrev_b32_e32 v6, 2, v6
	s_wait_dscnt 0x0
	v_pk_add_f32 v[0:1], v[0:1], v[4:5]
	ds_bpermute_b32 v4, v6, v0
	ds_bpermute_b32 v5, v6, v1
	s_and_b32 exec_lo, exec_lo, vcc_lo
	s_cbranch_execz .LBB44_23
; %bb.19:
	s_load_b64 s[0:1], s[0:1], 0x38
	s_wait_dscnt 0x0
	v_pk_add_f32 v[0:1], v[0:1], v[4:5]
	v_lshlrev_b32_e32 v2, 1, v2
	s_cmp_eq_f32 s12, 0
	s_cbranch_scc0 .LBB44_21
; %bb.20:
	s_delay_alu instid0(VALU_DEP_1) | instskip(SKIP_3) | instid1(VALU_DEP_2)
	v_ashrrev_i32_e32 v3, 31, v2
	v_pk_mul_f32 v[6:7], s[14:15], v[0:1] op_sel_hi:[0,1]
	s_mov_b32 s2, 0
	s_wait_kmcnt 0x0
	v_lshl_add_u64 v[4:5], v[2:3], 2, s[0:1]
	global_store_b64 v[4:5], v[6:7], off
.LBB44_21:
	s_and_not1_b32 vcc_lo, exec_lo, s2
	s_cbranch_vccnz .LBB44_23
; %bb.22:
	v_ashrrev_i32_e32 v3, 31, v2
	v_pk_mul_f32 v[0:1], s[14:15], v[0:1] op_sel_hi:[0,1]
	s_wait_kmcnt 0x0
	s_delay_alu instid0(VALU_DEP_2)
	v_lshl_add_u64 v[2:3], v[2:3], 2, s[0:1]
	global_load_b64 v[4:5], v[2:3], off
	s_wait_loadcnt 0x0
	v_pk_fma_f32 v[0:1], s[12:13], v[4:5], v[0:1] op_sel_hi:[0,1,1]
	global_store_b64 v[2:3], v[0:1], off
.LBB44_23:
	s_endpgm
	.section	.rodata,"a",@progbits
	.p2align	6, 0x0
	.amdhsa_kernel _ZN9rocsparseL19gebsrmvn_2xn_kernelILj128ELj10ELj64EfEEvi20rocsparse_direction_NS_24const_host_device_scalarIT2_EEPKiS6_PKS3_S8_S4_PS3_21rocsparse_index_base_b
		.amdhsa_group_segment_fixed_size 0
		.amdhsa_private_segment_fixed_size 0
		.amdhsa_kernarg_size 72
		.amdhsa_user_sgpr_count 2
		.amdhsa_user_sgpr_dispatch_ptr 0
		.amdhsa_user_sgpr_queue_ptr 0
		.amdhsa_user_sgpr_kernarg_segment_ptr 1
		.amdhsa_user_sgpr_dispatch_id 0
		.amdhsa_user_sgpr_kernarg_preload_length 0
		.amdhsa_user_sgpr_kernarg_preload_offset 0
		.amdhsa_user_sgpr_private_segment_size 0
		.amdhsa_wavefront_size32 1
		.amdhsa_uses_dynamic_stack 0
		.amdhsa_enable_private_segment 0
		.amdhsa_system_sgpr_workgroup_id_x 1
		.amdhsa_system_sgpr_workgroup_id_y 0
		.amdhsa_system_sgpr_workgroup_id_z 0
		.amdhsa_system_sgpr_workgroup_info 0
		.amdhsa_system_vgpr_workitem_id 0
		.amdhsa_next_free_vgpr 48
		.amdhsa_next_free_sgpr 18
		.amdhsa_named_barrier_count 0
		.amdhsa_reserve_vcc 1
		.amdhsa_float_round_mode_32 0
		.amdhsa_float_round_mode_16_64 0
		.amdhsa_float_denorm_mode_32 3
		.amdhsa_float_denorm_mode_16_64 3
		.amdhsa_fp16_overflow 0
		.amdhsa_memory_ordered 1
		.amdhsa_forward_progress 1
		.amdhsa_inst_pref_size 17
		.amdhsa_round_robin_scheduling 0
		.amdhsa_exception_fp_ieee_invalid_op 0
		.amdhsa_exception_fp_denorm_src 0
		.amdhsa_exception_fp_ieee_div_zero 0
		.amdhsa_exception_fp_ieee_overflow 0
		.amdhsa_exception_fp_ieee_underflow 0
		.amdhsa_exception_fp_ieee_inexact 0
		.amdhsa_exception_int_div_zero 0
	.end_amdhsa_kernel
	.section	.text._ZN9rocsparseL19gebsrmvn_2xn_kernelILj128ELj10ELj64EfEEvi20rocsparse_direction_NS_24const_host_device_scalarIT2_EEPKiS6_PKS3_S8_S4_PS3_21rocsparse_index_base_b,"axG",@progbits,_ZN9rocsparseL19gebsrmvn_2xn_kernelILj128ELj10ELj64EfEEvi20rocsparse_direction_NS_24const_host_device_scalarIT2_EEPKiS6_PKS3_S8_S4_PS3_21rocsparse_index_base_b,comdat
.Lfunc_end44:
	.size	_ZN9rocsparseL19gebsrmvn_2xn_kernelILj128ELj10ELj64EfEEvi20rocsparse_direction_NS_24const_host_device_scalarIT2_EEPKiS6_PKS3_S8_S4_PS3_21rocsparse_index_base_b, .Lfunc_end44-_ZN9rocsparseL19gebsrmvn_2xn_kernelILj128ELj10ELj64EfEEvi20rocsparse_direction_NS_24const_host_device_scalarIT2_EEPKiS6_PKS3_S8_S4_PS3_21rocsparse_index_base_b
                                        ; -- End function
	.set _ZN9rocsparseL19gebsrmvn_2xn_kernelILj128ELj10ELj64EfEEvi20rocsparse_direction_NS_24const_host_device_scalarIT2_EEPKiS6_PKS3_S8_S4_PS3_21rocsparse_index_base_b.num_vgpr, 48
	.set _ZN9rocsparseL19gebsrmvn_2xn_kernelILj128ELj10ELj64EfEEvi20rocsparse_direction_NS_24const_host_device_scalarIT2_EEPKiS6_PKS3_S8_S4_PS3_21rocsparse_index_base_b.num_agpr, 0
	.set _ZN9rocsparseL19gebsrmvn_2xn_kernelILj128ELj10ELj64EfEEvi20rocsparse_direction_NS_24const_host_device_scalarIT2_EEPKiS6_PKS3_S8_S4_PS3_21rocsparse_index_base_b.numbered_sgpr, 18
	.set _ZN9rocsparseL19gebsrmvn_2xn_kernelILj128ELj10ELj64EfEEvi20rocsparse_direction_NS_24const_host_device_scalarIT2_EEPKiS6_PKS3_S8_S4_PS3_21rocsparse_index_base_b.num_named_barrier, 0
	.set _ZN9rocsparseL19gebsrmvn_2xn_kernelILj128ELj10ELj64EfEEvi20rocsparse_direction_NS_24const_host_device_scalarIT2_EEPKiS6_PKS3_S8_S4_PS3_21rocsparse_index_base_b.private_seg_size, 0
	.set _ZN9rocsparseL19gebsrmvn_2xn_kernelILj128ELj10ELj64EfEEvi20rocsparse_direction_NS_24const_host_device_scalarIT2_EEPKiS6_PKS3_S8_S4_PS3_21rocsparse_index_base_b.uses_vcc, 1
	.set _ZN9rocsparseL19gebsrmvn_2xn_kernelILj128ELj10ELj64EfEEvi20rocsparse_direction_NS_24const_host_device_scalarIT2_EEPKiS6_PKS3_S8_S4_PS3_21rocsparse_index_base_b.uses_flat_scratch, 0
	.set _ZN9rocsparseL19gebsrmvn_2xn_kernelILj128ELj10ELj64EfEEvi20rocsparse_direction_NS_24const_host_device_scalarIT2_EEPKiS6_PKS3_S8_S4_PS3_21rocsparse_index_base_b.has_dyn_sized_stack, 0
	.set _ZN9rocsparseL19gebsrmvn_2xn_kernelILj128ELj10ELj64EfEEvi20rocsparse_direction_NS_24const_host_device_scalarIT2_EEPKiS6_PKS3_S8_S4_PS3_21rocsparse_index_base_b.has_recursion, 0
	.set _ZN9rocsparseL19gebsrmvn_2xn_kernelILj128ELj10ELj64EfEEvi20rocsparse_direction_NS_24const_host_device_scalarIT2_EEPKiS6_PKS3_S8_S4_PS3_21rocsparse_index_base_b.has_indirect_call, 0
	.section	.AMDGPU.csdata,"",@progbits
; Kernel info:
; codeLenInByte = 2136
; TotalNumSgprs: 20
; NumVgprs: 48
; ScratchSize: 0
; MemoryBound: 0
; FloatMode: 240
; IeeeMode: 1
; LDSByteSize: 0 bytes/workgroup (compile time only)
; SGPRBlocks: 0
; VGPRBlocks: 2
; NumSGPRsForWavesPerEU: 20
; NumVGPRsForWavesPerEU: 48
; NamedBarCnt: 0
; Occupancy: 16
; WaveLimiterHint : 1
; COMPUTE_PGM_RSRC2:SCRATCH_EN: 0
; COMPUTE_PGM_RSRC2:USER_SGPR: 2
; COMPUTE_PGM_RSRC2:TRAP_HANDLER: 0
; COMPUTE_PGM_RSRC2:TGID_X_EN: 1
; COMPUTE_PGM_RSRC2:TGID_Y_EN: 0
; COMPUTE_PGM_RSRC2:TGID_Z_EN: 0
; COMPUTE_PGM_RSRC2:TIDIG_COMP_CNT: 0
	.section	.text._ZN9rocsparseL19gebsrmvn_2xn_kernelILj128ELj11ELj4EfEEvi20rocsparse_direction_NS_24const_host_device_scalarIT2_EEPKiS6_PKS3_S8_S4_PS3_21rocsparse_index_base_b,"axG",@progbits,_ZN9rocsparseL19gebsrmvn_2xn_kernelILj128ELj11ELj4EfEEvi20rocsparse_direction_NS_24const_host_device_scalarIT2_EEPKiS6_PKS3_S8_S4_PS3_21rocsparse_index_base_b,comdat
	.globl	_ZN9rocsparseL19gebsrmvn_2xn_kernelILj128ELj11ELj4EfEEvi20rocsparse_direction_NS_24const_host_device_scalarIT2_EEPKiS6_PKS3_S8_S4_PS3_21rocsparse_index_base_b ; -- Begin function _ZN9rocsparseL19gebsrmvn_2xn_kernelILj128ELj11ELj4EfEEvi20rocsparse_direction_NS_24const_host_device_scalarIT2_EEPKiS6_PKS3_S8_S4_PS3_21rocsparse_index_base_b
	.p2align	8
	.type	_ZN9rocsparseL19gebsrmvn_2xn_kernelILj128ELj11ELj4EfEEvi20rocsparse_direction_NS_24const_host_device_scalarIT2_EEPKiS6_PKS3_S8_S4_PS3_21rocsparse_index_base_b,@function
_ZN9rocsparseL19gebsrmvn_2xn_kernelILj128ELj11ELj4EfEEvi20rocsparse_direction_NS_24const_host_device_scalarIT2_EEPKiS6_PKS3_S8_S4_PS3_21rocsparse_index_base_b: ; @_ZN9rocsparseL19gebsrmvn_2xn_kernelILj128ELj11ELj4EfEEvi20rocsparse_direction_NS_24const_host_device_scalarIT2_EEPKiS6_PKS3_S8_S4_PS3_21rocsparse_index_base_b
; %bb.0:
	s_clause 0x2
	s_load_b64 s[16:17], s[0:1], 0x40
	s_load_b64 s[14:15], s[0:1], 0x8
	;; [unrolled: 1-line block ×3, first 2 shown]
	s_wait_kmcnt 0x0
	s_bitcmp1_b32 s17, 0
	s_cselect_b32 s2, -1, 0
	s_delay_alu instid0(SALU_CYCLE_1)
	s_and_b32 vcc_lo, exec_lo, s2
	s_xor_b32 s2, s2, -1
	s_cbranch_vccnz .LBB45_2
; %bb.1:
	s_load_b32 s14, s[14:15], 0x0
.LBB45_2:
	s_and_not1_b32 vcc_lo, exec_lo, s2
	s_cbranch_vccnz .LBB45_4
; %bb.3:
	s_load_b32 s12, s[12:13], 0x0
.LBB45_4:
	s_wait_kmcnt 0x0
	s_cmp_eq_f32 s14, 0
	s_cselect_b32 s2, -1, 0
	s_cmp_eq_f32 s12, 1.0
	s_cselect_b32 s3, -1, 0
	s_delay_alu instid0(SALU_CYCLE_1) | instskip(NEXT) | instid1(SALU_CYCLE_1)
	s_and_b32 s2, s2, s3
	s_and_b32 vcc_lo, exec_lo, s2
	s_cbranch_vccnz .LBB45_23
; %bb.5:
	s_load_b64 s[2:3], s[0:1], 0x0
	s_bfe_u32 s4, ttmp6, 0x4000c
	s_and_b32 s5, ttmp6, 15
	s_add_co_i32 s4, s4, 1
	s_getreg_b32 s6, hwreg(HW_REG_IB_STS2, 6, 4)
	s_mul_i32 s4, ttmp9, s4
	v_lshrrev_b32_e32 v1, 2, v0
	s_add_co_i32 s5, s5, s4
	s_cmp_eq_u32 s6, 0
	s_cselect_b32 s4, ttmp9, s5
	s_delay_alu instid0(VALU_DEP_1) | instid1(SALU_CYCLE_1)
	v_lshl_or_b32 v2, s4, 5, v1
	s_wait_kmcnt 0x0
	s_delay_alu instid0(VALU_DEP_1)
	v_cmp_gt_i32_e32 vcc_lo, s2, v2
	s_and_saveexec_b32 s2, vcc_lo
	s_cbranch_execz .LBB45_23
; %bb.6:
	s_load_b256 s[4:11], s[0:1], 0x10
	v_ashrrev_i32_e32 v3, 31, v2
	s_cmp_lg_u32 s3, 0
	s_wait_kmcnt 0x0
	s_delay_alu instid0(VALU_DEP_1)
	v_lshl_add_u64 v[4:5], v[2:3], 2, s[4:5]
	v_and_b32_e32 v3, 3, v0
	global_load_b64 v[4:5], v[4:5], off
	s_wait_loadcnt 0x0
	v_subrev_nc_u32_e32 v0, s16, v4
	v_subrev_nc_u32_e32 v8, s16, v5
	s_delay_alu instid0(VALU_DEP_2) | instskip(NEXT) | instid1(VALU_DEP_1)
	v_add_nc_u32_e32 v9, v0, v3
	v_cmp_lt_i32_e64 s2, v9, v8
	s_cbranch_scc0 .LBB45_12
; %bb.7:
	v_mov_b32_e32 v1, 0
	s_delay_alu instid0(VALU_DEP_1)
	v_mov_b32_e32 v0, v1
	s_and_saveexec_b32 s3, s2
	s_cbranch_execz .LBB45_11
; %bb.8:
	v_mad_u32 v4, v9, 22, 20
	v_dual_mov_b32 v7, 0 :: v_dual_mov_b32 v10, v9
	s_mov_b32 s4, 0
	s_delay_alu instid0(VALU_DEP_1)
	v_dual_mov_b32 v0, v7 :: v_dual_mov_b32 v1, v7
.LBB45_9:                               ; =>This Inner Loop Header: Depth=1
	global_load_b32 v5, v10, s[6:7] scale_offset
	v_subrev_nc_u32_e32 v6, 20, v4
	s_wait_xcnt 0x0
	v_add_nc_u32_e32 v10, 4, v10
	s_delay_alu instid0(VALU_DEP_2) | instskip(SKIP_1) | instid1(VALU_DEP_3)
	v_lshl_add_u64 v[12:13], v[6:7], 2, s[8:9]
	v_subrev_nc_u32_e32 v6, 18, v4
	v_cmp_ge_i32_e32 vcc_lo, v10, v8
	global_load_b64 v[12:13], v[12:13], off
	v_lshl_add_u64 v[14:15], v[6:7], 2, s[8:9]
	s_or_b32 s4, vcc_lo, s4
	global_load_b64 v[14:15], v[14:15], off
	s_wait_loadcnt 0x2
	v_subrev_nc_u32_e32 v5, s16, v5
	s_delay_alu instid0(VALU_DEP_1) | instskip(NEXT) | instid1(VALU_DEP_1)
	v_mul_lo_u32 v11, v5, 11
	v_dual_add_nc_u32 v6, -16, v4 :: v_dual_add_nc_u32 v5, 1, v11
	global_load_b32 v22, v11, s[10:11] scale_offset
	v_lshl_add_u64 v[16:17], v[6:7], 2, s[8:9]
	v_dual_add_nc_u32 v6, -14, v4 :: v_dual_add_nc_u32 v23, 2, v11
	global_load_b32 v24, v5, s[10:11] scale_offset
	s_wait_xcnt 0x0
	v_add_nc_u32_e32 v5, 3, v11
	global_load_b64 v[16:17], v[16:17], off
	v_lshl_add_u64 v[18:19], v[6:7], 2, s[8:9]
	v_add_nc_u32_e32 v6, -12, v4
	s_clause 0x1
	global_load_b32 v28, v23, s[10:11] scale_offset
	global_load_b32 v30, v5, s[10:11] scale_offset
	s_wait_xcnt 0x1
	v_add_nc_u32_e32 v23, 4, v11
	global_load_b64 v[18:19], v[18:19], off
	v_lshl_add_u64 v[20:21], v[6:7], 2, s[8:9]
	s_wait_xcnt 0x1
	v_dual_add_nc_u32 v6, -10, v4 :: v_dual_add_nc_u32 v5, 5, v11
	global_load_b32 v34, v23, s[10:11] scale_offset
	v_add_nc_u32_e32 v25, 9, v11
	global_load_b64 v[20:21], v[20:21], off
	v_lshl_add_u64 v[26:27], v[6:7], 2, s[8:9]
	v_add_nc_u32_e32 v6, -8, v4
	global_load_b32 v36, v5, s[10:11] scale_offset
	s_wait_xcnt 0x0
	v_dual_add_nc_u32 v23, 6, v11 :: v_dual_add_nc_u32 v5, 7, v11
	global_load_b64 v[26:27], v[26:27], off
	v_lshl_add_u64 v[32:33], v[6:7], 2, s[8:9]
	v_add_nc_u32_e32 v6, -6, v4
	global_load_b64 v[32:33], v[32:33], off
	v_lshl_add_u64 v[38:39], v[6:7], 2, s[8:9]
	v_add_nc_u32_e32 v6, -4, v4
	global_load_b32 v40, v23, s[10:11] scale_offset
	global_load_b64 v[42:43], v[38:39], off
	s_wait_xcnt 0x1
	v_add_nc_u32_e32 v23, 8, v11
	s_wait_xcnt 0x0
	v_lshl_add_u64 v[38:39], v[6:7], 2, s[8:9]
	v_add_nc_u32_e32 v6, -2, v4
	global_load_b32 v44, v5, s[10:11] scale_offset
	global_load_b64 v[38:39], v[38:39], off
	v_lshl_add_u64 v[46:47], v[6:7], 2, s[8:9]
	global_load_b32 v6, v23, s[10:11] scale_offset
	s_wait_xcnt 0x2
	v_mov_b32_e32 v5, v7
	global_load_b64 v[46:47], v[46:47], off
	v_lshl_add_u64 v[48:49], v[4:5], 2, s[8:9]
	v_add_nc_u32_e32 v5, 10, v11
	global_load_b32 v50, v25, s[10:11] scale_offset
	global_load_b64 v[52:53], v[48:49], off
	global_load_b32 v54, v5, s[10:11] scale_offset
	v_add_nc_u32_e32 v4, 0x58, v4
	s_wait_loadcnt 0x13
	v_pk_fma_f32 v[0:1], v[12:13], v[22:23], v[0:1] op_sel_hi:[1,0,1]
	s_wait_loadcnt 0x12
	s_delay_alu instid0(VALU_DEP_1) | instskip(SKIP_1) | instid1(VALU_DEP_1)
	v_pk_fma_f32 v[0:1], v[14:15], v[24:25], v[0:1] op_sel_hi:[1,0,1]
	s_wait_loadcnt 0x10
	v_pk_fma_f32 v[0:1], v[16:17], v[28:29], v[0:1] op_sel_hi:[1,0,1]
	s_wait_loadcnt 0xe
	s_delay_alu instid0(VALU_DEP_1) | instskip(SKIP_1) | instid1(VALU_DEP_1)
	v_pk_fma_f32 v[0:1], v[18:19], v[30:31], v[0:1] op_sel_hi:[1,0,1]
	;; [unrolled: 5-line block ×5, first 2 shown]
	s_wait_loadcnt 0x0
	v_pk_fma_f32 v[0:1], v[52:53], v[54:55], v[0:1] op_sel_hi:[1,0,1]
	s_and_not1_b32 exec_lo, exec_lo, s4
	s_cbranch_execnz .LBB45_9
; %bb.10:
	s_or_b32 exec_lo, exec_lo, s4
.LBB45_11:
	s_delay_alu instid0(SALU_CYCLE_1)
	s_or_b32 exec_lo, exec_lo, s3
	s_cbranch_execz .LBB45_13
	s_branch .LBB45_18
.LBB45_12:
                                        ; implicit-def: $vgpr1
.LBB45_13:
	v_mov_b32_e32 v1, 0
	s_delay_alu instid0(VALU_DEP_1)
	v_mov_b32_e32 v0, v1
	s_and_saveexec_b32 s3, s2
	s_cbranch_execz .LBB45_17
; %bb.14:
	v_mad_u32 v6, v9, 22, 21
	v_mov_b32_e32 v5, 0
	s_mov_b32 s2, 0
	s_delay_alu instid0(VALU_DEP_1)
	v_dual_mov_b32 v0, v5 :: v_dual_mov_b32 v1, v5
.LBB45_15:                              ; =>This Inner Loop Header: Depth=1
	global_load_b32 v7, v9, s[6:7] scale_offset
	v_subrev_nc_u32_e32 v4, 21, v6
	v_dual_add_nc_u32 v12, -10, v6 :: v_dual_add_nc_u32 v14, -9, v6
	v_subrev_nc_u32_e32 v17, 19, v6
	v_dual_add_nc_u32 v20, -8, v6 :: v_dual_add_nc_u32 v24, -7, v6
	s_delay_alu instid0(VALU_DEP_4)
	v_lshl_add_u64 v[10:11], v[4:5], 2, s[8:9]
	v_subrev_nc_u32_e32 v21, 18, v6
	v_subrev_nc_u32_e32 v25, 17, v6
	v_dual_add_nc_u32 v28, -6, v6 :: v_dual_add_nc_u32 v29, -16, v6
	global_load_b64 v[10:11], v[10:11], off
	s_wait_xcnt 0x1
	v_dual_add_nc_u32 v9, 4, v9 :: v_dual_add_nc_u32 v32, -5, v6
	s_delay_alu instid0(VALU_DEP_1) | instskip(SKIP_3) | instid1(VALU_DEP_1)
	v_cmp_ge_i32_e32 vcc_lo, v9, v8
	s_or_b32 s2, vcc_lo, s2
	s_wait_loadcnt 0x1
	v_subrev_nc_u32_e32 v7, s16, v7
	v_mul_lo_u32 v7, v7, 11
	global_load_b32 v13, v12, s[8:9] scale_offset
	global_load_b32 v4, v7, s[10:11] scale_offset
	s_wait_xcnt 0x1
	v_dual_add_nc_u32 v12, 1, v7 :: v_dual_add_nc_u32 v33, -15, v6
	global_load_b32 v15, v14, s[8:9] scale_offset
	s_wait_xcnt 0x0
	v_add_nc_u32_e32 v14, 2, v7
	global_load_b32 v16, v12, s[10:11] scale_offset
	s_wait_xcnt 0x0
	v_add_nc_u32_e32 v12, -4, v6
	s_clause 0x1
	global_load_b32 v18, v17, s[8:9] scale_offset
	global_load_b32 v19, v20, s[8:9] scale_offset
	s_wait_xcnt 0x1
	v_add_nc_u32_e32 v17, 3, v7
	global_load_b32 v20, v14, s[10:11] scale_offset
	s_wait_xcnt 0x0
	v_add_nc_u32_e32 v14, -14, v6
	s_clause 0x1
	global_load_b32 v22, v21, s[8:9] scale_offset
	;; [unrolled: 8-line block ×6, first 2 shown]
	global_load_b32 v39, v17, s[8:9] scale_offset
	s_wait_xcnt 0x1
	v_add_nc_u32_e32 v14, 8, v7
	global_load_b32 v40, v12, s[10:11] scale_offset
	s_clause 0x1
	global_load_b32 v42, v21, s[8:9] scale_offset
	global_load_b32 v43, v25, s[8:9] scale_offset
	s_wait_xcnt 0x2
	v_dual_add_nc_u32 v12, -1, v6 :: v_dual_add_nc_u32 v17, 9, v7
	global_load_b32 v44, v14, s[10:11] scale_offset
	s_wait_xcnt 0x0
	v_dual_add_nc_u32 v14, -11, v6 :: v_dual_add_nc_u32 v7, 10, v7
	s_clause 0x1
	global_load_b32 v46, v29, s[8:9] scale_offset
	global_load_b32 v47, v12, s[8:9] scale_offset
	;; [unrolled: 1-line block ×3, first 2 shown]
	s_clause 0x1
	global_load_b32 v51, v6, s[8:9] scale_offset
	global_load_b32 v50, v14, s[8:9] scale_offset
	;; [unrolled: 1-line block ×3, first 2 shown]
	s_wait_loadcnt 0x1f
	s_wait_xcnt 0x1
	v_dual_mov_b32 v12, v10 :: v_dual_mov_b32 v14, v11
	v_add_nc_u32_e32 v6, 0x58, v6
	s_wait_loadcnt 0x1d
	s_delay_alu instid0(VALU_DEP_2) | instskip(SKIP_1) | instid1(VALU_DEP_1)
	v_pk_fma_f32 v[0:1], v[12:13], v[4:5], v[0:1] op_sel_hi:[1,0,1]
	s_wait_loadcnt 0x1b
	v_pk_fma_f32 v[0:1], v[14:15], v[16:17], v[0:1] op_sel_hi:[1,0,1]
	s_wait_loadcnt 0x18
	s_delay_alu instid0(VALU_DEP_1) | instskip(SKIP_1) | instid1(VALU_DEP_1)
	v_pk_fma_f32 v[0:1], v[18:19], v[20:21], v[0:1] op_sel_hi:[1,0,1]
	s_wait_loadcnt 0x15
	v_pk_fma_f32 v[0:1], v[22:23], v[24:25], v[0:1] op_sel_hi:[1,0,1]
	s_wait_loadcnt 0x12
	s_delay_alu instid0(VALU_DEP_1) | instskip(SKIP_1) | instid1(VALU_DEP_1)
	;; [unrolled: 5-line block ×4, first 2 shown]
	v_pk_fma_f32 v[0:1], v[42:43], v[44:45], v[0:1] op_sel_hi:[1,0,1]
	s_wait_loadcnt 0x3
	v_pk_fma_f32 v[0:1], v[46:47], v[48:49], v[0:1] op_sel_hi:[1,0,1]
	s_wait_loadcnt 0x0
	s_delay_alu instid0(VALU_DEP_1)
	v_pk_fma_f32 v[0:1], v[50:51], v[52:53], v[0:1] op_sel_hi:[1,0,1]
	s_and_not1_b32 exec_lo, exec_lo, s2
	s_cbranch_execnz .LBB45_15
; %bb.16:
	s_or_b32 exec_lo, exec_lo, s2
.LBB45_17:
	s_delay_alu instid0(SALU_CYCLE_1)
	s_or_b32 exec_lo, exec_lo, s3
.LBB45_18:
	v_mbcnt_lo_u32_b32 v6, -1, 0
	s_mov_b32 s2, -1
	s_delay_alu instid0(VALU_DEP_1) | instskip(SKIP_1) | instid1(VALU_DEP_1)
	v_xor_b32_e32 v7, 1, v6
	v_xor_b32_e32 v4, 2, v6
	v_cmp_gt_i32_e32 vcc_lo, 32, v4
	v_cndmask_b32_e32 v4, v6, v4, vcc_lo
	s_delay_alu instid0(VALU_DEP_4) | instskip(SKIP_2) | instid1(VALU_DEP_2)
	v_cmp_gt_i32_e32 vcc_lo, 32, v7
	v_cndmask_b32_e32 v6, v6, v7, vcc_lo
	v_cmp_eq_u32_e32 vcc_lo, 3, v3
	v_dual_lshlrev_b32 v6, 2, v6 :: v_dual_lshlrev_b32 v5, 2, v4
	ds_bpermute_b32 v4, v5, v0
	ds_bpermute_b32 v5, v5, v1
	s_wait_dscnt 0x0
	v_pk_add_f32 v[0:1], v[0:1], v[4:5]
	ds_bpermute_b32 v4, v6, v0
	ds_bpermute_b32 v5, v6, v1
	s_and_b32 exec_lo, exec_lo, vcc_lo
	s_cbranch_execz .LBB45_23
; %bb.19:
	s_load_b64 s[0:1], s[0:1], 0x38
	s_wait_dscnt 0x0
	v_pk_add_f32 v[0:1], v[0:1], v[4:5]
	v_lshlrev_b32_e32 v2, 1, v2
	s_cmp_eq_f32 s12, 0
	s_cbranch_scc0 .LBB45_21
; %bb.20:
	s_delay_alu instid0(VALU_DEP_1) | instskip(SKIP_3) | instid1(VALU_DEP_2)
	v_ashrrev_i32_e32 v3, 31, v2
	v_pk_mul_f32 v[6:7], s[14:15], v[0:1] op_sel_hi:[0,1]
	s_mov_b32 s2, 0
	s_wait_kmcnt 0x0
	v_lshl_add_u64 v[4:5], v[2:3], 2, s[0:1]
	global_store_b64 v[4:5], v[6:7], off
.LBB45_21:
	s_and_not1_b32 vcc_lo, exec_lo, s2
	s_cbranch_vccnz .LBB45_23
; %bb.22:
	v_ashrrev_i32_e32 v3, 31, v2
	v_pk_mul_f32 v[0:1], s[14:15], v[0:1] op_sel_hi:[0,1]
	s_wait_kmcnt 0x0
	s_delay_alu instid0(VALU_DEP_2)
	v_lshl_add_u64 v[2:3], v[2:3], 2, s[0:1]
	global_load_b64 v[4:5], v[2:3], off
	s_wait_loadcnt 0x0
	v_pk_fma_f32 v[0:1], s[12:13], v[4:5], v[0:1] op_sel_hi:[0,1,1]
	global_store_b64 v[2:3], v[0:1], off
.LBB45_23:
	s_endpgm
	.section	.rodata,"a",@progbits
	.p2align	6, 0x0
	.amdhsa_kernel _ZN9rocsparseL19gebsrmvn_2xn_kernelILj128ELj11ELj4EfEEvi20rocsparse_direction_NS_24const_host_device_scalarIT2_EEPKiS6_PKS3_S8_S4_PS3_21rocsparse_index_base_b
		.amdhsa_group_segment_fixed_size 0
		.amdhsa_private_segment_fixed_size 0
		.amdhsa_kernarg_size 72
		.amdhsa_user_sgpr_count 2
		.amdhsa_user_sgpr_dispatch_ptr 0
		.amdhsa_user_sgpr_queue_ptr 0
		.amdhsa_user_sgpr_kernarg_segment_ptr 1
		.amdhsa_user_sgpr_dispatch_id 0
		.amdhsa_user_sgpr_kernarg_preload_length 0
		.amdhsa_user_sgpr_kernarg_preload_offset 0
		.amdhsa_user_sgpr_private_segment_size 0
		.amdhsa_wavefront_size32 1
		.amdhsa_uses_dynamic_stack 0
		.amdhsa_enable_private_segment 0
		.amdhsa_system_sgpr_workgroup_id_x 1
		.amdhsa_system_sgpr_workgroup_id_y 0
		.amdhsa_system_sgpr_workgroup_id_z 0
		.amdhsa_system_sgpr_workgroup_info 0
		.amdhsa_system_vgpr_workitem_id 0
		.amdhsa_next_free_vgpr 56
		.amdhsa_next_free_sgpr 18
		.amdhsa_named_barrier_count 0
		.amdhsa_reserve_vcc 1
		.amdhsa_float_round_mode_32 0
		.amdhsa_float_round_mode_16_64 0
		.amdhsa_float_denorm_mode_32 3
		.amdhsa_float_denorm_mode_16_64 3
		.amdhsa_fp16_overflow 0
		.amdhsa_memory_ordered 1
		.amdhsa_forward_progress 1
		.amdhsa_inst_pref_size 18
		.amdhsa_round_robin_scheduling 0
		.amdhsa_exception_fp_ieee_invalid_op 0
		.amdhsa_exception_fp_denorm_src 0
		.amdhsa_exception_fp_ieee_div_zero 0
		.amdhsa_exception_fp_ieee_overflow 0
		.amdhsa_exception_fp_ieee_underflow 0
		.amdhsa_exception_fp_ieee_inexact 0
		.amdhsa_exception_int_div_zero 0
	.end_amdhsa_kernel
	.section	.text._ZN9rocsparseL19gebsrmvn_2xn_kernelILj128ELj11ELj4EfEEvi20rocsparse_direction_NS_24const_host_device_scalarIT2_EEPKiS6_PKS3_S8_S4_PS3_21rocsparse_index_base_b,"axG",@progbits,_ZN9rocsparseL19gebsrmvn_2xn_kernelILj128ELj11ELj4EfEEvi20rocsparse_direction_NS_24const_host_device_scalarIT2_EEPKiS6_PKS3_S8_S4_PS3_21rocsparse_index_base_b,comdat
.Lfunc_end45:
	.size	_ZN9rocsparseL19gebsrmvn_2xn_kernelILj128ELj11ELj4EfEEvi20rocsparse_direction_NS_24const_host_device_scalarIT2_EEPKiS6_PKS3_S8_S4_PS3_21rocsparse_index_base_b, .Lfunc_end45-_ZN9rocsparseL19gebsrmvn_2xn_kernelILj128ELj11ELj4EfEEvi20rocsparse_direction_NS_24const_host_device_scalarIT2_EEPKiS6_PKS3_S8_S4_PS3_21rocsparse_index_base_b
                                        ; -- End function
	.set _ZN9rocsparseL19gebsrmvn_2xn_kernelILj128ELj11ELj4EfEEvi20rocsparse_direction_NS_24const_host_device_scalarIT2_EEPKiS6_PKS3_S8_S4_PS3_21rocsparse_index_base_b.num_vgpr, 56
	.set _ZN9rocsparseL19gebsrmvn_2xn_kernelILj128ELj11ELj4EfEEvi20rocsparse_direction_NS_24const_host_device_scalarIT2_EEPKiS6_PKS3_S8_S4_PS3_21rocsparse_index_base_b.num_agpr, 0
	.set _ZN9rocsparseL19gebsrmvn_2xn_kernelILj128ELj11ELj4EfEEvi20rocsparse_direction_NS_24const_host_device_scalarIT2_EEPKiS6_PKS3_S8_S4_PS3_21rocsparse_index_base_b.numbered_sgpr, 18
	.set _ZN9rocsparseL19gebsrmvn_2xn_kernelILj128ELj11ELj4EfEEvi20rocsparse_direction_NS_24const_host_device_scalarIT2_EEPKiS6_PKS3_S8_S4_PS3_21rocsparse_index_base_b.num_named_barrier, 0
	.set _ZN9rocsparseL19gebsrmvn_2xn_kernelILj128ELj11ELj4EfEEvi20rocsparse_direction_NS_24const_host_device_scalarIT2_EEPKiS6_PKS3_S8_S4_PS3_21rocsparse_index_base_b.private_seg_size, 0
	.set _ZN9rocsparseL19gebsrmvn_2xn_kernelILj128ELj11ELj4EfEEvi20rocsparse_direction_NS_24const_host_device_scalarIT2_EEPKiS6_PKS3_S8_S4_PS3_21rocsparse_index_base_b.uses_vcc, 1
	.set _ZN9rocsparseL19gebsrmvn_2xn_kernelILj128ELj11ELj4EfEEvi20rocsparse_direction_NS_24const_host_device_scalarIT2_EEPKiS6_PKS3_S8_S4_PS3_21rocsparse_index_base_b.uses_flat_scratch, 0
	.set _ZN9rocsparseL19gebsrmvn_2xn_kernelILj128ELj11ELj4EfEEvi20rocsparse_direction_NS_24const_host_device_scalarIT2_EEPKiS6_PKS3_S8_S4_PS3_21rocsparse_index_base_b.has_dyn_sized_stack, 0
	.set _ZN9rocsparseL19gebsrmvn_2xn_kernelILj128ELj11ELj4EfEEvi20rocsparse_direction_NS_24const_host_device_scalarIT2_EEPKiS6_PKS3_S8_S4_PS3_21rocsparse_index_base_b.has_recursion, 0
	.set _ZN9rocsparseL19gebsrmvn_2xn_kernelILj128ELj11ELj4EfEEvi20rocsparse_direction_NS_24const_host_device_scalarIT2_EEPKiS6_PKS3_S8_S4_PS3_21rocsparse_index_base_b.has_indirect_call, 0
	.section	.AMDGPU.csdata,"",@progbits
; Kernel info:
; codeLenInByte = 2260
; TotalNumSgprs: 20
; NumVgprs: 56
; ScratchSize: 0
; MemoryBound: 0
; FloatMode: 240
; IeeeMode: 1
; LDSByteSize: 0 bytes/workgroup (compile time only)
; SGPRBlocks: 0
; VGPRBlocks: 3
; NumSGPRsForWavesPerEU: 20
; NumVGPRsForWavesPerEU: 56
; NamedBarCnt: 0
; Occupancy: 16
; WaveLimiterHint : 1
; COMPUTE_PGM_RSRC2:SCRATCH_EN: 0
; COMPUTE_PGM_RSRC2:USER_SGPR: 2
; COMPUTE_PGM_RSRC2:TRAP_HANDLER: 0
; COMPUTE_PGM_RSRC2:TGID_X_EN: 1
; COMPUTE_PGM_RSRC2:TGID_Y_EN: 0
; COMPUTE_PGM_RSRC2:TGID_Z_EN: 0
; COMPUTE_PGM_RSRC2:TIDIG_COMP_CNT: 0
	.section	.text._ZN9rocsparseL19gebsrmvn_2xn_kernelILj128ELj11ELj8EfEEvi20rocsparse_direction_NS_24const_host_device_scalarIT2_EEPKiS6_PKS3_S8_S4_PS3_21rocsparse_index_base_b,"axG",@progbits,_ZN9rocsparseL19gebsrmvn_2xn_kernelILj128ELj11ELj8EfEEvi20rocsparse_direction_NS_24const_host_device_scalarIT2_EEPKiS6_PKS3_S8_S4_PS3_21rocsparse_index_base_b,comdat
	.globl	_ZN9rocsparseL19gebsrmvn_2xn_kernelILj128ELj11ELj8EfEEvi20rocsparse_direction_NS_24const_host_device_scalarIT2_EEPKiS6_PKS3_S8_S4_PS3_21rocsparse_index_base_b ; -- Begin function _ZN9rocsparseL19gebsrmvn_2xn_kernelILj128ELj11ELj8EfEEvi20rocsparse_direction_NS_24const_host_device_scalarIT2_EEPKiS6_PKS3_S8_S4_PS3_21rocsparse_index_base_b
	.p2align	8
	.type	_ZN9rocsparseL19gebsrmvn_2xn_kernelILj128ELj11ELj8EfEEvi20rocsparse_direction_NS_24const_host_device_scalarIT2_EEPKiS6_PKS3_S8_S4_PS3_21rocsparse_index_base_b,@function
_ZN9rocsparseL19gebsrmvn_2xn_kernelILj128ELj11ELj8EfEEvi20rocsparse_direction_NS_24const_host_device_scalarIT2_EEPKiS6_PKS3_S8_S4_PS3_21rocsparse_index_base_b: ; @_ZN9rocsparseL19gebsrmvn_2xn_kernelILj128ELj11ELj8EfEEvi20rocsparse_direction_NS_24const_host_device_scalarIT2_EEPKiS6_PKS3_S8_S4_PS3_21rocsparse_index_base_b
; %bb.0:
	s_clause 0x2
	s_load_b64 s[16:17], s[0:1], 0x40
	s_load_b64 s[14:15], s[0:1], 0x8
	;; [unrolled: 1-line block ×3, first 2 shown]
	s_wait_kmcnt 0x0
	s_bitcmp1_b32 s17, 0
	s_cselect_b32 s2, -1, 0
	s_delay_alu instid0(SALU_CYCLE_1)
	s_and_b32 vcc_lo, exec_lo, s2
	s_xor_b32 s2, s2, -1
	s_cbranch_vccnz .LBB46_2
; %bb.1:
	s_load_b32 s14, s[14:15], 0x0
.LBB46_2:
	s_and_not1_b32 vcc_lo, exec_lo, s2
	s_cbranch_vccnz .LBB46_4
; %bb.3:
	s_load_b32 s12, s[12:13], 0x0
.LBB46_4:
	s_wait_kmcnt 0x0
	s_cmp_eq_f32 s14, 0
	s_cselect_b32 s2, -1, 0
	s_cmp_eq_f32 s12, 1.0
	s_cselect_b32 s3, -1, 0
	s_delay_alu instid0(SALU_CYCLE_1) | instskip(NEXT) | instid1(SALU_CYCLE_1)
	s_and_b32 s2, s2, s3
	s_and_b32 vcc_lo, exec_lo, s2
	s_cbranch_vccnz .LBB46_23
; %bb.5:
	s_load_b64 s[2:3], s[0:1], 0x0
	s_bfe_u32 s4, ttmp6, 0x4000c
	s_and_b32 s5, ttmp6, 15
	s_add_co_i32 s4, s4, 1
	s_getreg_b32 s6, hwreg(HW_REG_IB_STS2, 6, 4)
	s_mul_i32 s4, ttmp9, s4
	v_lshrrev_b32_e32 v1, 3, v0
	s_add_co_i32 s5, s5, s4
	s_cmp_eq_u32 s6, 0
	s_cselect_b32 s4, ttmp9, s5
	s_delay_alu instid0(VALU_DEP_1) | instid1(SALU_CYCLE_1)
	v_lshl_or_b32 v2, s4, 4, v1
	s_wait_kmcnt 0x0
	s_delay_alu instid0(VALU_DEP_1)
	v_cmp_gt_i32_e32 vcc_lo, s2, v2
	s_and_saveexec_b32 s2, vcc_lo
	s_cbranch_execz .LBB46_23
; %bb.6:
	s_load_b256 s[4:11], s[0:1], 0x10
	v_ashrrev_i32_e32 v3, 31, v2
	s_cmp_lg_u32 s3, 0
	s_wait_kmcnt 0x0
	s_delay_alu instid0(VALU_DEP_1)
	v_lshl_add_u64 v[4:5], v[2:3], 2, s[4:5]
	v_and_b32_e32 v3, 7, v0
	global_load_b64 v[4:5], v[4:5], off
	s_wait_loadcnt 0x0
	v_subrev_nc_u32_e32 v0, s16, v4
	v_subrev_nc_u32_e32 v8, s16, v5
	s_delay_alu instid0(VALU_DEP_2) | instskip(NEXT) | instid1(VALU_DEP_1)
	v_add_nc_u32_e32 v9, v0, v3
	v_cmp_lt_i32_e64 s2, v9, v8
	s_cbranch_scc0 .LBB46_12
; %bb.7:
	v_mov_b32_e32 v1, 0
	s_delay_alu instid0(VALU_DEP_1)
	v_mov_b32_e32 v0, v1
	s_and_saveexec_b32 s3, s2
	s_cbranch_execz .LBB46_11
; %bb.8:
	v_mad_u32 v4, v9, 22, 20
	v_dual_mov_b32 v7, 0 :: v_dual_mov_b32 v10, v9
	s_mov_b32 s4, 0
	s_delay_alu instid0(VALU_DEP_1)
	v_dual_mov_b32 v0, v7 :: v_dual_mov_b32 v1, v7
.LBB46_9:                               ; =>This Inner Loop Header: Depth=1
	global_load_b32 v5, v10, s[6:7] scale_offset
	v_subrev_nc_u32_e32 v6, 20, v4
	s_wait_xcnt 0x0
	v_add_nc_u32_e32 v10, 8, v10
	s_delay_alu instid0(VALU_DEP_2) | instskip(SKIP_1) | instid1(VALU_DEP_3)
	v_lshl_add_u64 v[12:13], v[6:7], 2, s[8:9]
	v_subrev_nc_u32_e32 v6, 18, v4
	v_cmp_ge_i32_e32 vcc_lo, v10, v8
	global_load_b64 v[12:13], v[12:13], off
	v_lshl_add_u64 v[14:15], v[6:7], 2, s[8:9]
	s_or_b32 s4, vcc_lo, s4
	global_load_b64 v[14:15], v[14:15], off
	s_wait_loadcnt 0x2
	v_subrev_nc_u32_e32 v5, s16, v5
	s_delay_alu instid0(VALU_DEP_1) | instskip(NEXT) | instid1(VALU_DEP_1)
	v_mul_lo_u32 v11, v5, 11
	v_dual_add_nc_u32 v6, -16, v4 :: v_dual_add_nc_u32 v5, 1, v11
	global_load_b32 v22, v11, s[10:11] scale_offset
	v_lshl_add_u64 v[16:17], v[6:7], 2, s[8:9]
	v_dual_add_nc_u32 v6, -14, v4 :: v_dual_add_nc_u32 v23, 2, v11
	global_load_b32 v24, v5, s[10:11] scale_offset
	s_wait_xcnt 0x0
	v_add_nc_u32_e32 v5, 3, v11
	global_load_b64 v[16:17], v[16:17], off
	v_lshl_add_u64 v[18:19], v[6:7], 2, s[8:9]
	v_add_nc_u32_e32 v6, -12, v4
	s_clause 0x1
	global_load_b32 v28, v23, s[10:11] scale_offset
	global_load_b32 v30, v5, s[10:11] scale_offset
	s_wait_xcnt 0x1
	v_add_nc_u32_e32 v23, 4, v11
	global_load_b64 v[18:19], v[18:19], off
	v_lshl_add_u64 v[20:21], v[6:7], 2, s[8:9]
	s_wait_xcnt 0x1
	v_dual_add_nc_u32 v6, -10, v4 :: v_dual_add_nc_u32 v5, 5, v11
	global_load_b32 v34, v23, s[10:11] scale_offset
	v_add_nc_u32_e32 v25, 9, v11
	global_load_b64 v[20:21], v[20:21], off
	v_lshl_add_u64 v[26:27], v[6:7], 2, s[8:9]
	v_add_nc_u32_e32 v6, -8, v4
	global_load_b32 v36, v5, s[10:11] scale_offset
	s_wait_xcnt 0x0
	v_dual_add_nc_u32 v23, 6, v11 :: v_dual_add_nc_u32 v5, 7, v11
	global_load_b64 v[26:27], v[26:27], off
	v_lshl_add_u64 v[32:33], v[6:7], 2, s[8:9]
	v_add_nc_u32_e32 v6, -6, v4
	global_load_b64 v[32:33], v[32:33], off
	v_lshl_add_u64 v[38:39], v[6:7], 2, s[8:9]
	v_add_nc_u32_e32 v6, -4, v4
	global_load_b32 v40, v23, s[10:11] scale_offset
	global_load_b64 v[42:43], v[38:39], off
	s_wait_xcnt 0x1
	v_add_nc_u32_e32 v23, 8, v11
	s_wait_xcnt 0x0
	v_lshl_add_u64 v[38:39], v[6:7], 2, s[8:9]
	v_add_nc_u32_e32 v6, -2, v4
	global_load_b32 v44, v5, s[10:11] scale_offset
	global_load_b64 v[38:39], v[38:39], off
	v_lshl_add_u64 v[46:47], v[6:7], 2, s[8:9]
	global_load_b32 v6, v23, s[10:11] scale_offset
	s_wait_xcnt 0x2
	v_mov_b32_e32 v5, v7
	global_load_b64 v[46:47], v[46:47], off
	v_lshl_add_u64 v[48:49], v[4:5], 2, s[8:9]
	v_add_nc_u32_e32 v5, 10, v11
	global_load_b32 v50, v25, s[10:11] scale_offset
	global_load_b64 v[52:53], v[48:49], off
	global_load_b32 v54, v5, s[10:11] scale_offset
	v_add_nc_u32_e32 v4, 0xb0, v4
	s_wait_loadcnt 0x13
	v_pk_fma_f32 v[0:1], v[12:13], v[22:23], v[0:1] op_sel_hi:[1,0,1]
	s_wait_loadcnt 0x12
	s_delay_alu instid0(VALU_DEP_1) | instskip(SKIP_1) | instid1(VALU_DEP_1)
	v_pk_fma_f32 v[0:1], v[14:15], v[24:25], v[0:1] op_sel_hi:[1,0,1]
	s_wait_loadcnt 0x10
	v_pk_fma_f32 v[0:1], v[16:17], v[28:29], v[0:1] op_sel_hi:[1,0,1]
	s_wait_loadcnt 0xe
	s_delay_alu instid0(VALU_DEP_1) | instskip(SKIP_1) | instid1(VALU_DEP_1)
	v_pk_fma_f32 v[0:1], v[18:19], v[30:31], v[0:1] op_sel_hi:[1,0,1]
	;; [unrolled: 5-line block ×5, first 2 shown]
	s_wait_loadcnt 0x0
	v_pk_fma_f32 v[0:1], v[52:53], v[54:55], v[0:1] op_sel_hi:[1,0,1]
	s_and_not1_b32 exec_lo, exec_lo, s4
	s_cbranch_execnz .LBB46_9
; %bb.10:
	s_or_b32 exec_lo, exec_lo, s4
.LBB46_11:
	s_delay_alu instid0(SALU_CYCLE_1)
	s_or_b32 exec_lo, exec_lo, s3
	s_cbranch_execz .LBB46_13
	s_branch .LBB46_18
.LBB46_12:
                                        ; implicit-def: $vgpr1
.LBB46_13:
	v_mov_b32_e32 v1, 0
	s_delay_alu instid0(VALU_DEP_1)
	v_mov_b32_e32 v0, v1
	s_and_saveexec_b32 s3, s2
	s_cbranch_execz .LBB46_17
; %bb.14:
	v_mad_u32 v6, v9, 22, 21
	v_mov_b32_e32 v5, 0
	s_mov_b32 s2, 0
	s_delay_alu instid0(VALU_DEP_1)
	v_dual_mov_b32 v0, v5 :: v_dual_mov_b32 v1, v5
.LBB46_15:                              ; =>This Inner Loop Header: Depth=1
	global_load_b32 v7, v9, s[6:7] scale_offset
	v_subrev_nc_u32_e32 v4, 21, v6
	v_dual_add_nc_u32 v12, -10, v6 :: v_dual_add_nc_u32 v14, -9, v6
	v_subrev_nc_u32_e32 v17, 19, v6
	v_dual_add_nc_u32 v20, -8, v6 :: v_dual_add_nc_u32 v24, -7, v6
	s_delay_alu instid0(VALU_DEP_4)
	v_lshl_add_u64 v[10:11], v[4:5], 2, s[8:9]
	v_subrev_nc_u32_e32 v21, 18, v6
	v_subrev_nc_u32_e32 v25, 17, v6
	v_dual_add_nc_u32 v28, -6, v6 :: v_dual_add_nc_u32 v29, -16, v6
	global_load_b64 v[10:11], v[10:11], off
	s_wait_xcnt 0x1
	v_dual_add_nc_u32 v9, 8, v9 :: v_dual_add_nc_u32 v32, -5, v6
	s_delay_alu instid0(VALU_DEP_1) | instskip(SKIP_3) | instid1(VALU_DEP_1)
	v_cmp_ge_i32_e32 vcc_lo, v9, v8
	s_or_b32 s2, vcc_lo, s2
	s_wait_loadcnt 0x1
	v_subrev_nc_u32_e32 v7, s16, v7
	v_mul_lo_u32 v7, v7, 11
	global_load_b32 v13, v12, s[8:9] scale_offset
	global_load_b32 v4, v7, s[10:11] scale_offset
	s_wait_xcnt 0x1
	v_dual_add_nc_u32 v12, 1, v7 :: v_dual_add_nc_u32 v33, -15, v6
	global_load_b32 v15, v14, s[8:9] scale_offset
	s_wait_xcnt 0x0
	v_add_nc_u32_e32 v14, 2, v7
	global_load_b32 v16, v12, s[10:11] scale_offset
	s_wait_xcnt 0x0
	v_add_nc_u32_e32 v12, -4, v6
	s_clause 0x1
	global_load_b32 v18, v17, s[8:9] scale_offset
	global_load_b32 v19, v20, s[8:9] scale_offset
	s_wait_xcnt 0x1
	v_add_nc_u32_e32 v17, 3, v7
	global_load_b32 v20, v14, s[10:11] scale_offset
	s_wait_xcnt 0x0
	v_add_nc_u32_e32 v14, -14, v6
	s_clause 0x1
	global_load_b32 v22, v21, s[8:9] scale_offset
	;; [unrolled: 8-line block ×6, first 2 shown]
	global_load_b32 v39, v17, s[8:9] scale_offset
	s_wait_xcnt 0x1
	v_add_nc_u32_e32 v14, 8, v7
	global_load_b32 v40, v12, s[10:11] scale_offset
	s_clause 0x1
	global_load_b32 v42, v21, s[8:9] scale_offset
	global_load_b32 v43, v25, s[8:9] scale_offset
	s_wait_xcnt 0x2
	v_dual_add_nc_u32 v12, -1, v6 :: v_dual_add_nc_u32 v17, 9, v7
	global_load_b32 v44, v14, s[10:11] scale_offset
	s_wait_xcnt 0x0
	v_dual_add_nc_u32 v14, -11, v6 :: v_dual_add_nc_u32 v7, 10, v7
	s_clause 0x1
	global_load_b32 v46, v29, s[8:9] scale_offset
	global_load_b32 v47, v12, s[8:9] scale_offset
	;; [unrolled: 1-line block ×3, first 2 shown]
	s_clause 0x1
	global_load_b32 v51, v6, s[8:9] scale_offset
	global_load_b32 v50, v14, s[8:9] scale_offset
	;; [unrolled: 1-line block ×3, first 2 shown]
	s_wait_loadcnt 0x1f
	s_wait_xcnt 0x1
	v_dual_mov_b32 v12, v10 :: v_dual_mov_b32 v14, v11
	v_add_nc_u32_e32 v6, 0xb0, v6
	s_wait_loadcnt 0x1d
	s_delay_alu instid0(VALU_DEP_2) | instskip(SKIP_1) | instid1(VALU_DEP_1)
	v_pk_fma_f32 v[0:1], v[12:13], v[4:5], v[0:1] op_sel_hi:[1,0,1]
	s_wait_loadcnt 0x1b
	v_pk_fma_f32 v[0:1], v[14:15], v[16:17], v[0:1] op_sel_hi:[1,0,1]
	s_wait_loadcnt 0x18
	s_delay_alu instid0(VALU_DEP_1) | instskip(SKIP_1) | instid1(VALU_DEP_1)
	v_pk_fma_f32 v[0:1], v[18:19], v[20:21], v[0:1] op_sel_hi:[1,0,1]
	s_wait_loadcnt 0x15
	v_pk_fma_f32 v[0:1], v[22:23], v[24:25], v[0:1] op_sel_hi:[1,0,1]
	s_wait_loadcnt 0x12
	s_delay_alu instid0(VALU_DEP_1) | instskip(SKIP_1) | instid1(VALU_DEP_1)
	;; [unrolled: 5-line block ×4, first 2 shown]
	v_pk_fma_f32 v[0:1], v[42:43], v[44:45], v[0:1] op_sel_hi:[1,0,1]
	s_wait_loadcnt 0x3
	v_pk_fma_f32 v[0:1], v[46:47], v[48:49], v[0:1] op_sel_hi:[1,0,1]
	s_wait_loadcnt 0x0
	s_delay_alu instid0(VALU_DEP_1)
	v_pk_fma_f32 v[0:1], v[50:51], v[52:53], v[0:1] op_sel_hi:[1,0,1]
	s_and_not1_b32 exec_lo, exec_lo, s2
	s_cbranch_execnz .LBB46_15
; %bb.16:
	s_or_b32 exec_lo, exec_lo, s2
.LBB46_17:
	s_delay_alu instid0(SALU_CYCLE_1)
	s_or_b32 exec_lo, exec_lo, s3
.LBB46_18:
	v_mbcnt_lo_u32_b32 v6, -1, 0
	s_mov_b32 s2, -1
	s_delay_alu instid0(VALU_DEP_1) | instskip(SKIP_1) | instid1(VALU_DEP_1)
	v_xor_b32_e32 v7, 2, v6
	v_xor_b32_e32 v4, 4, v6
	v_cmp_gt_i32_e32 vcc_lo, 32, v4
	v_cndmask_b32_e32 v4, v6, v4, vcc_lo
	s_delay_alu instid0(VALU_DEP_4) | instskip(SKIP_1) | instid1(VALU_DEP_1)
	v_cmp_gt_i32_e32 vcc_lo, 32, v7
	v_cndmask_b32_e32 v7, v6, v7, vcc_lo
	v_dual_lshlrev_b32 v7, 2, v7 :: v_dual_lshlrev_b32 v5, 2, v4
	ds_bpermute_b32 v4, v5, v0
	ds_bpermute_b32 v5, v5, v1
	s_wait_dscnt 0x0
	v_pk_add_f32 v[0:1], v[0:1], v[4:5]
	ds_bpermute_b32 v4, v7, v0
	ds_bpermute_b32 v5, v7, v1
	v_xor_b32_e32 v7, 1, v6
	s_delay_alu instid0(VALU_DEP_1) | instskip(SKIP_2) | instid1(VALU_DEP_2)
	v_cmp_gt_i32_e32 vcc_lo, 32, v7
	v_cndmask_b32_e32 v6, v6, v7, vcc_lo
	v_cmp_eq_u32_e32 vcc_lo, 7, v3
	v_lshlrev_b32_e32 v6, 2, v6
	s_wait_dscnt 0x0
	v_pk_add_f32 v[0:1], v[0:1], v[4:5]
	ds_bpermute_b32 v4, v6, v0
	ds_bpermute_b32 v5, v6, v1
	s_and_b32 exec_lo, exec_lo, vcc_lo
	s_cbranch_execz .LBB46_23
; %bb.19:
	s_load_b64 s[0:1], s[0:1], 0x38
	s_wait_dscnt 0x0
	v_pk_add_f32 v[0:1], v[0:1], v[4:5]
	v_lshlrev_b32_e32 v2, 1, v2
	s_cmp_eq_f32 s12, 0
	s_cbranch_scc0 .LBB46_21
; %bb.20:
	s_delay_alu instid0(VALU_DEP_1) | instskip(SKIP_3) | instid1(VALU_DEP_2)
	v_ashrrev_i32_e32 v3, 31, v2
	v_pk_mul_f32 v[6:7], s[14:15], v[0:1] op_sel_hi:[0,1]
	s_mov_b32 s2, 0
	s_wait_kmcnt 0x0
	v_lshl_add_u64 v[4:5], v[2:3], 2, s[0:1]
	global_store_b64 v[4:5], v[6:7], off
.LBB46_21:
	s_and_not1_b32 vcc_lo, exec_lo, s2
	s_cbranch_vccnz .LBB46_23
; %bb.22:
	v_ashrrev_i32_e32 v3, 31, v2
	v_pk_mul_f32 v[0:1], s[14:15], v[0:1] op_sel_hi:[0,1]
	s_wait_kmcnt 0x0
	s_delay_alu instid0(VALU_DEP_2)
	v_lshl_add_u64 v[2:3], v[2:3], 2, s[0:1]
	global_load_b64 v[4:5], v[2:3], off
	s_wait_loadcnt 0x0
	v_pk_fma_f32 v[0:1], s[12:13], v[4:5], v[0:1] op_sel_hi:[0,1,1]
	global_store_b64 v[2:3], v[0:1], off
.LBB46_23:
	s_endpgm
	.section	.rodata,"a",@progbits
	.p2align	6, 0x0
	.amdhsa_kernel _ZN9rocsparseL19gebsrmvn_2xn_kernelILj128ELj11ELj8EfEEvi20rocsparse_direction_NS_24const_host_device_scalarIT2_EEPKiS6_PKS3_S8_S4_PS3_21rocsparse_index_base_b
		.amdhsa_group_segment_fixed_size 0
		.amdhsa_private_segment_fixed_size 0
		.amdhsa_kernarg_size 72
		.amdhsa_user_sgpr_count 2
		.amdhsa_user_sgpr_dispatch_ptr 0
		.amdhsa_user_sgpr_queue_ptr 0
		.amdhsa_user_sgpr_kernarg_segment_ptr 1
		.amdhsa_user_sgpr_dispatch_id 0
		.amdhsa_user_sgpr_kernarg_preload_length 0
		.amdhsa_user_sgpr_kernarg_preload_offset 0
		.amdhsa_user_sgpr_private_segment_size 0
		.amdhsa_wavefront_size32 1
		.amdhsa_uses_dynamic_stack 0
		.amdhsa_enable_private_segment 0
		.amdhsa_system_sgpr_workgroup_id_x 1
		.amdhsa_system_sgpr_workgroup_id_y 0
		.amdhsa_system_sgpr_workgroup_id_z 0
		.amdhsa_system_sgpr_workgroup_info 0
		.amdhsa_system_vgpr_workitem_id 0
		.amdhsa_next_free_vgpr 56
		.amdhsa_next_free_sgpr 18
		.amdhsa_named_barrier_count 0
		.amdhsa_reserve_vcc 1
		.amdhsa_float_round_mode_32 0
		.amdhsa_float_round_mode_16_64 0
		.amdhsa_float_denorm_mode_32 3
		.amdhsa_float_denorm_mode_16_64 3
		.amdhsa_fp16_overflow 0
		.amdhsa_memory_ordered 1
		.amdhsa_forward_progress 1
		.amdhsa_inst_pref_size 19
		.amdhsa_round_robin_scheduling 0
		.amdhsa_exception_fp_ieee_invalid_op 0
		.amdhsa_exception_fp_denorm_src 0
		.amdhsa_exception_fp_ieee_div_zero 0
		.amdhsa_exception_fp_ieee_overflow 0
		.amdhsa_exception_fp_ieee_underflow 0
		.amdhsa_exception_fp_ieee_inexact 0
		.amdhsa_exception_int_div_zero 0
	.end_amdhsa_kernel
	.section	.text._ZN9rocsparseL19gebsrmvn_2xn_kernelILj128ELj11ELj8EfEEvi20rocsparse_direction_NS_24const_host_device_scalarIT2_EEPKiS6_PKS3_S8_S4_PS3_21rocsparse_index_base_b,"axG",@progbits,_ZN9rocsparseL19gebsrmvn_2xn_kernelILj128ELj11ELj8EfEEvi20rocsparse_direction_NS_24const_host_device_scalarIT2_EEPKiS6_PKS3_S8_S4_PS3_21rocsparse_index_base_b,comdat
.Lfunc_end46:
	.size	_ZN9rocsparseL19gebsrmvn_2xn_kernelILj128ELj11ELj8EfEEvi20rocsparse_direction_NS_24const_host_device_scalarIT2_EEPKiS6_PKS3_S8_S4_PS3_21rocsparse_index_base_b, .Lfunc_end46-_ZN9rocsparseL19gebsrmvn_2xn_kernelILj128ELj11ELj8EfEEvi20rocsparse_direction_NS_24const_host_device_scalarIT2_EEPKiS6_PKS3_S8_S4_PS3_21rocsparse_index_base_b
                                        ; -- End function
	.set _ZN9rocsparseL19gebsrmvn_2xn_kernelILj128ELj11ELj8EfEEvi20rocsparse_direction_NS_24const_host_device_scalarIT2_EEPKiS6_PKS3_S8_S4_PS3_21rocsparse_index_base_b.num_vgpr, 56
	.set _ZN9rocsparseL19gebsrmvn_2xn_kernelILj128ELj11ELj8EfEEvi20rocsparse_direction_NS_24const_host_device_scalarIT2_EEPKiS6_PKS3_S8_S4_PS3_21rocsparse_index_base_b.num_agpr, 0
	.set _ZN9rocsparseL19gebsrmvn_2xn_kernelILj128ELj11ELj8EfEEvi20rocsparse_direction_NS_24const_host_device_scalarIT2_EEPKiS6_PKS3_S8_S4_PS3_21rocsparse_index_base_b.numbered_sgpr, 18
	.set _ZN9rocsparseL19gebsrmvn_2xn_kernelILj128ELj11ELj8EfEEvi20rocsparse_direction_NS_24const_host_device_scalarIT2_EEPKiS6_PKS3_S8_S4_PS3_21rocsparse_index_base_b.num_named_barrier, 0
	.set _ZN9rocsparseL19gebsrmvn_2xn_kernelILj128ELj11ELj8EfEEvi20rocsparse_direction_NS_24const_host_device_scalarIT2_EEPKiS6_PKS3_S8_S4_PS3_21rocsparse_index_base_b.private_seg_size, 0
	.set _ZN9rocsparseL19gebsrmvn_2xn_kernelILj128ELj11ELj8EfEEvi20rocsparse_direction_NS_24const_host_device_scalarIT2_EEPKiS6_PKS3_S8_S4_PS3_21rocsparse_index_base_b.uses_vcc, 1
	.set _ZN9rocsparseL19gebsrmvn_2xn_kernelILj128ELj11ELj8EfEEvi20rocsparse_direction_NS_24const_host_device_scalarIT2_EEPKiS6_PKS3_S8_S4_PS3_21rocsparse_index_base_b.uses_flat_scratch, 0
	.set _ZN9rocsparseL19gebsrmvn_2xn_kernelILj128ELj11ELj8EfEEvi20rocsparse_direction_NS_24const_host_device_scalarIT2_EEPKiS6_PKS3_S8_S4_PS3_21rocsparse_index_base_b.has_dyn_sized_stack, 0
	.set _ZN9rocsparseL19gebsrmvn_2xn_kernelILj128ELj11ELj8EfEEvi20rocsparse_direction_NS_24const_host_device_scalarIT2_EEPKiS6_PKS3_S8_S4_PS3_21rocsparse_index_base_b.has_recursion, 0
	.set _ZN9rocsparseL19gebsrmvn_2xn_kernelILj128ELj11ELj8EfEEvi20rocsparse_direction_NS_24const_host_device_scalarIT2_EEPKiS6_PKS3_S8_S4_PS3_21rocsparse_index_base_b.has_indirect_call, 0
	.section	.AMDGPU.csdata,"",@progbits
; Kernel info:
; codeLenInByte = 2308
; TotalNumSgprs: 20
; NumVgprs: 56
; ScratchSize: 0
; MemoryBound: 0
; FloatMode: 240
; IeeeMode: 1
; LDSByteSize: 0 bytes/workgroup (compile time only)
; SGPRBlocks: 0
; VGPRBlocks: 3
; NumSGPRsForWavesPerEU: 20
; NumVGPRsForWavesPerEU: 56
; NamedBarCnt: 0
; Occupancy: 16
; WaveLimiterHint : 1
; COMPUTE_PGM_RSRC2:SCRATCH_EN: 0
; COMPUTE_PGM_RSRC2:USER_SGPR: 2
; COMPUTE_PGM_RSRC2:TRAP_HANDLER: 0
; COMPUTE_PGM_RSRC2:TGID_X_EN: 1
; COMPUTE_PGM_RSRC2:TGID_Y_EN: 0
; COMPUTE_PGM_RSRC2:TGID_Z_EN: 0
; COMPUTE_PGM_RSRC2:TIDIG_COMP_CNT: 0
	.section	.text._ZN9rocsparseL19gebsrmvn_2xn_kernelILj128ELj11ELj16EfEEvi20rocsparse_direction_NS_24const_host_device_scalarIT2_EEPKiS6_PKS3_S8_S4_PS3_21rocsparse_index_base_b,"axG",@progbits,_ZN9rocsparseL19gebsrmvn_2xn_kernelILj128ELj11ELj16EfEEvi20rocsparse_direction_NS_24const_host_device_scalarIT2_EEPKiS6_PKS3_S8_S4_PS3_21rocsparse_index_base_b,comdat
	.globl	_ZN9rocsparseL19gebsrmvn_2xn_kernelILj128ELj11ELj16EfEEvi20rocsparse_direction_NS_24const_host_device_scalarIT2_EEPKiS6_PKS3_S8_S4_PS3_21rocsparse_index_base_b ; -- Begin function _ZN9rocsparseL19gebsrmvn_2xn_kernelILj128ELj11ELj16EfEEvi20rocsparse_direction_NS_24const_host_device_scalarIT2_EEPKiS6_PKS3_S8_S4_PS3_21rocsparse_index_base_b
	.p2align	8
	.type	_ZN9rocsparseL19gebsrmvn_2xn_kernelILj128ELj11ELj16EfEEvi20rocsparse_direction_NS_24const_host_device_scalarIT2_EEPKiS6_PKS3_S8_S4_PS3_21rocsparse_index_base_b,@function
_ZN9rocsparseL19gebsrmvn_2xn_kernelILj128ELj11ELj16EfEEvi20rocsparse_direction_NS_24const_host_device_scalarIT2_EEPKiS6_PKS3_S8_S4_PS3_21rocsparse_index_base_b: ; @_ZN9rocsparseL19gebsrmvn_2xn_kernelILj128ELj11ELj16EfEEvi20rocsparse_direction_NS_24const_host_device_scalarIT2_EEPKiS6_PKS3_S8_S4_PS3_21rocsparse_index_base_b
; %bb.0:
	s_clause 0x2
	s_load_b64 s[16:17], s[0:1], 0x40
	s_load_b64 s[14:15], s[0:1], 0x8
	;; [unrolled: 1-line block ×3, first 2 shown]
	s_wait_kmcnt 0x0
	s_bitcmp1_b32 s17, 0
	s_cselect_b32 s2, -1, 0
	s_delay_alu instid0(SALU_CYCLE_1)
	s_and_b32 vcc_lo, exec_lo, s2
	s_xor_b32 s2, s2, -1
	s_cbranch_vccnz .LBB47_2
; %bb.1:
	s_load_b32 s14, s[14:15], 0x0
.LBB47_2:
	s_and_not1_b32 vcc_lo, exec_lo, s2
	s_cbranch_vccnz .LBB47_4
; %bb.3:
	s_load_b32 s12, s[12:13], 0x0
.LBB47_4:
	s_wait_kmcnt 0x0
	s_cmp_eq_f32 s14, 0
	s_cselect_b32 s2, -1, 0
	s_cmp_eq_f32 s12, 1.0
	s_cselect_b32 s3, -1, 0
	s_delay_alu instid0(SALU_CYCLE_1) | instskip(NEXT) | instid1(SALU_CYCLE_1)
	s_and_b32 s2, s2, s3
	s_and_b32 vcc_lo, exec_lo, s2
	s_cbranch_vccnz .LBB47_23
; %bb.5:
	s_load_b64 s[2:3], s[0:1], 0x0
	s_bfe_u32 s4, ttmp6, 0x4000c
	s_and_b32 s5, ttmp6, 15
	s_add_co_i32 s4, s4, 1
	s_getreg_b32 s6, hwreg(HW_REG_IB_STS2, 6, 4)
	s_mul_i32 s4, ttmp9, s4
	v_lshrrev_b32_e32 v1, 4, v0
	s_add_co_i32 s5, s5, s4
	s_cmp_eq_u32 s6, 0
	s_cselect_b32 s4, ttmp9, s5
	s_delay_alu instid0(VALU_DEP_1) | instid1(SALU_CYCLE_1)
	v_lshl_or_b32 v2, s4, 3, v1
	s_wait_kmcnt 0x0
	s_delay_alu instid0(VALU_DEP_1)
	v_cmp_gt_i32_e32 vcc_lo, s2, v2
	s_and_saveexec_b32 s2, vcc_lo
	s_cbranch_execz .LBB47_23
; %bb.6:
	s_load_b256 s[4:11], s[0:1], 0x10
	v_ashrrev_i32_e32 v3, 31, v2
	s_cmp_lg_u32 s3, 0
	s_wait_kmcnt 0x0
	s_delay_alu instid0(VALU_DEP_1)
	v_lshl_add_u64 v[4:5], v[2:3], 2, s[4:5]
	v_and_b32_e32 v3, 15, v0
	global_load_b64 v[4:5], v[4:5], off
	s_wait_loadcnt 0x0
	v_subrev_nc_u32_e32 v0, s16, v4
	v_subrev_nc_u32_e32 v8, s16, v5
	s_delay_alu instid0(VALU_DEP_2) | instskip(NEXT) | instid1(VALU_DEP_1)
	v_add_nc_u32_e32 v9, v0, v3
	v_cmp_lt_i32_e64 s2, v9, v8
	s_cbranch_scc0 .LBB47_12
; %bb.7:
	v_mov_b32_e32 v1, 0
	s_delay_alu instid0(VALU_DEP_1)
	v_mov_b32_e32 v0, v1
	s_and_saveexec_b32 s3, s2
	s_cbranch_execz .LBB47_11
; %bb.8:
	v_mad_u32 v4, v9, 22, 20
	v_dual_mov_b32 v7, 0 :: v_dual_mov_b32 v10, v9
	s_mov_b32 s4, 0
	s_delay_alu instid0(VALU_DEP_1)
	v_dual_mov_b32 v0, v7 :: v_dual_mov_b32 v1, v7
.LBB47_9:                               ; =>This Inner Loop Header: Depth=1
	global_load_b32 v5, v10, s[6:7] scale_offset
	v_subrev_nc_u32_e32 v6, 20, v4
	s_wait_xcnt 0x0
	v_add_nc_u32_e32 v10, 16, v10
	s_delay_alu instid0(VALU_DEP_2) | instskip(SKIP_1) | instid1(VALU_DEP_3)
	v_lshl_add_u64 v[12:13], v[6:7], 2, s[8:9]
	v_subrev_nc_u32_e32 v6, 18, v4
	v_cmp_ge_i32_e32 vcc_lo, v10, v8
	global_load_b64 v[12:13], v[12:13], off
	v_lshl_add_u64 v[14:15], v[6:7], 2, s[8:9]
	s_or_b32 s4, vcc_lo, s4
	global_load_b64 v[14:15], v[14:15], off
	s_wait_loadcnt 0x2
	v_subrev_nc_u32_e32 v5, s16, v5
	s_delay_alu instid0(VALU_DEP_1) | instskip(NEXT) | instid1(VALU_DEP_1)
	v_mul_lo_u32 v11, v5, 11
	v_dual_add_nc_u32 v6, -16, v4 :: v_dual_add_nc_u32 v5, 1, v11
	global_load_b32 v22, v11, s[10:11] scale_offset
	v_lshl_add_u64 v[16:17], v[6:7], 2, s[8:9]
	v_dual_add_nc_u32 v6, -14, v4 :: v_dual_add_nc_u32 v23, 2, v11
	global_load_b32 v24, v5, s[10:11] scale_offset
	s_wait_xcnt 0x0
	v_add_nc_u32_e32 v5, 3, v11
	global_load_b64 v[16:17], v[16:17], off
	v_lshl_add_u64 v[18:19], v[6:7], 2, s[8:9]
	v_add_nc_u32_e32 v6, -12, v4
	s_clause 0x1
	global_load_b32 v28, v23, s[10:11] scale_offset
	global_load_b32 v30, v5, s[10:11] scale_offset
	s_wait_xcnt 0x1
	v_add_nc_u32_e32 v23, 4, v11
	global_load_b64 v[18:19], v[18:19], off
	v_lshl_add_u64 v[20:21], v[6:7], 2, s[8:9]
	s_wait_xcnt 0x1
	v_dual_add_nc_u32 v6, -10, v4 :: v_dual_add_nc_u32 v5, 5, v11
	global_load_b32 v34, v23, s[10:11] scale_offset
	v_add_nc_u32_e32 v25, 9, v11
	global_load_b64 v[20:21], v[20:21], off
	v_lshl_add_u64 v[26:27], v[6:7], 2, s[8:9]
	v_add_nc_u32_e32 v6, -8, v4
	global_load_b32 v36, v5, s[10:11] scale_offset
	s_wait_xcnt 0x0
	v_dual_add_nc_u32 v23, 6, v11 :: v_dual_add_nc_u32 v5, 7, v11
	global_load_b64 v[26:27], v[26:27], off
	v_lshl_add_u64 v[32:33], v[6:7], 2, s[8:9]
	v_add_nc_u32_e32 v6, -6, v4
	global_load_b64 v[32:33], v[32:33], off
	v_lshl_add_u64 v[38:39], v[6:7], 2, s[8:9]
	v_add_nc_u32_e32 v6, -4, v4
	global_load_b32 v40, v23, s[10:11] scale_offset
	global_load_b64 v[42:43], v[38:39], off
	s_wait_xcnt 0x1
	v_add_nc_u32_e32 v23, 8, v11
	s_wait_xcnt 0x0
	v_lshl_add_u64 v[38:39], v[6:7], 2, s[8:9]
	v_add_nc_u32_e32 v6, -2, v4
	global_load_b32 v44, v5, s[10:11] scale_offset
	global_load_b64 v[38:39], v[38:39], off
	v_lshl_add_u64 v[46:47], v[6:7], 2, s[8:9]
	global_load_b32 v6, v23, s[10:11] scale_offset
	s_wait_xcnt 0x2
	v_mov_b32_e32 v5, v7
	global_load_b64 v[46:47], v[46:47], off
	v_lshl_add_u64 v[48:49], v[4:5], 2, s[8:9]
	v_add_nc_u32_e32 v5, 10, v11
	global_load_b32 v50, v25, s[10:11] scale_offset
	global_load_b64 v[52:53], v[48:49], off
	global_load_b32 v54, v5, s[10:11] scale_offset
	v_add_nc_u32_e32 v4, 0x160, v4
	s_wait_loadcnt 0x13
	v_pk_fma_f32 v[0:1], v[12:13], v[22:23], v[0:1] op_sel_hi:[1,0,1]
	s_wait_loadcnt 0x12
	s_delay_alu instid0(VALU_DEP_1) | instskip(SKIP_1) | instid1(VALU_DEP_1)
	v_pk_fma_f32 v[0:1], v[14:15], v[24:25], v[0:1] op_sel_hi:[1,0,1]
	s_wait_loadcnt 0x10
	v_pk_fma_f32 v[0:1], v[16:17], v[28:29], v[0:1] op_sel_hi:[1,0,1]
	s_wait_loadcnt 0xe
	s_delay_alu instid0(VALU_DEP_1) | instskip(SKIP_1) | instid1(VALU_DEP_1)
	v_pk_fma_f32 v[0:1], v[18:19], v[30:31], v[0:1] op_sel_hi:[1,0,1]
	;; [unrolled: 5-line block ×5, first 2 shown]
	s_wait_loadcnt 0x0
	v_pk_fma_f32 v[0:1], v[52:53], v[54:55], v[0:1] op_sel_hi:[1,0,1]
	s_and_not1_b32 exec_lo, exec_lo, s4
	s_cbranch_execnz .LBB47_9
; %bb.10:
	s_or_b32 exec_lo, exec_lo, s4
.LBB47_11:
	s_delay_alu instid0(SALU_CYCLE_1)
	s_or_b32 exec_lo, exec_lo, s3
	s_cbranch_execz .LBB47_13
	s_branch .LBB47_18
.LBB47_12:
                                        ; implicit-def: $vgpr1
.LBB47_13:
	v_mov_b32_e32 v1, 0
	s_delay_alu instid0(VALU_DEP_1)
	v_mov_b32_e32 v0, v1
	s_and_saveexec_b32 s3, s2
	s_cbranch_execz .LBB47_17
; %bb.14:
	v_mad_u32 v6, v9, 22, 21
	v_mov_b32_e32 v5, 0
	s_mov_b32 s2, 0
	s_delay_alu instid0(VALU_DEP_1)
	v_dual_mov_b32 v0, v5 :: v_dual_mov_b32 v1, v5
.LBB47_15:                              ; =>This Inner Loop Header: Depth=1
	global_load_b32 v7, v9, s[6:7] scale_offset
	v_subrev_nc_u32_e32 v4, 21, v6
	v_dual_add_nc_u32 v12, -10, v6 :: v_dual_add_nc_u32 v14, -9, v6
	v_subrev_nc_u32_e32 v17, 19, v6
	v_dual_add_nc_u32 v20, -8, v6 :: v_dual_add_nc_u32 v24, -7, v6
	s_delay_alu instid0(VALU_DEP_4)
	v_lshl_add_u64 v[10:11], v[4:5], 2, s[8:9]
	v_subrev_nc_u32_e32 v21, 18, v6
	v_subrev_nc_u32_e32 v25, 17, v6
	v_dual_add_nc_u32 v28, -6, v6 :: v_dual_add_nc_u32 v29, -16, v6
	global_load_b64 v[10:11], v[10:11], off
	s_wait_xcnt 0x1
	v_dual_add_nc_u32 v9, 16, v9 :: v_dual_add_nc_u32 v32, -5, v6
	s_delay_alu instid0(VALU_DEP_1) | instskip(SKIP_3) | instid1(VALU_DEP_1)
	v_cmp_ge_i32_e32 vcc_lo, v9, v8
	s_or_b32 s2, vcc_lo, s2
	s_wait_loadcnt 0x1
	v_subrev_nc_u32_e32 v7, s16, v7
	v_mul_lo_u32 v7, v7, 11
	global_load_b32 v13, v12, s[8:9] scale_offset
	global_load_b32 v4, v7, s[10:11] scale_offset
	s_wait_xcnt 0x1
	v_dual_add_nc_u32 v12, 1, v7 :: v_dual_add_nc_u32 v33, -15, v6
	global_load_b32 v15, v14, s[8:9] scale_offset
	s_wait_xcnt 0x0
	v_add_nc_u32_e32 v14, 2, v7
	global_load_b32 v16, v12, s[10:11] scale_offset
	s_wait_xcnt 0x0
	v_add_nc_u32_e32 v12, -4, v6
	s_clause 0x1
	global_load_b32 v18, v17, s[8:9] scale_offset
	global_load_b32 v19, v20, s[8:9] scale_offset
	s_wait_xcnt 0x1
	v_add_nc_u32_e32 v17, 3, v7
	global_load_b32 v20, v14, s[10:11] scale_offset
	s_wait_xcnt 0x0
	v_add_nc_u32_e32 v14, -14, v6
	s_clause 0x1
	global_load_b32 v22, v21, s[8:9] scale_offset
	;; [unrolled: 8-line block ×6, first 2 shown]
	global_load_b32 v39, v17, s[8:9] scale_offset
	s_wait_xcnt 0x1
	v_add_nc_u32_e32 v14, 8, v7
	global_load_b32 v40, v12, s[10:11] scale_offset
	s_clause 0x1
	global_load_b32 v42, v21, s[8:9] scale_offset
	global_load_b32 v43, v25, s[8:9] scale_offset
	s_wait_xcnt 0x2
	v_dual_add_nc_u32 v12, -1, v6 :: v_dual_add_nc_u32 v17, 9, v7
	global_load_b32 v44, v14, s[10:11] scale_offset
	s_wait_xcnt 0x0
	v_dual_add_nc_u32 v14, -11, v6 :: v_dual_add_nc_u32 v7, 10, v7
	s_clause 0x1
	global_load_b32 v46, v29, s[8:9] scale_offset
	global_load_b32 v47, v12, s[8:9] scale_offset
	;; [unrolled: 1-line block ×3, first 2 shown]
	s_clause 0x1
	global_load_b32 v51, v6, s[8:9] scale_offset
	global_load_b32 v50, v14, s[8:9] scale_offset
	global_load_b32 v52, v7, s[10:11] scale_offset
	s_wait_loadcnt 0x1f
	s_wait_xcnt 0x1
	v_dual_mov_b32 v12, v10 :: v_dual_mov_b32 v14, v11
	v_add_nc_u32_e32 v6, 0x160, v6
	s_wait_loadcnt 0x1d
	s_delay_alu instid0(VALU_DEP_2) | instskip(SKIP_1) | instid1(VALU_DEP_1)
	v_pk_fma_f32 v[0:1], v[12:13], v[4:5], v[0:1] op_sel_hi:[1,0,1]
	s_wait_loadcnt 0x1b
	v_pk_fma_f32 v[0:1], v[14:15], v[16:17], v[0:1] op_sel_hi:[1,0,1]
	s_wait_loadcnt 0x18
	s_delay_alu instid0(VALU_DEP_1) | instskip(SKIP_1) | instid1(VALU_DEP_1)
	v_pk_fma_f32 v[0:1], v[18:19], v[20:21], v[0:1] op_sel_hi:[1,0,1]
	s_wait_loadcnt 0x15
	v_pk_fma_f32 v[0:1], v[22:23], v[24:25], v[0:1] op_sel_hi:[1,0,1]
	s_wait_loadcnt 0x12
	s_delay_alu instid0(VALU_DEP_1) | instskip(SKIP_1) | instid1(VALU_DEP_1)
	;; [unrolled: 5-line block ×4, first 2 shown]
	v_pk_fma_f32 v[0:1], v[42:43], v[44:45], v[0:1] op_sel_hi:[1,0,1]
	s_wait_loadcnt 0x3
	v_pk_fma_f32 v[0:1], v[46:47], v[48:49], v[0:1] op_sel_hi:[1,0,1]
	s_wait_loadcnt 0x0
	s_delay_alu instid0(VALU_DEP_1)
	v_pk_fma_f32 v[0:1], v[50:51], v[52:53], v[0:1] op_sel_hi:[1,0,1]
	s_and_not1_b32 exec_lo, exec_lo, s2
	s_cbranch_execnz .LBB47_15
; %bb.16:
	s_or_b32 exec_lo, exec_lo, s2
.LBB47_17:
	s_delay_alu instid0(SALU_CYCLE_1)
	s_or_b32 exec_lo, exec_lo, s3
.LBB47_18:
	v_mbcnt_lo_u32_b32 v6, -1, 0
	s_mov_b32 s2, -1
	s_delay_alu instid0(VALU_DEP_1) | instskip(SKIP_1) | instid1(VALU_DEP_1)
	v_xor_b32_e32 v7, 4, v6
	v_xor_b32_e32 v4, 8, v6
	v_cmp_gt_i32_e32 vcc_lo, 32, v4
	v_cndmask_b32_e32 v4, v6, v4, vcc_lo
	s_delay_alu instid0(VALU_DEP_4) | instskip(SKIP_1) | instid1(VALU_DEP_1)
	v_cmp_gt_i32_e32 vcc_lo, 32, v7
	v_cndmask_b32_e32 v7, v6, v7, vcc_lo
	v_dual_lshlrev_b32 v7, 2, v7 :: v_dual_lshlrev_b32 v5, 2, v4
	ds_bpermute_b32 v4, v5, v0
	ds_bpermute_b32 v5, v5, v1
	s_wait_dscnt 0x0
	v_pk_add_f32 v[0:1], v[0:1], v[4:5]
	ds_bpermute_b32 v4, v7, v0
	ds_bpermute_b32 v5, v7, v1
	v_xor_b32_e32 v7, 2, v6
	s_delay_alu instid0(VALU_DEP_1) | instskip(SKIP_1) | instid1(VALU_DEP_1)
	v_cmp_gt_i32_e32 vcc_lo, 32, v7
	v_cndmask_b32_e32 v7, v6, v7, vcc_lo
	v_lshlrev_b32_e32 v7, 2, v7
	s_wait_dscnt 0x0
	v_pk_add_f32 v[0:1], v[0:1], v[4:5]
	ds_bpermute_b32 v4, v7, v0
	ds_bpermute_b32 v5, v7, v1
	v_xor_b32_e32 v7, 1, v6
	s_delay_alu instid0(VALU_DEP_1) | instskip(SKIP_2) | instid1(VALU_DEP_2)
	v_cmp_gt_i32_e32 vcc_lo, 32, v7
	v_cndmask_b32_e32 v6, v6, v7, vcc_lo
	v_cmp_eq_u32_e32 vcc_lo, 15, v3
	v_lshlrev_b32_e32 v6, 2, v6
	s_wait_dscnt 0x0
	v_pk_add_f32 v[0:1], v[0:1], v[4:5]
	ds_bpermute_b32 v4, v6, v0
	ds_bpermute_b32 v5, v6, v1
	s_and_b32 exec_lo, exec_lo, vcc_lo
	s_cbranch_execz .LBB47_23
; %bb.19:
	s_load_b64 s[0:1], s[0:1], 0x38
	s_wait_dscnt 0x0
	v_pk_add_f32 v[0:1], v[0:1], v[4:5]
	v_lshlrev_b32_e32 v2, 1, v2
	s_cmp_eq_f32 s12, 0
	s_cbranch_scc0 .LBB47_21
; %bb.20:
	s_delay_alu instid0(VALU_DEP_1) | instskip(SKIP_3) | instid1(VALU_DEP_2)
	v_ashrrev_i32_e32 v3, 31, v2
	v_pk_mul_f32 v[6:7], s[14:15], v[0:1] op_sel_hi:[0,1]
	s_mov_b32 s2, 0
	s_wait_kmcnt 0x0
	v_lshl_add_u64 v[4:5], v[2:3], 2, s[0:1]
	global_store_b64 v[4:5], v[6:7], off
.LBB47_21:
	s_and_not1_b32 vcc_lo, exec_lo, s2
	s_cbranch_vccnz .LBB47_23
; %bb.22:
	v_ashrrev_i32_e32 v3, 31, v2
	v_pk_mul_f32 v[0:1], s[14:15], v[0:1] op_sel_hi:[0,1]
	s_wait_kmcnt 0x0
	s_delay_alu instid0(VALU_DEP_2)
	v_lshl_add_u64 v[2:3], v[2:3], 2, s[0:1]
	global_load_b64 v[4:5], v[2:3], off
	s_wait_loadcnt 0x0
	v_pk_fma_f32 v[0:1], s[12:13], v[4:5], v[0:1] op_sel_hi:[0,1,1]
	global_store_b64 v[2:3], v[0:1], off
.LBB47_23:
	s_endpgm
	.section	.rodata,"a",@progbits
	.p2align	6, 0x0
	.amdhsa_kernel _ZN9rocsparseL19gebsrmvn_2xn_kernelILj128ELj11ELj16EfEEvi20rocsparse_direction_NS_24const_host_device_scalarIT2_EEPKiS6_PKS3_S8_S4_PS3_21rocsparse_index_base_b
		.amdhsa_group_segment_fixed_size 0
		.amdhsa_private_segment_fixed_size 0
		.amdhsa_kernarg_size 72
		.amdhsa_user_sgpr_count 2
		.amdhsa_user_sgpr_dispatch_ptr 0
		.amdhsa_user_sgpr_queue_ptr 0
		.amdhsa_user_sgpr_kernarg_segment_ptr 1
		.amdhsa_user_sgpr_dispatch_id 0
		.amdhsa_user_sgpr_kernarg_preload_length 0
		.amdhsa_user_sgpr_kernarg_preload_offset 0
		.amdhsa_user_sgpr_private_segment_size 0
		.amdhsa_wavefront_size32 1
		.amdhsa_uses_dynamic_stack 0
		.amdhsa_enable_private_segment 0
		.amdhsa_system_sgpr_workgroup_id_x 1
		.amdhsa_system_sgpr_workgroup_id_y 0
		.amdhsa_system_sgpr_workgroup_id_z 0
		.amdhsa_system_sgpr_workgroup_info 0
		.amdhsa_system_vgpr_workitem_id 0
		.amdhsa_next_free_vgpr 56
		.amdhsa_next_free_sgpr 18
		.amdhsa_named_barrier_count 0
		.amdhsa_reserve_vcc 1
		.amdhsa_float_round_mode_32 0
		.amdhsa_float_round_mode_16_64 0
		.amdhsa_float_denorm_mode_32 3
		.amdhsa_float_denorm_mode_16_64 3
		.amdhsa_fp16_overflow 0
		.amdhsa_memory_ordered 1
		.amdhsa_forward_progress 1
		.amdhsa_inst_pref_size 19
		.amdhsa_round_robin_scheduling 0
		.amdhsa_exception_fp_ieee_invalid_op 0
		.amdhsa_exception_fp_denorm_src 0
		.amdhsa_exception_fp_ieee_div_zero 0
		.amdhsa_exception_fp_ieee_overflow 0
		.amdhsa_exception_fp_ieee_underflow 0
		.amdhsa_exception_fp_ieee_inexact 0
		.amdhsa_exception_int_div_zero 0
	.end_amdhsa_kernel
	.section	.text._ZN9rocsparseL19gebsrmvn_2xn_kernelILj128ELj11ELj16EfEEvi20rocsparse_direction_NS_24const_host_device_scalarIT2_EEPKiS6_PKS3_S8_S4_PS3_21rocsparse_index_base_b,"axG",@progbits,_ZN9rocsparseL19gebsrmvn_2xn_kernelILj128ELj11ELj16EfEEvi20rocsparse_direction_NS_24const_host_device_scalarIT2_EEPKiS6_PKS3_S8_S4_PS3_21rocsparse_index_base_b,comdat
.Lfunc_end47:
	.size	_ZN9rocsparseL19gebsrmvn_2xn_kernelILj128ELj11ELj16EfEEvi20rocsparse_direction_NS_24const_host_device_scalarIT2_EEPKiS6_PKS3_S8_S4_PS3_21rocsparse_index_base_b, .Lfunc_end47-_ZN9rocsparseL19gebsrmvn_2xn_kernelILj128ELj11ELj16EfEEvi20rocsparse_direction_NS_24const_host_device_scalarIT2_EEPKiS6_PKS3_S8_S4_PS3_21rocsparse_index_base_b
                                        ; -- End function
	.set _ZN9rocsparseL19gebsrmvn_2xn_kernelILj128ELj11ELj16EfEEvi20rocsparse_direction_NS_24const_host_device_scalarIT2_EEPKiS6_PKS3_S8_S4_PS3_21rocsparse_index_base_b.num_vgpr, 56
	.set _ZN9rocsparseL19gebsrmvn_2xn_kernelILj128ELj11ELj16EfEEvi20rocsparse_direction_NS_24const_host_device_scalarIT2_EEPKiS6_PKS3_S8_S4_PS3_21rocsparse_index_base_b.num_agpr, 0
	.set _ZN9rocsparseL19gebsrmvn_2xn_kernelILj128ELj11ELj16EfEEvi20rocsparse_direction_NS_24const_host_device_scalarIT2_EEPKiS6_PKS3_S8_S4_PS3_21rocsparse_index_base_b.numbered_sgpr, 18
	.set _ZN9rocsparseL19gebsrmvn_2xn_kernelILj128ELj11ELj16EfEEvi20rocsparse_direction_NS_24const_host_device_scalarIT2_EEPKiS6_PKS3_S8_S4_PS3_21rocsparse_index_base_b.num_named_barrier, 0
	.set _ZN9rocsparseL19gebsrmvn_2xn_kernelILj128ELj11ELj16EfEEvi20rocsparse_direction_NS_24const_host_device_scalarIT2_EEPKiS6_PKS3_S8_S4_PS3_21rocsparse_index_base_b.private_seg_size, 0
	.set _ZN9rocsparseL19gebsrmvn_2xn_kernelILj128ELj11ELj16EfEEvi20rocsparse_direction_NS_24const_host_device_scalarIT2_EEPKiS6_PKS3_S8_S4_PS3_21rocsparse_index_base_b.uses_vcc, 1
	.set _ZN9rocsparseL19gebsrmvn_2xn_kernelILj128ELj11ELj16EfEEvi20rocsparse_direction_NS_24const_host_device_scalarIT2_EEPKiS6_PKS3_S8_S4_PS3_21rocsparse_index_base_b.uses_flat_scratch, 0
	.set _ZN9rocsparseL19gebsrmvn_2xn_kernelILj128ELj11ELj16EfEEvi20rocsparse_direction_NS_24const_host_device_scalarIT2_EEPKiS6_PKS3_S8_S4_PS3_21rocsparse_index_base_b.has_dyn_sized_stack, 0
	.set _ZN9rocsparseL19gebsrmvn_2xn_kernelILj128ELj11ELj16EfEEvi20rocsparse_direction_NS_24const_host_device_scalarIT2_EEPKiS6_PKS3_S8_S4_PS3_21rocsparse_index_base_b.has_recursion, 0
	.set _ZN9rocsparseL19gebsrmvn_2xn_kernelILj128ELj11ELj16EfEEvi20rocsparse_direction_NS_24const_host_device_scalarIT2_EEPKiS6_PKS3_S8_S4_PS3_21rocsparse_index_base_b.has_indirect_call, 0
	.section	.AMDGPU.csdata,"",@progbits
; Kernel info:
; codeLenInByte = 2356
; TotalNumSgprs: 20
; NumVgprs: 56
; ScratchSize: 0
; MemoryBound: 0
; FloatMode: 240
; IeeeMode: 1
; LDSByteSize: 0 bytes/workgroup (compile time only)
; SGPRBlocks: 0
; VGPRBlocks: 3
; NumSGPRsForWavesPerEU: 20
; NumVGPRsForWavesPerEU: 56
; NamedBarCnt: 0
; Occupancy: 16
; WaveLimiterHint : 1
; COMPUTE_PGM_RSRC2:SCRATCH_EN: 0
; COMPUTE_PGM_RSRC2:USER_SGPR: 2
; COMPUTE_PGM_RSRC2:TRAP_HANDLER: 0
; COMPUTE_PGM_RSRC2:TGID_X_EN: 1
; COMPUTE_PGM_RSRC2:TGID_Y_EN: 0
; COMPUTE_PGM_RSRC2:TGID_Z_EN: 0
; COMPUTE_PGM_RSRC2:TIDIG_COMP_CNT: 0
	.section	.text._ZN9rocsparseL19gebsrmvn_2xn_kernelILj128ELj11ELj32EfEEvi20rocsparse_direction_NS_24const_host_device_scalarIT2_EEPKiS6_PKS3_S8_S4_PS3_21rocsparse_index_base_b,"axG",@progbits,_ZN9rocsparseL19gebsrmvn_2xn_kernelILj128ELj11ELj32EfEEvi20rocsparse_direction_NS_24const_host_device_scalarIT2_EEPKiS6_PKS3_S8_S4_PS3_21rocsparse_index_base_b,comdat
	.globl	_ZN9rocsparseL19gebsrmvn_2xn_kernelILj128ELj11ELj32EfEEvi20rocsparse_direction_NS_24const_host_device_scalarIT2_EEPKiS6_PKS3_S8_S4_PS3_21rocsparse_index_base_b ; -- Begin function _ZN9rocsparseL19gebsrmvn_2xn_kernelILj128ELj11ELj32EfEEvi20rocsparse_direction_NS_24const_host_device_scalarIT2_EEPKiS6_PKS3_S8_S4_PS3_21rocsparse_index_base_b
	.p2align	8
	.type	_ZN9rocsparseL19gebsrmvn_2xn_kernelILj128ELj11ELj32EfEEvi20rocsparse_direction_NS_24const_host_device_scalarIT2_EEPKiS6_PKS3_S8_S4_PS3_21rocsparse_index_base_b,@function
_ZN9rocsparseL19gebsrmvn_2xn_kernelILj128ELj11ELj32EfEEvi20rocsparse_direction_NS_24const_host_device_scalarIT2_EEPKiS6_PKS3_S8_S4_PS3_21rocsparse_index_base_b: ; @_ZN9rocsparseL19gebsrmvn_2xn_kernelILj128ELj11ELj32EfEEvi20rocsparse_direction_NS_24const_host_device_scalarIT2_EEPKiS6_PKS3_S8_S4_PS3_21rocsparse_index_base_b
; %bb.0:
	s_clause 0x2
	s_load_b64 s[16:17], s[0:1], 0x40
	s_load_b64 s[14:15], s[0:1], 0x8
	;; [unrolled: 1-line block ×3, first 2 shown]
	s_wait_kmcnt 0x0
	s_bitcmp1_b32 s17, 0
	s_cselect_b32 s2, -1, 0
	s_delay_alu instid0(SALU_CYCLE_1)
	s_and_b32 vcc_lo, exec_lo, s2
	s_xor_b32 s2, s2, -1
	s_cbranch_vccnz .LBB48_2
; %bb.1:
	s_load_b32 s14, s[14:15], 0x0
.LBB48_2:
	s_and_not1_b32 vcc_lo, exec_lo, s2
	s_cbranch_vccnz .LBB48_4
; %bb.3:
	s_load_b32 s12, s[12:13], 0x0
.LBB48_4:
	s_wait_kmcnt 0x0
	s_cmp_eq_f32 s14, 0
	s_cselect_b32 s2, -1, 0
	s_cmp_eq_f32 s12, 1.0
	s_cselect_b32 s3, -1, 0
	s_delay_alu instid0(SALU_CYCLE_1) | instskip(NEXT) | instid1(SALU_CYCLE_1)
	s_and_b32 s2, s2, s3
	s_and_b32 vcc_lo, exec_lo, s2
	s_cbranch_vccnz .LBB48_23
; %bb.5:
	s_load_b64 s[2:3], s[0:1], 0x0
	s_bfe_u32 s4, ttmp6, 0x4000c
	s_and_b32 s5, ttmp6, 15
	s_add_co_i32 s4, s4, 1
	s_getreg_b32 s6, hwreg(HW_REG_IB_STS2, 6, 4)
	s_mul_i32 s4, ttmp9, s4
	v_lshrrev_b32_e32 v1, 5, v0
	s_add_co_i32 s5, s5, s4
	s_cmp_eq_u32 s6, 0
	s_cselect_b32 s4, ttmp9, s5
	s_delay_alu instid0(VALU_DEP_1) | instid1(SALU_CYCLE_1)
	v_lshl_or_b32 v2, s4, 2, v1
	s_wait_kmcnt 0x0
	s_delay_alu instid0(VALU_DEP_1)
	v_cmp_gt_i32_e32 vcc_lo, s2, v2
	s_and_saveexec_b32 s2, vcc_lo
	s_cbranch_execz .LBB48_23
; %bb.6:
	s_load_b256 s[4:11], s[0:1], 0x10
	v_ashrrev_i32_e32 v3, 31, v2
	s_cmp_lg_u32 s3, 0
	s_wait_kmcnt 0x0
	s_delay_alu instid0(VALU_DEP_1)
	v_lshl_add_u64 v[4:5], v[2:3], 2, s[4:5]
	v_and_b32_e32 v3, 31, v0
	global_load_b64 v[4:5], v[4:5], off
	s_wait_loadcnt 0x0
	v_subrev_nc_u32_e32 v0, s16, v4
	v_subrev_nc_u32_e32 v8, s16, v5
	s_delay_alu instid0(VALU_DEP_2) | instskip(NEXT) | instid1(VALU_DEP_1)
	v_add_nc_u32_e32 v9, v0, v3
	v_cmp_lt_i32_e64 s2, v9, v8
	s_cbranch_scc0 .LBB48_12
; %bb.7:
	v_mov_b32_e32 v1, 0
	s_delay_alu instid0(VALU_DEP_1)
	v_mov_b32_e32 v0, v1
	s_and_saveexec_b32 s3, s2
	s_cbranch_execz .LBB48_11
; %bb.8:
	v_mad_u32 v4, v9, 22, 20
	v_dual_mov_b32 v7, 0 :: v_dual_mov_b32 v10, v9
	s_mov_b32 s4, 0
	s_delay_alu instid0(VALU_DEP_1)
	v_dual_mov_b32 v0, v7 :: v_dual_mov_b32 v1, v7
.LBB48_9:                               ; =>This Inner Loop Header: Depth=1
	global_load_b32 v5, v10, s[6:7] scale_offset
	v_subrev_nc_u32_e32 v6, 20, v4
	s_wait_xcnt 0x0
	v_add_nc_u32_e32 v10, 32, v10
	s_delay_alu instid0(VALU_DEP_2) | instskip(SKIP_1) | instid1(VALU_DEP_3)
	v_lshl_add_u64 v[12:13], v[6:7], 2, s[8:9]
	v_subrev_nc_u32_e32 v6, 18, v4
	v_cmp_ge_i32_e32 vcc_lo, v10, v8
	global_load_b64 v[12:13], v[12:13], off
	v_lshl_add_u64 v[14:15], v[6:7], 2, s[8:9]
	s_or_b32 s4, vcc_lo, s4
	global_load_b64 v[14:15], v[14:15], off
	s_wait_loadcnt 0x2
	v_subrev_nc_u32_e32 v5, s16, v5
	s_delay_alu instid0(VALU_DEP_1) | instskip(NEXT) | instid1(VALU_DEP_1)
	v_mul_lo_u32 v11, v5, 11
	v_dual_add_nc_u32 v6, -16, v4 :: v_dual_add_nc_u32 v5, 1, v11
	global_load_b32 v22, v11, s[10:11] scale_offset
	v_lshl_add_u64 v[16:17], v[6:7], 2, s[8:9]
	v_dual_add_nc_u32 v6, -14, v4 :: v_dual_add_nc_u32 v23, 2, v11
	global_load_b32 v24, v5, s[10:11] scale_offset
	s_wait_xcnt 0x0
	v_add_nc_u32_e32 v5, 3, v11
	global_load_b64 v[16:17], v[16:17], off
	v_lshl_add_u64 v[18:19], v[6:7], 2, s[8:9]
	v_add_nc_u32_e32 v6, -12, v4
	s_clause 0x1
	global_load_b32 v28, v23, s[10:11] scale_offset
	global_load_b32 v30, v5, s[10:11] scale_offset
	s_wait_xcnt 0x1
	v_add_nc_u32_e32 v23, 4, v11
	global_load_b64 v[18:19], v[18:19], off
	v_lshl_add_u64 v[20:21], v[6:7], 2, s[8:9]
	s_wait_xcnt 0x1
	v_dual_add_nc_u32 v6, -10, v4 :: v_dual_add_nc_u32 v5, 5, v11
	global_load_b32 v34, v23, s[10:11] scale_offset
	v_add_nc_u32_e32 v25, 9, v11
	global_load_b64 v[20:21], v[20:21], off
	v_lshl_add_u64 v[26:27], v[6:7], 2, s[8:9]
	v_add_nc_u32_e32 v6, -8, v4
	global_load_b32 v36, v5, s[10:11] scale_offset
	s_wait_xcnt 0x0
	v_dual_add_nc_u32 v23, 6, v11 :: v_dual_add_nc_u32 v5, 7, v11
	global_load_b64 v[26:27], v[26:27], off
	v_lshl_add_u64 v[32:33], v[6:7], 2, s[8:9]
	v_add_nc_u32_e32 v6, -6, v4
	global_load_b64 v[32:33], v[32:33], off
	v_lshl_add_u64 v[38:39], v[6:7], 2, s[8:9]
	v_add_nc_u32_e32 v6, -4, v4
	global_load_b32 v40, v23, s[10:11] scale_offset
	global_load_b64 v[42:43], v[38:39], off
	s_wait_xcnt 0x1
	v_add_nc_u32_e32 v23, 8, v11
	s_wait_xcnt 0x0
	v_lshl_add_u64 v[38:39], v[6:7], 2, s[8:9]
	v_add_nc_u32_e32 v6, -2, v4
	global_load_b32 v44, v5, s[10:11] scale_offset
	global_load_b64 v[38:39], v[38:39], off
	v_lshl_add_u64 v[46:47], v[6:7], 2, s[8:9]
	global_load_b32 v6, v23, s[10:11] scale_offset
	s_wait_xcnt 0x2
	v_mov_b32_e32 v5, v7
	global_load_b64 v[46:47], v[46:47], off
	v_lshl_add_u64 v[48:49], v[4:5], 2, s[8:9]
	v_add_nc_u32_e32 v5, 10, v11
	global_load_b32 v50, v25, s[10:11] scale_offset
	global_load_b64 v[52:53], v[48:49], off
	global_load_b32 v54, v5, s[10:11] scale_offset
	v_add_nc_u32_e32 v4, 0x2c0, v4
	s_wait_loadcnt 0x13
	v_pk_fma_f32 v[0:1], v[12:13], v[22:23], v[0:1] op_sel_hi:[1,0,1]
	s_wait_loadcnt 0x12
	s_delay_alu instid0(VALU_DEP_1) | instskip(SKIP_1) | instid1(VALU_DEP_1)
	v_pk_fma_f32 v[0:1], v[14:15], v[24:25], v[0:1] op_sel_hi:[1,0,1]
	s_wait_loadcnt 0x10
	v_pk_fma_f32 v[0:1], v[16:17], v[28:29], v[0:1] op_sel_hi:[1,0,1]
	s_wait_loadcnt 0xe
	s_delay_alu instid0(VALU_DEP_1) | instskip(SKIP_1) | instid1(VALU_DEP_1)
	v_pk_fma_f32 v[0:1], v[18:19], v[30:31], v[0:1] op_sel_hi:[1,0,1]
	s_wait_loadcnt 0xc
	v_pk_fma_f32 v[0:1], v[20:21], v[34:35], v[0:1] op_sel_hi:[1,0,1]
	s_wait_loadcnt 0xa
	s_delay_alu instid0(VALU_DEP_1) | instskip(SKIP_1) | instid1(VALU_DEP_1)
	v_pk_fma_f32 v[0:1], v[26:27], v[36:37], v[0:1] op_sel_hi:[1,0,1]
	s_wait_loadcnt 0x8
	v_pk_fma_f32 v[0:1], v[32:33], v[40:41], v[0:1] op_sel_hi:[1,0,1]
	s_wait_loadcnt 0x6
	s_delay_alu instid0(VALU_DEP_1) | instskip(SKIP_1) | instid1(VALU_DEP_1)
	v_pk_fma_f32 v[0:1], v[42:43], v[44:45], v[0:1] op_sel_hi:[1,0,1]
	s_wait_loadcnt 0x4
	v_pk_fma_f32 v[0:1], v[38:39], v[6:7], v[0:1] op_sel_hi:[1,0,1]
	s_wait_loadcnt 0x2
	s_delay_alu instid0(VALU_DEP_1) | instskip(SKIP_1) | instid1(VALU_DEP_1)
	v_pk_fma_f32 v[0:1], v[46:47], v[50:51], v[0:1] op_sel_hi:[1,0,1]
	s_wait_loadcnt 0x0
	v_pk_fma_f32 v[0:1], v[52:53], v[54:55], v[0:1] op_sel_hi:[1,0,1]
	s_and_not1_b32 exec_lo, exec_lo, s4
	s_cbranch_execnz .LBB48_9
; %bb.10:
	s_or_b32 exec_lo, exec_lo, s4
.LBB48_11:
	s_delay_alu instid0(SALU_CYCLE_1)
	s_or_b32 exec_lo, exec_lo, s3
	s_cbranch_execz .LBB48_13
	s_branch .LBB48_18
.LBB48_12:
                                        ; implicit-def: $vgpr1
.LBB48_13:
	v_mov_b32_e32 v1, 0
	s_delay_alu instid0(VALU_DEP_1)
	v_mov_b32_e32 v0, v1
	s_and_saveexec_b32 s3, s2
	s_cbranch_execz .LBB48_17
; %bb.14:
	v_mad_u32 v6, v9, 22, 21
	v_mov_b32_e32 v5, 0
	s_mov_b32 s2, 0
	s_delay_alu instid0(VALU_DEP_1)
	v_dual_mov_b32 v0, v5 :: v_dual_mov_b32 v1, v5
.LBB48_15:                              ; =>This Inner Loop Header: Depth=1
	global_load_b32 v7, v9, s[6:7] scale_offset
	v_subrev_nc_u32_e32 v4, 21, v6
	v_dual_add_nc_u32 v12, -10, v6 :: v_dual_add_nc_u32 v14, -9, v6
	v_subrev_nc_u32_e32 v17, 19, v6
	v_dual_add_nc_u32 v20, -8, v6 :: v_dual_add_nc_u32 v24, -7, v6
	s_delay_alu instid0(VALU_DEP_4)
	v_lshl_add_u64 v[10:11], v[4:5], 2, s[8:9]
	v_subrev_nc_u32_e32 v21, 18, v6
	v_subrev_nc_u32_e32 v25, 17, v6
	v_dual_add_nc_u32 v28, -6, v6 :: v_dual_add_nc_u32 v29, -16, v6
	global_load_b64 v[10:11], v[10:11], off
	s_wait_xcnt 0x1
	v_dual_add_nc_u32 v9, 32, v9 :: v_dual_add_nc_u32 v32, -5, v6
	s_delay_alu instid0(VALU_DEP_1) | instskip(SKIP_3) | instid1(VALU_DEP_1)
	v_cmp_ge_i32_e32 vcc_lo, v9, v8
	s_or_b32 s2, vcc_lo, s2
	s_wait_loadcnt 0x1
	v_subrev_nc_u32_e32 v7, s16, v7
	v_mul_lo_u32 v7, v7, 11
	global_load_b32 v13, v12, s[8:9] scale_offset
	global_load_b32 v4, v7, s[10:11] scale_offset
	s_wait_xcnt 0x1
	v_dual_add_nc_u32 v12, 1, v7 :: v_dual_add_nc_u32 v33, -15, v6
	global_load_b32 v15, v14, s[8:9] scale_offset
	s_wait_xcnt 0x0
	v_add_nc_u32_e32 v14, 2, v7
	global_load_b32 v16, v12, s[10:11] scale_offset
	s_wait_xcnt 0x0
	v_add_nc_u32_e32 v12, -4, v6
	s_clause 0x1
	global_load_b32 v18, v17, s[8:9] scale_offset
	global_load_b32 v19, v20, s[8:9] scale_offset
	s_wait_xcnt 0x1
	v_add_nc_u32_e32 v17, 3, v7
	global_load_b32 v20, v14, s[10:11] scale_offset
	s_wait_xcnt 0x0
	v_add_nc_u32_e32 v14, -14, v6
	s_clause 0x1
	global_load_b32 v22, v21, s[8:9] scale_offset
	;; [unrolled: 8-line block ×6, first 2 shown]
	global_load_b32 v39, v17, s[8:9] scale_offset
	s_wait_xcnt 0x1
	v_add_nc_u32_e32 v14, 8, v7
	global_load_b32 v40, v12, s[10:11] scale_offset
	s_clause 0x1
	global_load_b32 v42, v21, s[8:9] scale_offset
	global_load_b32 v43, v25, s[8:9] scale_offset
	s_wait_xcnt 0x2
	v_dual_add_nc_u32 v12, -1, v6 :: v_dual_add_nc_u32 v17, 9, v7
	global_load_b32 v44, v14, s[10:11] scale_offset
	s_wait_xcnt 0x0
	v_dual_add_nc_u32 v14, -11, v6 :: v_dual_add_nc_u32 v7, 10, v7
	s_clause 0x1
	global_load_b32 v46, v29, s[8:9] scale_offset
	global_load_b32 v47, v12, s[8:9] scale_offset
	;; [unrolled: 1-line block ×3, first 2 shown]
	s_clause 0x1
	global_load_b32 v51, v6, s[8:9] scale_offset
	global_load_b32 v50, v14, s[8:9] scale_offset
	;; [unrolled: 1-line block ×3, first 2 shown]
	s_wait_loadcnt 0x1f
	s_wait_xcnt 0x1
	v_dual_mov_b32 v12, v10 :: v_dual_mov_b32 v14, v11
	v_add_nc_u32_e32 v6, 0x2c0, v6
	s_wait_loadcnt 0x1d
	s_delay_alu instid0(VALU_DEP_2) | instskip(SKIP_1) | instid1(VALU_DEP_1)
	v_pk_fma_f32 v[0:1], v[12:13], v[4:5], v[0:1] op_sel_hi:[1,0,1]
	s_wait_loadcnt 0x1b
	v_pk_fma_f32 v[0:1], v[14:15], v[16:17], v[0:1] op_sel_hi:[1,0,1]
	s_wait_loadcnt 0x18
	s_delay_alu instid0(VALU_DEP_1) | instskip(SKIP_1) | instid1(VALU_DEP_1)
	v_pk_fma_f32 v[0:1], v[18:19], v[20:21], v[0:1] op_sel_hi:[1,0,1]
	s_wait_loadcnt 0x15
	v_pk_fma_f32 v[0:1], v[22:23], v[24:25], v[0:1] op_sel_hi:[1,0,1]
	s_wait_loadcnt 0x12
	s_delay_alu instid0(VALU_DEP_1) | instskip(SKIP_1) | instid1(VALU_DEP_1)
	v_pk_fma_f32 v[0:1], v[26:27], v[28:29], v[0:1] op_sel_hi:[1,0,1]
	s_wait_loadcnt 0xf
	v_pk_fma_f32 v[0:1], v[30:31], v[32:33], v[0:1] op_sel_hi:[1,0,1]
	s_wait_loadcnt 0xc
	s_delay_alu instid0(VALU_DEP_1) | instskip(SKIP_1) | instid1(VALU_DEP_1)
	v_pk_fma_f32 v[0:1], v[34:35], v[36:37], v[0:1] op_sel_hi:[1,0,1]
	s_wait_loadcnt 0x9
	v_pk_fma_f32 v[0:1], v[38:39], v[40:41], v[0:1] op_sel_hi:[1,0,1]
	s_wait_loadcnt 0x6
	s_delay_alu instid0(VALU_DEP_1) | instskip(SKIP_1) | instid1(VALU_DEP_1)
	v_pk_fma_f32 v[0:1], v[42:43], v[44:45], v[0:1] op_sel_hi:[1,0,1]
	s_wait_loadcnt 0x3
	v_pk_fma_f32 v[0:1], v[46:47], v[48:49], v[0:1] op_sel_hi:[1,0,1]
	s_wait_loadcnt 0x0
	s_delay_alu instid0(VALU_DEP_1)
	v_pk_fma_f32 v[0:1], v[50:51], v[52:53], v[0:1] op_sel_hi:[1,0,1]
	s_and_not1_b32 exec_lo, exec_lo, s2
	s_cbranch_execnz .LBB48_15
; %bb.16:
	s_or_b32 exec_lo, exec_lo, s2
.LBB48_17:
	s_delay_alu instid0(SALU_CYCLE_1)
	s_or_b32 exec_lo, exec_lo, s3
.LBB48_18:
	v_mbcnt_lo_u32_b32 v6, -1, 0
	s_mov_b32 s2, -1
	s_delay_alu instid0(VALU_DEP_1) | instskip(SKIP_1) | instid1(VALU_DEP_1)
	v_xor_b32_e32 v7, 8, v6
	v_xor_b32_e32 v4, 16, v6
	v_cmp_gt_i32_e32 vcc_lo, 32, v4
	v_cndmask_b32_e32 v4, v6, v4, vcc_lo
	s_delay_alu instid0(VALU_DEP_4) | instskip(SKIP_1) | instid1(VALU_DEP_1)
	v_cmp_gt_i32_e32 vcc_lo, 32, v7
	v_cndmask_b32_e32 v7, v6, v7, vcc_lo
	v_dual_lshlrev_b32 v7, 2, v7 :: v_dual_lshlrev_b32 v5, 2, v4
	ds_bpermute_b32 v4, v5, v0
	ds_bpermute_b32 v5, v5, v1
	s_wait_dscnt 0x0
	v_pk_add_f32 v[0:1], v[0:1], v[4:5]
	ds_bpermute_b32 v4, v7, v0
	ds_bpermute_b32 v5, v7, v1
	v_xor_b32_e32 v7, 4, v6
	s_delay_alu instid0(VALU_DEP_1) | instskip(SKIP_1) | instid1(VALU_DEP_1)
	v_cmp_gt_i32_e32 vcc_lo, 32, v7
	v_cndmask_b32_e32 v7, v6, v7, vcc_lo
	v_lshlrev_b32_e32 v7, 2, v7
	s_wait_dscnt 0x0
	v_pk_add_f32 v[0:1], v[0:1], v[4:5]
	ds_bpermute_b32 v4, v7, v0
	ds_bpermute_b32 v5, v7, v1
	v_xor_b32_e32 v7, 2, v6
	s_delay_alu instid0(VALU_DEP_1) | instskip(SKIP_1) | instid1(VALU_DEP_1)
	v_cmp_gt_i32_e32 vcc_lo, 32, v7
	v_cndmask_b32_e32 v7, v6, v7, vcc_lo
	v_lshlrev_b32_e32 v7, 2, v7
	s_wait_dscnt 0x0
	v_pk_add_f32 v[0:1], v[0:1], v[4:5]
	ds_bpermute_b32 v4, v7, v0
	ds_bpermute_b32 v5, v7, v1
	v_xor_b32_e32 v7, 1, v6
	s_delay_alu instid0(VALU_DEP_1) | instskip(SKIP_2) | instid1(VALU_DEP_2)
	v_cmp_gt_i32_e32 vcc_lo, 32, v7
	v_cndmask_b32_e32 v6, v6, v7, vcc_lo
	v_cmp_eq_u32_e32 vcc_lo, 31, v3
	v_lshlrev_b32_e32 v6, 2, v6
	s_wait_dscnt 0x0
	v_pk_add_f32 v[0:1], v[0:1], v[4:5]
	ds_bpermute_b32 v4, v6, v0
	ds_bpermute_b32 v5, v6, v1
	s_and_b32 exec_lo, exec_lo, vcc_lo
	s_cbranch_execz .LBB48_23
; %bb.19:
	s_load_b64 s[0:1], s[0:1], 0x38
	s_wait_dscnt 0x0
	v_pk_add_f32 v[0:1], v[0:1], v[4:5]
	v_lshlrev_b32_e32 v2, 1, v2
	s_cmp_eq_f32 s12, 0
	s_cbranch_scc0 .LBB48_21
; %bb.20:
	s_delay_alu instid0(VALU_DEP_1) | instskip(SKIP_3) | instid1(VALU_DEP_2)
	v_ashrrev_i32_e32 v3, 31, v2
	v_pk_mul_f32 v[6:7], s[14:15], v[0:1] op_sel_hi:[0,1]
	s_mov_b32 s2, 0
	s_wait_kmcnt 0x0
	v_lshl_add_u64 v[4:5], v[2:3], 2, s[0:1]
	global_store_b64 v[4:5], v[6:7], off
.LBB48_21:
	s_and_not1_b32 vcc_lo, exec_lo, s2
	s_cbranch_vccnz .LBB48_23
; %bb.22:
	v_ashrrev_i32_e32 v3, 31, v2
	v_pk_mul_f32 v[0:1], s[14:15], v[0:1] op_sel_hi:[0,1]
	s_wait_kmcnt 0x0
	s_delay_alu instid0(VALU_DEP_2)
	v_lshl_add_u64 v[2:3], v[2:3], 2, s[0:1]
	global_load_b64 v[4:5], v[2:3], off
	s_wait_loadcnt 0x0
	v_pk_fma_f32 v[0:1], s[12:13], v[4:5], v[0:1] op_sel_hi:[0,1,1]
	global_store_b64 v[2:3], v[0:1], off
.LBB48_23:
	s_endpgm
	.section	.rodata,"a",@progbits
	.p2align	6, 0x0
	.amdhsa_kernel _ZN9rocsparseL19gebsrmvn_2xn_kernelILj128ELj11ELj32EfEEvi20rocsparse_direction_NS_24const_host_device_scalarIT2_EEPKiS6_PKS3_S8_S4_PS3_21rocsparse_index_base_b
		.amdhsa_group_segment_fixed_size 0
		.amdhsa_private_segment_fixed_size 0
		.amdhsa_kernarg_size 72
		.amdhsa_user_sgpr_count 2
		.amdhsa_user_sgpr_dispatch_ptr 0
		.amdhsa_user_sgpr_queue_ptr 0
		.amdhsa_user_sgpr_kernarg_segment_ptr 1
		.amdhsa_user_sgpr_dispatch_id 0
		.amdhsa_user_sgpr_kernarg_preload_length 0
		.amdhsa_user_sgpr_kernarg_preload_offset 0
		.amdhsa_user_sgpr_private_segment_size 0
		.amdhsa_wavefront_size32 1
		.amdhsa_uses_dynamic_stack 0
		.amdhsa_enable_private_segment 0
		.amdhsa_system_sgpr_workgroup_id_x 1
		.amdhsa_system_sgpr_workgroup_id_y 0
		.amdhsa_system_sgpr_workgroup_id_z 0
		.amdhsa_system_sgpr_workgroup_info 0
		.amdhsa_system_vgpr_workitem_id 0
		.amdhsa_next_free_vgpr 56
		.amdhsa_next_free_sgpr 18
		.amdhsa_named_barrier_count 0
		.amdhsa_reserve_vcc 1
		.amdhsa_float_round_mode_32 0
		.amdhsa_float_round_mode_16_64 0
		.amdhsa_float_denorm_mode_32 3
		.amdhsa_float_denorm_mode_16_64 3
		.amdhsa_fp16_overflow 0
		.amdhsa_memory_ordered 1
		.amdhsa_forward_progress 1
		.amdhsa_inst_pref_size 19
		.amdhsa_round_robin_scheduling 0
		.amdhsa_exception_fp_ieee_invalid_op 0
		.amdhsa_exception_fp_denorm_src 0
		.amdhsa_exception_fp_ieee_div_zero 0
		.amdhsa_exception_fp_ieee_overflow 0
		.amdhsa_exception_fp_ieee_underflow 0
		.amdhsa_exception_fp_ieee_inexact 0
		.amdhsa_exception_int_div_zero 0
	.end_amdhsa_kernel
	.section	.text._ZN9rocsparseL19gebsrmvn_2xn_kernelILj128ELj11ELj32EfEEvi20rocsparse_direction_NS_24const_host_device_scalarIT2_EEPKiS6_PKS3_S8_S4_PS3_21rocsparse_index_base_b,"axG",@progbits,_ZN9rocsparseL19gebsrmvn_2xn_kernelILj128ELj11ELj32EfEEvi20rocsparse_direction_NS_24const_host_device_scalarIT2_EEPKiS6_PKS3_S8_S4_PS3_21rocsparse_index_base_b,comdat
.Lfunc_end48:
	.size	_ZN9rocsparseL19gebsrmvn_2xn_kernelILj128ELj11ELj32EfEEvi20rocsparse_direction_NS_24const_host_device_scalarIT2_EEPKiS6_PKS3_S8_S4_PS3_21rocsparse_index_base_b, .Lfunc_end48-_ZN9rocsparseL19gebsrmvn_2xn_kernelILj128ELj11ELj32EfEEvi20rocsparse_direction_NS_24const_host_device_scalarIT2_EEPKiS6_PKS3_S8_S4_PS3_21rocsparse_index_base_b
                                        ; -- End function
	.set _ZN9rocsparseL19gebsrmvn_2xn_kernelILj128ELj11ELj32EfEEvi20rocsparse_direction_NS_24const_host_device_scalarIT2_EEPKiS6_PKS3_S8_S4_PS3_21rocsparse_index_base_b.num_vgpr, 56
	.set _ZN9rocsparseL19gebsrmvn_2xn_kernelILj128ELj11ELj32EfEEvi20rocsparse_direction_NS_24const_host_device_scalarIT2_EEPKiS6_PKS3_S8_S4_PS3_21rocsparse_index_base_b.num_agpr, 0
	.set _ZN9rocsparseL19gebsrmvn_2xn_kernelILj128ELj11ELj32EfEEvi20rocsparse_direction_NS_24const_host_device_scalarIT2_EEPKiS6_PKS3_S8_S4_PS3_21rocsparse_index_base_b.numbered_sgpr, 18
	.set _ZN9rocsparseL19gebsrmvn_2xn_kernelILj128ELj11ELj32EfEEvi20rocsparse_direction_NS_24const_host_device_scalarIT2_EEPKiS6_PKS3_S8_S4_PS3_21rocsparse_index_base_b.num_named_barrier, 0
	.set _ZN9rocsparseL19gebsrmvn_2xn_kernelILj128ELj11ELj32EfEEvi20rocsparse_direction_NS_24const_host_device_scalarIT2_EEPKiS6_PKS3_S8_S4_PS3_21rocsparse_index_base_b.private_seg_size, 0
	.set _ZN9rocsparseL19gebsrmvn_2xn_kernelILj128ELj11ELj32EfEEvi20rocsparse_direction_NS_24const_host_device_scalarIT2_EEPKiS6_PKS3_S8_S4_PS3_21rocsparse_index_base_b.uses_vcc, 1
	.set _ZN9rocsparseL19gebsrmvn_2xn_kernelILj128ELj11ELj32EfEEvi20rocsparse_direction_NS_24const_host_device_scalarIT2_EEPKiS6_PKS3_S8_S4_PS3_21rocsparse_index_base_b.uses_flat_scratch, 0
	.set _ZN9rocsparseL19gebsrmvn_2xn_kernelILj128ELj11ELj32EfEEvi20rocsparse_direction_NS_24const_host_device_scalarIT2_EEPKiS6_PKS3_S8_S4_PS3_21rocsparse_index_base_b.has_dyn_sized_stack, 0
	.set _ZN9rocsparseL19gebsrmvn_2xn_kernelILj128ELj11ELj32EfEEvi20rocsparse_direction_NS_24const_host_device_scalarIT2_EEPKiS6_PKS3_S8_S4_PS3_21rocsparse_index_base_b.has_recursion, 0
	.set _ZN9rocsparseL19gebsrmvn_2xn_kernelILj128ELj11ELj32EfEEvi20rocsparse_direction_NS_24const_host_device_scalarIT2_EEPKiS6_PKS3_S8_S4_PS3_21rocsparse_index_base_b.has_indirect_call, 0
	.section	.AMDGPU.csdata,"",@progbits
; Kernel info:
; codeLenInByte = 2404
; TotalNumSgprs: 20
; NumVgprs: 56
; ScratchSize: 0
; MemoryBound: 0
; FloatMode: 240
; IeeeMode: 1
; LDSByteSize: 0 bytes/workgroup (compile time only)
; SGPRBlocks: 0
; VGPRBlocks: 3
; NumSGPRsForWavesPerEU: 20
; NumVGPRsForWavesPerEU: 56
; NamedBarCnt: 0
; Occupancy: 16
; WaveLimiterHint : 1
; COMPUTE_PGM_RSRC2:SCRATCH_EN: 0
; COMPUTE_PGM_RSRC2:USER_SGPR: 2
; COMPUTE_PGM_RSRC2:TRAP_HANDLER: 0
; COMPUTE_PGM_RSRC2:TGID_X_EN: 1
; COMPUTE_PGM_RSRC2:TGID_Y_EN: 0
; COMPUTE_PGM_RSRC2:TGID_Z_EN: 0
; COMPUTE_PGM_RSRC2:TIDIG_COMP_CNT: 0
	.section	.text._ZN9rocsparseL19gebsrmvn_2xn_kernelILj128ELj11ELj64EfEEvi20rocsparse_direction_NS_24const_host_device_scalarIT2_EEPKiS6_PKS3_S8_S4_PS3_21rocsparse_index_base_b,"axG",@progbits,_ZN9rocsparseL19gebsrmvn_2xn_kernelILj128ELj11ELj64EfEEvi20rocsparse_direction_NS_24const_host_device_scalarIT2_EEPKiS6_PKS3_S8_S4_PS3_21rocsparse_index_base_b,comdat
	.globl	_ZN9rocsparseL19gebsrmvn_2xn_kernelILj128ELj11ELj64EfEEvi20rocsparse_direction_NS_24const_host_device_scalarIT2_EEPKiS6_PKS3_S8_S4_PS3_21rocsparse_index_base_b ; -- Begin function _ZN9rocsparseL19gebsrmvn_2xn_kernelILj128ELj11ELj64EfEEvi20rocsparse_direction_NS_24const_host_device_scalarIT2_EEPKiS6_PKS3_S8_S4_PS3_21rocsparse_index_base_b
	.p2align	8
	.type	_ZN9rocsparseL19gebsrmvn_2xn_kernelILj128ELj11ELj64EfEEvi20rocsparse_direction_NS_24const_host_device_scalarIT2_EEPKiS6_PKS3_S8_S4_PS3_21rocsparse_index_base_b,@function
_ZN9rocsparseL19gebsrmvn_2xn_kernelILj128ELj11ELj64EfEEvi20rocsparse_direction_NS_24const_host_device_scalarIT2_EEPKiS6_PKS3_S8_S4_PS3_21rocsparse_index_base_b: ; @_ZN9rocsparseL19gebsrmvn_2xn_kernelILj128ELj11ELj64EfEEvi20rocsparse_direction_NS_24const_host_device_scalarIT2_EEPKiS6_PKS3_S8_S4_PS3_21rocsparse_index_base_b
; %bb.0:
	s_clause 0x2
	s_load_b64 s[16:17], s[0:1], 0x40
	s_load_b64 s[14:15], s[0:1], 0x8
	;; [unrolled: 1-line block ×3, first 2 shown]
	s_wait_kmcnt 0x0
	s_bitcmp1_b32 s17, 0
	s_cselect_b32 s2, -1, 0
	s_delay_alu instid0(SALU_CYCLE_1)
	s_and_b32 vcc_lo, exec_lo, s2
	s_xor_b32 s2, s2, -1
	s_cbranch_vccnz .LBB49_2
; %bb.1:
	s_load_b32 s14, s[14:15], 0x0
.LBB49_2:
	s_and_not1_b32 vcc_lo, exec_lo, s2
	s_cbranch_vccnz .LBB49_4
; %bb.3:
	s_load_b32 s12, s[12:13], 0x0
.LBB49_4:
	s_wait_kmcnt 0x0
	s_cmp_eq_f32 s14, 0
	s_cselect_b32 s2, -1, 0
	s_cmp_eq_f32 s12, 1.0
	s_cselect_b32 s3, -1, 0
	s_delay_alu instid0(SALU_CYCLE_1) | instskip(NEXT) | instid1(SALU_CYCLE_1)
	s_and_b32 s2, s2, s3
	s_and_b32 vcc_lo, exec_lo, s2
	s_cbranch_vccnz .LBB49_23
; %bb.5:
	s_load_b64 s[2:3], s[0:1], 0x0
	s_bfe_u32 s4, ttmp6, 0x4000c
	s_and_b32 s5, ttmp6, 15
	s_add_co_i32 s4, s4, 1
	s_getreg_b32 s6, hwreg(HW_REG_IB_STS2, 6, 4)
	s_mul_i32 s4, ttmp9, s4
	v_lshrrev_b32_e32 v1, 6, v0
	s_add_co_i32 s5, s5, s4
	s_cmp_eq_u32 s6, 0
	s_cselect_b32 s4, ttmp9, s5
	s_delay_alu instid0(VALU_DEP_1) | instid1(SALU_CYCLE_1)
	v_lshl_or_b32 v2, s4, 1, v1
	s_wait_kmcnt 0x0
	s_delay_alu instid0(VALU_DEP_1)
	v_cmp_gt_i32_e32 vcc_lo, s2, v2
	s_and_saveexec_b32 s2, vcc_lo
	s_cbranch_execz .LBB49_23
; %bb.6:
	s_load_b256 s[4:11], s[0:1], 0x10
	v_ashrrev_i32_e32 v3, 31, v2
	s_cmp_lg_u32 s3, 0
	s_wait_kmcnt 0x0
	s_delay_alu instid0(VALU_DEP_1)
	v_lshl_add_u64 v[4:5], v[2:3], 2, s[4:5]
	v_and_b32_e32 v3, 63, v0
	global_load_b64 v[4:5], v[4:5], off
	s_wait_loadcnt 0x0
	v_subrev_nc_u32_e32 v0, s16, v4
	v_subrev_nc_u32_e32 v8, s16, v5
	s_delay_alu instid0(VALU_DEP_2) | instskip(NEXT) | instid1(VALU_DEP_1)
	v_add_nc_u32_e32 v9, v0, v3
	v_cmp_lt_i32_e64 s2, v9, v8
	s_cbranch_scc0 .LBB49_12
; %bb.7:
	v_mov_b32_e32 v1, 0
	s_delay_alu instid0(VALU_DEP_1)
	v_mov_b32_e32 v0, v1
	s_and_saveexec_b32 s3, s2
	s_cbranch_execz .LBB49_11
; %bb.8:
	v_mad_u32 v4, v9, 22, 20
	v_dual_mov_b32 v7, 0 :: v_dual_mov_b32 v10, v9
	s_mov_b32 s4, 0
	s_delay_alu instid0(VALU_DEP_1)
	v_dual_mov_b32 v0, v7 :: v_dual_mov_b32 v1, v7
.LBB49_9:                               ; =>This Inner Loop Header: Depth=1
	global_load_b32 v5, v10, s[6:7] scale_offset
	v_subrev_nc_u32_e32 v6, 20, v4
	s_wait_xcnt 0x0
	v_add_nc_u32_e32 v10, 64, v10
	s_delay_alu instid0(VALU_DEP_2) | instskip(SKIP_1) | instid1(VALU_DEP_3)
	v_lshl_add_u64 v[12:13], v[6:7], 2, s[8:9]
	v_subrev_nc_u32_e32 v6, 18, v4
	v_cmp_ge_i32_e32 vcc_lo, v10, v8
	global_load_b64 v[12:13], v[12:13], off
	v_lshl_add_u64 v[14:15], v[6:7], 2, s[8:9]
	s_or_b32 s4, vcc_lo, s4
	global_load_b64 v[14:15], v[14:15], off
	s_wait_loadcnt 0x2
	v_subrev_nc_u32_e32 v5, s16, v5
	s_delay_alu instid0(VALU_DEP_1) | instskip(NEXT) | instid1(VALU_DEP_1)
	v_mul_lo_u32 v11, v5, 11
	v_dual_add_nc_u32 v6, -16, v4 :: v_dual_add_nc_u32 v5, 1, v11
	global_load_b32 v22, v11, s[10:11] scale_offset
	v_lshl_add_u64 v[16:17], v[6:7], 2, s[8:9]
	v_dual_add_nc_u32 v6, -14, v4 :: v_dual_add_nc_u32 v23, 2, v11
	global_load_b32 v24, v5, s[10:11] scale_offset
	s_wait_xcnt 0x0
	v_add_nc_u32_e32 v5, 3, v11
	global_load_b64 v[16:17], v[16:17], off
	v_lshl_add_u64 v[18:19], v[6:7], 2, s[8:9]
	v_add_nc_u32_e32 v6, -12, v4
	s_clause 0x1
	global_load_b32 v28, v23, s[10:11] scale_offset
	global_load_b32 v30, v5, s[10:11] scale_offset
	s_wait_xcnt 0x1
	v_add_nc_u32_e32 v23, 4, v11
	global_load_b64 v[18:19], v[18:19], off
	v_lshl_add_u64 v[20:21], v[6:7], 2, s[8:9]
	s_wait_xcnt 0x1
	v_dual_add_nc_u32 v6, -10, v4 :: v_dual_add_nc_u32 v5, 5, v11
	global_load_b32 v34, v23, s[10:11] scale_offset
	v_add_nc_u32_e32 v25, 9, v11
	global_load_b64 v[20:21], v[20:21], off
	v_lshl_add_u64 v[26:27], v[6:7], 2, s[8:9]
	v_add_nc_u32_e32 v6, -8, v4
	global_load_b32 v36, v5, s[10:11] scale_offset
	s_wait_xcnt 0x0
	v_dual_add_nc_u32 v23, 6, v11 :: v_dual_add_nc_u32 v5, 7, v11
	global_load_b64 v[26:27], v[26:27], off
	v_lshl_add_u64 v[32:33], v[6:7], 2, s[8:9]
	v_add_nc_u32_e32 v6, -6, v4
	global_load_b64 v[32:33], v[32:33], off
	v_lshl_add_u64 v[38:39], v[6:7], 2, s[8:9]
	v_add_nc_u32_e32 v6, -4, v4
	global_load_b32 v40, v23, s[10:11] scale_offset
	global_load_b64 v[42:43], v[38:39], off
	s_wait_xcnt 0x1
	v_add_nc_u32_e32 v23, 8, v11
	s_wait_xcnt 0x0
	v_lshl_add_u64 v[38:39], v[6:7], 2, s[8:9]
	v_add_nc_u32_e32 v6, -2, v4
	global_load_b32 v44, v5, s[10:11] scale_offset
	global_load_b64 v[38:39], v[38:39], off
	v_lshl_add_u64 v[46:47], v[6:7], 2, s[8:9]
	global_load_b32 v6, v23, s[10:11] scale_offset
	s_wait_xcnt 0x2
	v_mov_b32_e32 v5, v7
	global_load_b64 v[46:47], v[46:47], off
	v_lshl_add_u64 v[48:49], v[4:5], 2, s[8:9]
	v_add_nc_u32_e32 v5, 10, v11
	global_load_b32 v50, v25, s[10:11] scale_offset
	global_load_b64 v[52:53], v[48:49], off
	global_load_b32 v54, v5, s[10:11] scale_offset
	v_add_nc_u32_e32 v4, 0x580, v4
	s_wait_loadcnt 0x13
	v_pk_fma_f32 v[0:1], v[12:13], v[22:23], v[0:1] op_sel_hi:[1,0,1]
	s_wait_loadcnt 0x12
	s_delay_alu instid0(VALU_DEP_1) | instskip(SKIP_1) | instid1(VALU_DEP_1)
	v_pk_fma_f32 v[0:1], v[14:15], v[24:25], v[0:1] op_sel_hi:[1,0,1]
	s_wait_loadcnt 0x10
	v_pk_fma_f32 v[0:1], v[16:17], v[28:29], v[0:1] op_sel_hi:[1,0,1]
	s_wait_loadcnt 0xe
	s_delay_alu instid0(VALU_DEP_1) | instskip(SKIP_1) | instid1(VALU_DEP_1)
	v_pk_fma_f32 v[0:1], v[18:19], v[30:31], v[0:1] op_sel_hi:[1,0,1]
	;; [unrolled: 5-line block ×5, first 2 shown]
	s_wait_loadcnt 0x0
	v_pk_fma_f32 v[0:1], v[52:53], v[54:55], v[0:1] op_sel_hi:[1,0,1]
	s_and_not1_b32 exec_lo, exec_lo, s4
	s_cbranch_execnz .LBB49_9
; %bb.10:
	s_or_b32 exec_lo, exec_lo, s4
.LBB49_11:
	s_delay_alu instid0(SALU_CYCLE_1)
	s_or_b32 exec_lo, exec_lo, s3
	s_cbranch_execz .LBB49_13
	s_branch .LBB49_18
.LBB49_12:
                                        ; implicit-def: $vgpr1
.LBB49_13:
	v_mov_b32_e32 v1, 0
	s_delay_alu instid0(VALU_DEP_1)
	v_mov_b32_e32 v0, v1
	s_and_saveexec_b32 s3, s2
	s_cbranch_execz .LBB49_17
; %bb.14:
	v_mad_u32 v6, v9, 22, 21
	v_mov_b32_e32 v5, 0
	s_mov_b32 s2, 0
	s_delay_alu instid0(VALU_DEP_1)
	v_dual_mov_b32 v0, v5 :: v_dual_mov_b32 v1, v5
.LBB49_15:                              ; =>This Inner Loop Header: Depth=1
	global_load_b32 v7, v9, s[6:7] scale_offset
	v_subrev_nc_u32_e32 v4, 21, v6
	v_dual_add_nc_u32 v12, -10, v6 :: v_dual_add_nc_u32 v14, -9, v6
	v_subrev_nc_u32_e32 v17, 19, v6
	v_dual_add_nc_u32 v20, -8, v6 :: v_dual_add_nc_u32 v24, -7, v6
	s_delay_alu instid0(VALU_DEP_4)
	v_lshl_add_u64 v[10:11], v[4:5], 2, s[8:9]
	v_subrev_nc_u32_e32 v21, 18, v6
	v_subrev_nc_u32_e32 v25, 17, v6
	v_dual_add_nc_u32 v28, -6, v6 :: v_dual_add_nc_u32 v29, -16, v6
	global_load_b64 v[10:11], v[10:11], off
	s_wait_xcnt 0x1
	v_dual_add_nc_u32 v9, 64, v9 :: v_dual_add_nc_u32 v32, -5, v6
	s_delay_alu instid0(VALU_DEP_1) | instskip(SKIP_3) | instid1(VALU_DEP_1)
	v_cmp_ge_i32_e32 vcc_lo, v9, v8
	s_or_b32 s2, vcc_lo, s2
	s_wait_loadcnt 0x1
	v_subrev_nc_u32_e32 v7, s16, v7
	v_mul_lo_u32 v7, v7, 11
	global_load_b32 v13, v12, s[8:9] scale_offset
	global_load_b32 v4, v7, s[10:11] scale_offset
	s_wait_xcnt 0x1
	v_dual_add_nc_u32 v12, 1, v7 :: v_dual_add_nc_u32 v33, -15, v6
	global_load_b32 v15, v14, s[8:9] scale_offset
	s_wait_xcnt 0x0
	v_add_nc_u32_e32 v14, 2, v7
	global_load_b32 v16, v12, s[10:11] scale_offset
	s_wait_xcnt 0x0
	v_add_nc_u32_e32 v12, -4, v6
	s_clause 0x1
	global_load_b32 v18, v17, s[8:9] scale_offset
	global_load_b32 v19, v20, s[8:9] scale_offset
	s_wait_xcnt 0x1
	v_add_nc_u32_e32 v17, 3, v7
	global_load_b32 v20, v14, s[10:11] scale_offset
	s_wait_xcnt 0x0
	v_add_nc_u32_e32 v14, -14, v6
	s_clause 0x1
	global_load_b32 v22, v21, s[8:9] scale_offset
	;; [unrolled: 8-line block ×6, first 2 shown]
	global_load_b32 v39, v17, s[8:9] scale_offset
	s_wait_xcnt 0x1
	v_add_nc_u32_e32 v14, 8, v7
	global_load_b32 v40, v12, s[10:11] scale_offset
	s_clause 0x1
	global_load_b32 v42, v21, s[8:9] scale_offset
	global_load_b32 v43, v25, s[8:9] scale_offset
	s_wait_xcnt 0x2
	v_dual_add_nc_u32 v12, -1, v6 :: v_dual_add_nc_u32 v17, 9, v7
	global_load_b32 v44, v14, s[10:11] scale_offset
	s_wait_xcnt 0x0
	v_dual_add_nc_u32 v14, -11, v6 :: v_dual_add_nc_u32 v7, 10, v7
	s_clause 0x1
	global_load_b32 v46, v29, s[8:9] scale_offset
	global_load_b32 v47, v12, s[8:9] scale_offset
	;; [unrolled: 1-line block ×3, first 2 shown]
	s_clause 0x1
	global_load_b32 v51, v6, s[8:9] scale_offset
	global_load_b32 v50, v14, s[8:9] scale_offset
	;; [unrolled: 1-line block ×3, first 2 shown]
	s_wait_loadcnt 0x1f
	s_wait_xcnt 0x1
	v_dual_mov_b32 v12, v10 :: v_dual_mov_b32 v14, v11
	v_add_nc_u32_e32 v6, 0x580, v6
	s_wait_loadcnt 0x1d
	s_delay_alu instid0(VALU_DEP_2) | instskip(SKIP_1) | instid1(VALU_DEP_1)
	v_pk_fma_f32 v[0:1], v[12:13], v[4:5], v[0:1] op_sel_hi:[1,0,1]
	s_wait_loadcnt 0x1b
	v_pk_fma_f32 v[0:1], v[14:15], v[16:17], v[0:1] op_sel_hi:[1,0,1]
	s_wait_loadcnt 0x18
	s_delay_alu instid0(VALU_DEP_1) | instskip(SKIP_1) | instid1(VALU_DEP_1)
	v_pk_fma_f32 v[0:1], v[18:19], v[20:21], v[0:1] op_sel_hi:[1,0,1]
	s_wait_loadcnt 0x15
	v_pk_fma_f32 v[0:1], v[22:23], v[24:25], v[0:1] op_sel_hi:[1,0,1]
	s_wait_loadcnt 0x12
	s_delay_alu instid0(VALU_DEP_1) | instskip(SKIP_1) | instid1(VALU_DEP_1)
	;; [unrolled: 5-line block ×4, first 2 shown]
	v_pk_fma_f32 v[0:1], v[42:43], v[44:45], v[0:1] op_sel_hi:[1,0,1]
	s_wait_loadcnt 0x3
	v_pk_fma_f32 v[0:1], v[46:47], v[48:49], v[0:1] op_sel_hi:[1,0,1]
	s_wait_loadcnt 0x0
	s_delay_alu instid0(VALU_DEP_1)
	v_pk_fma_f32 v[0:1], v[50:51], v[52:53], v[0:1] op_sel_hi:[1,0,1]
	s_and_not1_b32 exec_lo, exec_lo, s2
	s_cbranch_execnz .LBB49_15
; %bb.16:
	s_or_b32 exec_lo, exec_lo, s2
.LBB49_17:
	s_delay_alu instid0(SALU_CYCLE_1)
	s_or_b32 exec_lo, exec_lo, s3
.LBB49_18:
	v_mbcnt_lo_u32_b32 v6, -1, 0
	s_mov_b32 s2, -1
	s_delay_alu instid0(VALU_DEP_1) | instskip(SKIP_1) | instid1(VALU_DEP_1)
	v_xor_b32_e32 v7, 16, v6
	v_or_b32_e32 v4, 32, v6
	v_cmp_gt_i32_e32 vcc_lo, 32, v4
	v_cndmask_b32_e32 v4, v6, v4, vcc_lo
	s_delay_alu instid0(VALU_DEP_4) | instskip(SKIP_1) | instid1(VALU_DEP_1)
	v_cmp_gt_i32_e32 vcc_lo, 32, v7
	v_cndmask_b32_e32 v7, v6, v7, vcc_lo
	v_dual_lshlrev_b32 v7, 2, v7 :: v_dual_lshlrev_b32 v5, 2, v4
	ds_bpermute_b32 v4, v5, v0
	ds_bpermute_b32 v5, v5, v1
	s_wait_dscnt 0x0
	v_pk_add_f32 v[0:1], v[0:1], v[4:5]
	ds_bpermute_b32 v4, v7, v0
	ds_bpermute_b32 v5, v7, v1
	v_xor_b32_e32 v7, 8, v6
	s_delay_alu instid0(VALU_DEP_1) | instskip(SKIP_1) | instid1(VALU_DEP_1)
	v_cmp_gt_i32_e32 vcc_lo, 32, v7
	v_cndmask_b32_e32 v7, v6, v7, vcc_lo
	v_lshlrev_b32_e32 v7, 2, v7
	s_wait_dscnt 0x0
	v_pk_add_f32 v[0:1], v[0:1], v[4:5]
	ds_bpermute_b32 v4, v7, v0
	ds_bpermute_b32 v5, v7, v1
	v_xor_b32_e32 v7, 4, v6
	s_delay_alu instid0(VALU_DEP_1) | instskip(SKIP_1) | instid1(VALU_DEP_1)
	v_cmp_gt_i32_e32 vcc_lo, 32, v7
	v_cndmask_b32_e32 v7, v6, v7, vcc_lo
	v_lshlrev_b32_e32 v7, 2, v7
	;; [unrolled: 9-line block ×3, first 2 shown]
	s_wait_dscnt 0x0
	v_pk_add_f32 v[0:1], v[0:1], v[4:5]
	ds_bpermute_b32 v4, v7, v0
	ds_bpermute_b32 v5, v7, v1
	v_xor_b32_e32 v7, 1, v6
	s_delay_alu instid0(VALU_DEP_1) | instskip(SKIP_2) | instid1(VALU_DEP_2)
	v_cmp_gt_i32_e32 vcc_lo, 32, v7
	v_cndmask_b32_e32 v6, v6, v7, vcc_lo
	v_cmp_eq_u32_e32 vcc_lo, 63, v3
	v_lshlrev_b32_e32 v6, 2, v6
	s_wait_dscnt 0x0
	v_pk_add_f32 v[0:1], v[0:1], v[4:5]
	ds_bpermute_b32 v4, v6, v0
	ds_bpermute_b32 v5, v6, v1
	s_and_b32 exec_lo, exec_lo, vcc_lo
	s_cbranch_execz .LBB49_23
; %bb.19:
	s_load_b64 s[0:1], s[0:1], 0x38
	s_wait_dscnt 0x0
	v_pk_add_f32 v[0:1], v[0:1], v[4:5]
	v_lshlrev_b32_e32 v2, 1, v2
	s_cmp_eq_f32 s12, 0
	s_cbranch_scc0 .LBB49_21
; %bb.20:
	s_delay_alu instid0(VALU_DEP_1) | instskip(SKIP_3) | instid1(VALU_DEP_2)
	v_ashrrev_i32_e32 v3, 31, v2
	v_pk_mul_f32 v[6:7], s[14:15], v[0:1] op_sel_hi:[0,1]
	s_mov_b32 s2, 0
	s_wait_kmcnt 0x0
	v_lshl_add_u64 v[4:5], v[2:3], 2, s[0:1]
	global_store_b64 v[4:5], v[6:7], off
.LBB49_21:
	s_and_not1_b32 vcc_lo, exec_lo, s2
	s_cbranch_vccnz .LBB49_23
; %bb.22:
	v_ashrrev_i32_e32 v3, 31, v2
	v_pk_mul_f32 v[0:1], s[14:15], v[0:1] op_sel_hi:[0,1]
	s_wait_kmcnt 0x0
	s_delay_alu instid0(VALU_DEP_2)
	v_lshl_add_u64 v[2:3], v[2:3], 2, s[0:1]
	global_load_b64 v[4:5], v[2:3], off
	s_wait_loadcnt 0x0
	v_pk_fma_f32 v[0:1], s[12:13], v[4:5], v[0:1] op_sel_hi:[0,1,1]
	global_store_b64 v[2:3], v[0:1], off
.LBB49_23:
	s_endpgm
	.section	.rodata,"a",@progbits
	.p2align	6, 0x0
	.amdhsa_kernel _ZN9rocsparseL19gebsrmvn_2xn_kernelILj128ELj11ELj64EfEEvi20rocsparse_direction_NS_24const_host_device_scalarIT2_EEPKiS6_PKS3_S8_S4_PS3_21rocsparse_index_base_b
		.amdhsa_group_segment_fixed_size 0
		.amdhsa_private_segment_fixed_size 0
		.amdhsa_kernarg_size 72
		.amdhsa_user_sgpr_count 2
		.amdhsa_user_sgpr_dispatch_ptr 0
		.amdhsa_user_sgpr_queue_ptr 0
		.amdhsa_user_sgpr_kernarg_segment_ptr 1
		.amdhsa_user_sgpr_dispatch_id 0
		.amdhsa_user_sgpr_kernarg_preload_length 0
		.amdhsa_user_sgpr_kernarg_preload_offset 0
		.amdhsa_user_sgpr_private_segment_size 0
		.amdhsa_wavefront_size32 1
		.amdhsa_uses_dynamic_stack 0
		.amdhsa_enable_private_segment 0
		.amdhsa_system_sgpr_workgroup_id_x 1
		.amdhsa_system_sgpr_workgroup_id_y 0
		.amdhsa_system_sgpr_workgroup_id_z 0
		.amdhsa_system_sgpr_workgroup_info 0
		.amdhsa_system_vgpr_workitem_id 0
		.amdhsa_next_free_vgpr 56
		.amdhsa_next_free_sgpr 18
		.amdhsa_named_barrier_count 0
		.amdhsa_reserve_vcc 1
		.amdhsa_float_round_mode_32 0
		.amdhsa_float_round_mode_16_64 0
		.amdhsa_float_denorm_mode_32 3
		.amdhsa_float_denorm_mode_16_64 3
		.amdhsa_fp16_overflow 0
		.amdhsa_memory_ordered 1
		.amdhsa_forward_progress 1
		.amdhsa_inst_pref_size 20
		.amdhsa_round_robin_scheduling 0
		.amdhsa_exception_fp_ieee_invalid_op 0
		.amdhsa_exception_fp_denorm_src 0
		.amdhsa_exception_fp_ieee_div_zero 0
		.amdhsa_exception_fp_ieee_overflow 0
		.amdhsa_exception_fp_ieee_underflow 0
		.amdhsa_exception_fp_ieee_inexact 0
		.amdhsa_exception_int_div_zero 0
	.end_amdhsa_kernel
	.section	.text._ZN9rocsparseL19gebsrmvn_2xn_kernelILj128ELj11ELj64EfEEvi20rocsparse_direction_NS_24const_host_device_scalarIT2_EEPKiS6_PKS3_S8_S4_PS3_21rocsparse_index_base_b,"axG",@progbits,_ZN9rocsparseL19gebsrmvn_2xn_kernelILj128ELj11ELj64EfEEvi20rocsparse_direction_NS_24const_host_device_scalarIT2_EEPKiS6_PKS3_S8_S4_PS3_21rocsparse_index_base_b,comdat
.Lfunc_end49:
	.size	_ZN9rocsparseL19gebsrmvn_2xn_kernelILj128ELj11ELj64EfEEvi20rocsparse_direction_NS_24const_host_device_scalarIT2_EEPKiS6_PKS3_S8_S4_PS3_21rocsparse_index_base_b, .Lfunc_end49-_ZN9rocsparseL19gebsrmvn_2xn_kernelILj128ELj11ELj64EfEEvi20rocsparse_direction_NS_24const_host_device_scalarIT2_EEPKiS6_PKS3_S8_S4_PS3_21rocsparse_index_base_b
                                        ; -- End function
	.set _ZN9rocsparseL19gebsrmvn_2xn_kernelILj128ELj11ELj64EfEEvi20rocsparse_direction_NS_24const_host_device_scalarIT2_EEPKiS6_PKS3_S8_S4_PS3_21rocsparse_index_base_b.num_vgpr, 56
	.set _ZN9rocsparseL19gebsrmvn_2xn_kernelILj128ELj11ELj64EfEEvi20rocsparse_direction_NS_24const_host_device_scalarIT2_EEPKiS6_PKS3_S8_S4_PS3_21rocsparse_index_base_b.num_agpr, 0
	.set _ZN9rocsparseL19gebsrmvn_2xn_kernelILj128ELj11ELj64EfEEvi20rocsparse_direction_NS_24const_host_device_scalarIT2_EEPKiS6_PKS3_S8_S4_PS3_21rocsparse_index_base_b.numbered_sgpr, 18
	.set _ZN9rocsparseL19gebsrmvn_2xn_kernelILj128ELj11ELj64EfEEvi20rocsparse_direction_NS_24const_host_device_scalarIT2_EEPKiS6_PKS3_S8_S4_PS3_21rocsparse_index_base_b.num_named_barrier, 0
	.set _ZN9rocsparseL19gebsrmvn_2xn_kernelILj128ELj11ELj64EfEEvi20rocsparse_direction_NS_24const_host_device_scalarIT2_EEPKiS6_PKS3_S8_S4_PS3_21rocsparse_index_base_b.private_seg_size, 0
	.set _ZN9rocsparseL19gebsrmvn_2xn_kernelILj128ELj11ELj64EfEEvi20rocsparse_direction_NS_24const_host_device_scalarIT2_EEPKiS6_PKS3_S8_S4_PS3_21rocsparse_index_base_b.uses_vcc, 1
	.set _ZN9rocsparseL19gebsrmvn_2xn_kernelILj128ELj11ELj64EfEEvi20rocsparse_direction_NS_24const_host_device_scalarIT2_EEPKiS6_PKS3_S8_S4_PS3_21rocsparse_index_base_b.uses_flat_scratch, 0
	.set _ZN9rocsparseL19gebsrmvn_2xn_kernelILj128ELj11ELj64EfEEvi20rocsparse_direction_NS_24const_host_device_scalarIT2_EEPKiS6_PKS3_S8_S4_PS3_21rocsparse_index_base_b.has_dyn_sized_stack, 0
	.set _ZN9rocsparseL19gebsrmvn_2xn_kernelILj128ELj11ELj64EfEEvi20rocsparse_direction_NS_24const_host_device_scalarIT2_EEPKiS6_PKS3_S8_S4_PS3_21rocsparse_index_base_b.has_recursion, 0
	.set _ZN9rocsparseL19gebsrmvn_2xn_kernelILj128ELj11ELj64EfEEvi20rocsparse_direction_NS_24const_host_device_scalarIT2_EEPKiS6_PKS3_S8_S4_PS3_21rocsparse_index_base_b.has_indirect_call, 0
	.section	.AMDGPU.csdata,"",@progbits
; Kernel info:
; codeLenInByte = 2452
; TotalNumSgprs: 20
; NumVgprs: 56
; ScratchSize: 0
; MemoryBound: 0
; FloatMode: 240
; IeeeMode: 1
; LDSByteSize: 0 bytes/workgroup (compile time only)
; SGPRBlocks: 0
; VGPRBlocks: 3
; NumSGPRsForWavesPerEU: 20
; NumVGPRsForWavesPerEU: 56
; NamedBarCnt: 0
; Occupancy: 16
; WaveLimiterHint : 1
; COMPUTE_PGM_RSRC2:SCRATCH_EN: 0
; COMPUTE_PGM_RSRC2:USER_SGPR: 2
; COMPUTE_PGM_RSRC2:TRAP_HANDLER: 0
; COMPUTE_PGM_RSRC2:TGID_X_EN: 1
; COMPUTE_PGM_RSRC2:TGID_Y_EN: 0
; COMPUTE_PGM_RSRC2:TGID_Z_EN: 0
; COMPUTE_PGM_RSRC2:TIDIG_COMP_CNT: 0
	.section	.text._ZN9rocsparseL19gebsrmvn_2xn_kernelILj128ELj12ELj4EfEEvi20rocsparse_direction_NS_24const_host_device_scalarIT2_EEPKiS6_PKS3_S8_S4_PS3_21rocsparse_index_base_b,"axG",@progbits,_ZN9rocsparseL19gebsrmvn_2xn_kernelILj128ELj12ELj4EfEEvi20rocsparse_direction_NS_24const_host_device_scalarIT2_EEPKiS6_PKS3_S8_S4_PS3_21rocsparse_index_base_b,comdat
	.globl	_ZN9rocsparseL19gebsrmvn_2xn_kernelILj128ELj12ELj4EfEEvi20rocsparse_direction_NS_24const_host_device_scalarIT2_EEPKiS6_PKS3_S8_S4_PS3_21rocsparse_index_base_b ; -- Begin function _ZN9rocsparseL19gebsrmvn_2xn_kernelILj128ELj12ELj4EfEEvi20rocsparse_direction_NS_24const_host_device_scalarIT2_EEPKiS6_PKS3_S8_S4_PS3_21rocsparse_index_base_b
	.p2align	8
	.type	_ZN9rocsparseL19gebsrmvn_2xn_kernelILj128ELj12ELj4EfEEvi20rocsparse_direction_NS_24const_host_device_scalarIT2_EEPKiS6_PKS3_S8_S4_PS3_21rocsparse_index_base_b,@function
_ZN9rocsparseL19gebsrmvn_2xn_kernelILj128ELj12ELj4EfEEvi20rocsparse_direction_NS_24const_host_device_scalarIT2_EEPKiS6_PKS3_S8_S4_PS3_21rocsparse_index_base_b: ; @_ZN9rocsparseL19gebsrmvn_2xn_kernelILj128ELj12ELj4EfEEvi20rocsparse_direction_NS_24const_host_device_scalarIT2_EEPKiS6_PKS3_S8_S4_PS3_21rocsparse_index_base_b
; %bb.0:
	s_clause 0x2
	s_load_b64 s[16:17], s[0:1], 0x40
	s_load_b64 s[14:15], s[0:1], 0x8
	;; [unrolled: 1-line block ×3, first 2 shown]
	s_wait_kmcnt 0x0
	s_bitcmp1_b32 s17, 0
	s_cselect_b32 s2, -1, 0
	s_delay_alu instid0(SALU_CYCLE_1)
	s_and_b32 vcc_lo, exec_lo, s2
	s_xor_b32 s2, s2, -1
	s_cbranch_vccnz .LBB50_2
; %bb.1:
	s_load_b32 s14, s[14:15], 0x0
.LBB50_2:
	s_and_not1_b32 vcc_lo, exec_lo, s2
	s_cbranch_vccnz .LBB50_4
; %bb.3:
	s_load_b32 s12, s[12:13], 0x0
.LBB50_4:
	s_wait_kmcnt 0x0
	s_cmp_eq_f32 s14, 0
	s_cselect_b32 s2, -1, 0
	s_cmp_eq_f32 s12, 1.0
	s_cselect_b32 s3, -1, 0
	s_delay_alu instid0(SALU_CYCLE_1) | instskip(NEXT) | instid1(SALU_CYCLE_1)
	s_and_b32 s2, s2, s3
	s_and_b32 vcc_lo, exec_lo, s2
	s_cbranch_vccnz .LBB50_23
; %bb.5:
	s_load_b64 s[2:3], s[0:1], 0x0
	s_bfe_u32 s4, ttmp6, 0x4000c
	s_and_b32 s5, ttmp6, 15
	s_add_co_i32 s4, s4, 1
	s_getreg_b32 s6, hwreg(HW_REG_IB_STS2, 6, 4)
	s_mul_i32 s4, ttmp9, s4
	v_lshrrev_b32_e32 v1, 2, v0
	s_add_co_i32 s5, s5, s4
	s_cmp_eq_u32 s6, 0
	s_cselect_b32 s4, ttmp9, s5
	s_delay_alu instid0(VALU_DEP_1) | instid1(SALU_CYCLE_1)
	v_lshl_or_b32 v2, s4, 5, v1
	s_wait_kmcnt 0x0
	s_delay_alu instid0(VALU_DEP_1)
	v_cmp_gt_i32_e32 vcc_lo, s2, v2
	s_and_saveexec_b32 s2, vcc_lo
	s_cbranch_execz .LBB50_23
; %bb.6:
	s_load_b256 s[4:11], s[0:1], 0x10
	v_ashrrev_i32_e32 v3, 31, v2
	s_cmp_lg_u32 s3, 0
	s_wait_kmcnt 0x0
	s_delay_alu instid0(VALU_DEP_1)
	v_lshl_add_u64 v[4:5], v[2:3], 2, s[4:5]
	v_and_b32_e32 v3, 3, v0
	global_load_b64 v[4:5], v[4:5], off
	s_wait_loadcnt 0x0
	v_subrev_nc_u32_e32 v0, s16, v4
	v_subrev_nc_u32_e32 v8, s16, v5
	s_delay_alu instid0(VALU_DEP_2) | instskip(NEXT) | instid1(VALU_DEP_1)
	v_add_nc_u32_e32 v9, v0, v3
	v_cmp_lt_i32_e64 s2, v9, v8
	s_cbranch_scc0 .LBB50_12
; %bb.7:
	v_mov_b32_e32 v1, 0
	s_delay_alu instid0(VALU_DEP_1)
	v_mov_b32_e32 v0, v1
	s_and_saveexec_b32 s3, s2
	s_cbranch_execz .LBB50_11
; %bb.8:
	v_mad_u32 v4, v9, 24, 22
	v_dual_mov_b32 v7, 0 :: v_dual_mov_b32 v10, v9
	s_mov_b32 s4, 0
	s_delay_alu instid0(VALU_DEP_1)
	v_dual_mov_b32 v0, v7 :: v_dual_mov_b32 v1, v7
.LBB50_9:                               ; =>This Inner Loop Header: Depth=1
	global_load_b32 v5, v10, s[6:7] scale_offset
	v_subrev_nc_u32_e32 v6, 22, v4
	s_wait_xcnt 0x0
	v_dual_mov_b32 v29, v7 :: v_dual_add_nc_u32 v10, 4, v10
	s_delay_alu instid0(VALU_DEP_2)
	v_lshl_add_u64 v[20:21], v[6:7], 2, s[8:9]
	v_add_nc_u32_e32 v6, -14, v4
	s_clause 0x1
	global_load_b128 v[12:15], v[20:21], off offset:16
	global_load_b128 v[16:19], v[20:21], off
	v_lshl_add_u64 v[24:25], v[6:7], 2, s[8:9]
	v_cmp_ge_i32_e32 vcc_lo, v10, v8
	s_or_b32 s4, vcc_lo, s4
	s_wait_loadcnt 0x2
	v_subrev_nc_u32_e32 v5, s16, v5
	s_delay_alu instid0(VALU_DEP_1) | instskip(SKIP_1) | instid1(VALU_DEP_1)
	v_mul_lo_u32 v28, v5, 12
	v_mov_b32_e32 v5, v7
	v_lshl_add_u64 v[46:47], v[4:5], 2, s[8:9]
	s_delay_alu instid0(VALU_DEP_3) | instskip(SKIP_4) | instid1(VALU_DEP_1)
	v_lshl_add_u64 v[26:27], v[28:29], 2, s[10:11]
	global_load_b64 v[32:33], v[24:25], off
	global_load_b128 v[20:23], v[26:27], off
	v_add_nc_u32_e32 v6, 4, v28
	s_wait_xcnt 0x1
	v_lshl_add_u64 v[24:25], v[6:7], 2, s[10:11]
	v_add_nc_u32_e32 v6, -12, v4
	global_load_b128 v[24:27], v[24:25], off
	v_lshl_add_u64 v[30:31], v[6:7], 2, s[8:9]
	v_add_nc_u32_e32 v6, -10, v4
	global_load_b64 v[36:37], v[30:31], off
	v_lshl_add_u64 v[34:35], v[6:7], 2, s[8:9]
	v_add_nc_u32_e32 v6, -8, v4
	global_load_b64 v[34:35], v[34:35], off
	s_wait_xcnt 0x1
	v_lshl_add_u64 v[30:31], v[6:7], 2, s[8:9]
	v_add_nc_u32_e32 v6, -6, v4
	global_load_b64 v[40:41], v[30:31], off
	v_lshl_add_u64 v[38:39], v[6:7], 2, s[8:9]
	v_add_nc_u32_e32 v6, 8, v28
	s_delay_alu instid0(VALU_DEP_1)
	v_lshl_add_u64 v[42:43], v[6:7], 2, s[10:11]
	v_add_nc_u32_e32 v6, -4, v4
	global_load_b64 v[44:45], v[38:39], off
	global_load_b128 v[28:31], v[42:43], off
	s_wait_xcnt 0x1
	v_lshl_add_u64 v[38:39], v[6:7], 2, s[8:9]
	v_add_nc_u32_e32 v6, -2, v4
	v_add_nc_u32_e32 v4, 0x60, v4
	global_load_b64 v[38:39], v[38:39], off
	s_wait_xcnt 0x1
	v_lshl_add_u64 v[42:43], v[6:7], 2, s[8:9]
	s_clause 0x1
	global_load_b64 v[48:49], v[42:43], off
	global_load_b64 v[50:51], v[46:47], off
	s_wait_loadcnt 0x9
	v_pk_fma_f32 v[0:1], v[16:17], v[20:21], v[0:1] op_sel_hi:[1,0,1]
	v_mov_b32_e32 v6, v23
	s_delay_alu instid0(VALU_DEP_2) | instskip(NEXT) | instid1(VALU_DEP_1)
	v_pk_fma_f32 v[0:1], v[18:19], v[20:21], v[0:1] op_sel:[0,1,0]
	v_pk_fma_f32 v[0:1], v[12:13], v[22:23], v[0:1] op_sel_hi:[1,0,1]
	s_delay_alu instid0(VALU_DEP_1) | instskip(SKIP_2) | instid1(VALU_DEP_2)
	v_pk_fma_f32 v[0:1], v[14:15], v[6:7], v[0:1] op_sel_hi:[1,0,1]
	s_wait_loadcnt 0x8
	v_mov_b32_e32 v6, v27
	v_pk_fma_f32 v[0:1], v[32:33], v[24:25], v[0:1] op_sel_hi:[1,0,1]
	s_wait_loadcnt 0x7
	s_delay_alu instid0(VALU_DEP_1) | instskip(SKIP_1) | instid1(VALU_DEP_1)
	v_pk_fma_f32 v[0:1], v[36:37], v[24:25], v[0:1] op_sel:[0,1,0]
	s_wait_loadcnt 0x6
	v_pk_fma_f32 v[0:1], v[34:35], v[26:27], v[0:1] op_sel_hi:[1,0,1]
	s_wait_loadcnt 0x5
	s_delay_alu instid0(VALU_DEP_1) | instskip(SKIP_2) | instid1(VALU_DEP_2)
	v_pk_fma_f32 v[0:1], v[40:41], v[6:7], v[0:1] op_sel_hi:[1,0,1]
	s_wait_loadcnt 0x3
	v_mov_b32_e32 v6, v31
	v_pk_fma_f32 v[0:1], v[44:45], v[28:29], v[0:1] op_sel_hi:[1,0,1]
	s_wait_loadcnt 0x2
	s_delay_alu instid0(VALU_DEP_1) | instskip(SKIP_1) | instid1(VALU_DEP_1)
	v_pk_fma_f32 v[0:1], v[38:39], v[28:29], v[0:1] op_sel:[0,1,0]
	s_wait_loadcnt 0x1
	v_pk_fma_f32 v[0:1], v[48:49], v[30:31], v[0:1] op_sel_hi:[1,0,1]
	s_wait_loadcnt 0x0
	s_delay_alu instid0(VALU_DEP_1)
	v_pk_fma_f32 v[0:1], v[50:51], v[6:7], v[0:1] op_sel_hi:[1,0,1]
	s_and_not1_b32 exec_lo, exec_lo, s4
	s_cbranch_execnz .LBB50_9
; %bb.10:
	s_or_b32 exec_lo, exec_lo, s4
.LBB50_11:
	s_delay_alu instid0(SALU_CYCLE_1)
	s_or_b32 exec_lo, exec_lo, s3
	s_cbranch_execz .LBB50_13
	s_branch .LBB50_18
.LBB50_12:
                                        ; implicit-def: $vgpr1
.LBB50_13:
	v_mov_b32_e32 v1, 0
	s_delay_alu instid0(VALU_DEP_1)
	v_mov_b32_e32 v0, v1
	s_and_saveexec_b32 s3, s2
	s_cbranch_execz .LBB50_17
; %bb.14:
	v_mad_u32 v6, v9, 24, 23
	v_mov_b32_e32 v5, 0
	s_mov_b32 s2, 0
	s_delay_alu instid0(VALU_DEP_1)
	v_dual_mov_b32 v0, v5 :: v_dual_mov_b32 v1, v5
.LBB50_15:                              ; =>This Inner Loop Header: Depth=1
	global_load_b32 v4, v9, s[6:7] scale_offset
	v_dual_mov_b32 v27, v5 :: v_dual_add_nc_u32 v7, -10, v6
	v_dual_add_nc_u32 v30, -3, v6 :: v_dual_add_nc_u32 v32, -2, v6
	s_wait_loadcnt 0x0
	v_subrev_nc_u32_e32 v4, s16, v4
	s_delay_alu instid0(VALU_DEP_1) | instskip(SKIP_1) | instid1(VALU_DEP_1)
	v_mul_lo_u32 v26, v4, 12
	v_subrev_nc_u32_e32 v4, 23, v6
	v_lshl_add_u64 v[22:23], v[4:5], 2, s[8:9]
	v_add_nc_u32_e32 v4, -11, v6
	global_load_b128 v[10:13], v[22:23], off
	v_lshl_add_u64 v[18:19], v[26:27], 2, s[10:11]
	global_load_b32 v31, v4, s[8:9] scale_offset
	global_load_b128 v[14:17], v[18:19], off
	s_wait_xcnt 0x1
	v_add_nc_u32_e32 v4, -9, v6
	global_load_b32 v33, v7, s[8:9] scale_offset
	v_add_nc_u32_e32 v27, -7, v6
	global_load_b32 v35, v4, s[8:9] scale_offset
	s_wait_xcnt 0x1
	v_add_nc_u32_e32 v7, -8, v6
	s_wait_xcnt 0x0
	v_add_nc_u32_e32 v4, 4, v26
	s_clause 0x1
	global_load_b32 v37, v7, s[8:9] scale_offset
	global_load_b128 v[18:21], v[22:23], off offset:16
	v_lshl_add_u64 v[28:29], v[4:5], 2, s[10:11]
	s_wait_xcnt 0x1
	v_dual_add_nc_u32 v4, -6, v6 :: v_dual_add_nc_u32 v7, -5, v6
	global_load_b32 v39, v27, s[8:9] scale_offset
	global_load_b128 v[22:25], v[28:29], off
	s_wait_xcnt 0x1
	v_add_nc_u32_e32 v27, -4, v6
	s_clause 0x2
	global_load_b32 v41, v4, s[8:9] scale_offset
	global_load_b32 v43, v7, s[8:9] scale_offset
	;; [unrolled: 1-line block ×3, first 2 shown]
	s_wait_xcnt 0x2
	v_add_nc_u32_e32 v4, 8, v26
	s_wait_xcnt 0x1
	v_add_nc_u32_e32 v7, -15, v6
	s_delay_alu instid0(VALU_DEP_2)
	v_lshl_add_u64 v[46:47], v[4:5], 2, s[10:11]
	v_add_nc_u32_e32 v4, -14, v6
	s_clause 0x1
	global_load_b32 v48, v7, s[8:9] scale_offset
	global_load_b32 v49, v30, s[8:9] scale_offset
	global_load_b128 v[26:29], v[46:47], off
	s_wait_xcnt 0x2
	v_add_nc_u32_e32 v7, -13, v6
	s_clause 0x1
	global_load_b32 v46, v4, s[8:9] scale_offset
	global_load_b32 v47, v32, s[8:9] scale_offset
	s_wait_xcnt 0x1
	v_dual_add_nc_u32 v30, -1, v6 :: v_dual_add_nc_u32 v4, -12, v6
	s_clause 0x3
	global_load_b32 v50, v7, s[8:9] scale_offset
	global_load_b32 v51, v30, s[8:9] scale_offset
	;; [unrolled: 1-line block ×4, first 2 shown]
	v_add_nc_u32_e32 v9, 4, v9
	s_wait_xcnt 0x0
	v_add_nc_u32_e32 v6, 0x60, v6
	s_wait_loadcnt 0x14
	v_dual_mov_b32 v30, v10 :: v_dual_mov_b32 v32, v11
	v_dual_mov_b32 v34, v12 :: v_dual_mov_b32 v36, v13
	s_wait_loadcnt 0x12
	s_delay_alu instid0(VALU_DEP_2) | instskip(SKIP_2) | instid1(VALU_DEP_2)
	v_pk_fma_f32 v[0:1], v[30:31], v[14:15], v[0:1] op_sel_hi:[1,0,1]
	v_mov_b32_e32 v4, v17
	s_wait_loadcnt 0x11
	v_pk_fma_f32 v[0:1], v[32:33], v[14:15], v[0:1] op_sel:[0,1,0]
	s_wait_loadcnt 0x10
	s_delay_alu instid0(VALU_DEP_1) | instskip(SKIP_3) | instid1(VALU_DEP_3)
	v_pk_fma_f32 v[0:1], v[34:35], v[16:17], v[0:1] op_sel_hi:[1,0,1]
	s_wait_loadcnt 0xe
	v_dual_mov_b32 v38, v18 :: v_dual_mov_b32 v40, v19
	v_mov_b32_e32 v42, v20
	v_pk_fma_f32 v[0:1], v[36:37], v[4:5], v[0:1] op_sel_hi:[1,0,1]
	s_wait_loadcnt 0xc
	v_dual_mov_b32 v44, v21 :: v_dual_mov_b32 v4, v25
	s_delay_alu instid0(VALU_DEP_2) | instskip(SKIP_1) | instid1(VALU_DEP_1)
	v_pk_fma_f32 v[0:1], v[38:39], v[22:23], v[0:1] op_sel_hi:[1,0,1]
	s_wait_loadcnt 0xb
	v_pk_fma_f32 v[0:1], v[40:41], v[22:23], v[0:1] op_sel:[0,1,0]
	s_wait_loadcnt 0xa
	s_delay_alu instid0(VALU_DEP_1) | instskip(SKIP_1) | instid1(VALU_DEP_1)
	v_pk_fma_f32 v[0:1], v[42:43], v[24:25], v[0:1] op_sel_hi:[1,0,1]
	s_wait_loadcnt 0x9
	v_pk_fma_f32 v[0:1], v[44:45], v[4:5], v[0:1] op_sel_hi:[1,0,1]
	s_wait_loadcnt 0x6
	v_mov_b32_e32 v4, v29
	v_cmp_ge_i32_e32 vcc_lo, v9, v8
	s_delay_alu instid0(VALU_DEP_3) | instskip(SKIP_2) | instid1(VALU_DEP_1)
	v_pk_fma_f32 v[0:1], v[48:49], v[26:27], v[0:1] op_sel_hi:[1,0,1]
	s_or_b32 s2, vcc_lo, s2
	s_wait_loadcnt 0x4
	v_pk_fma_f32 v[0:1], v[46:47], v[26:27], v[0:1] op_sel:[0,1,0]
	s_wait_loadcnt 0x2
	s_delay_alu instid0(VALU_DEP_1) | instskip(SKIP_1) | instid1(VALU_DEP_1)
	v_pk_fma_f32 v[0:1], v[50:51], v[28:29], v[0:1] op_sel_hi:[1,0,1]
	s_wait_loadcnt 0x0
	v_pk_fma_f32 v[0:1], v[52:53], v[4:5], v[0:1] op_sel_hi:[1,0,1]
	s_and_not1_b32 exec_lo, exec_lo, s2
	s_cbranch_execnz .LBB50_15
; %bb.16:
	s_or_b32 exec_lo, exec_lo, s2
.LBB50_17:
	s_delay_alu instid0(SALU_CYCLE_1)
	s_or_b32 exec_lo, exec_lo, s3
.LBB50_18:
	v_mbcnt_lo_u32_b32 v6, -1, 0
	s_mov_b32 s2, -1
	s_delay_alu instid0(VALU_DEP_1) | instskip(SKIP_1) | instid1(VALU_DEP_1)
	v_xor_b32_e32 v7, 1, v6
	v_xor_b32_e32 v4, 2, v6
	v_cmp_gt_i32_e32 vcc_lo, 32, v4
	v_cndmask_b32_e32 v4, v6, v4, vcc_lo
	s_delay_alu instid0(VALU_DEP_4) | instskip(SKIP_2) | instid1(VALU_DEP_2)
	v_cmp_gt_i32_e32 vcc_lo, 32, v7
	v_cndmask_b32_e32 v6, v6, v7, vcc_lo
	v_cmp_eq_u32_e32 vcc_lo, 3, v3
	v_dual_lshlrev_b32 v6, 2, v6 :: v_dual_lshlrev_b32 v5, 2, v4
	ds_bpermute_b32 v4, v5, v0
	ds_bpermute_b32 v5, v5, v1
	s_wait_dscnt 0x0
	v_pk_add_f32 v[0:1], v[0:1], v[4:5]
	ds_bpermute_b32 v4, v6, v0
	ds_bpermute_b32 v5, v6, v1
	s_and_b32 exec_lo, exec_lo, vcc_lo
	s_cbranch_execz .LBB50_23
; %bb.19:
	s_load_b64 s[0:1], s[0:1], 0x38
	s_wait_dscnt 0x0
	v_pk_add_f32 v[0:1], v[0:1], v[4:5]
	v_lshlrev_b32_e32 v2, 1, v2
	s_cmp_eq_f32 s12, 0
	s_cbranch_scc0 .LBB50_21
; %bb.20:
	s_delay_alu instid0(VALU_DEP_1) | instskip(SKIP_3) | instid1(VALU_DEP_2)
	v_ashrrev_i32_e32 v3, 31, v2
	v_pk_mul_f32 v[6:7], s[14:15], v[0:1] op_sel_hi:[0,1]
	s_mov_b32 s2, 0
	s_wait_kmcnt 0x0
	v_lshl_add_u64 v[4:5], v[2:3], 2, s[0:1]
	global_store_b64 v[4:5], v[6:7], off
.LBB50_21:
	s_and_not1_b32 vcc_lo, exec_lo, s2
	s_cbranch_vccnz .LBB50_23
; %bb.22:
	v_ashrrev_i32_e32 v3, 31, v2
	v_pk_mul_f32 v[0:1], s[14:15], v[0:1] op_sel_hi:[0,1]
	s_wait_kmcnt 0x0
	s_delay_alu instid0(VALU_DEP_2)
	v_lshl_add_u64 v[2:3], v[2:3], 2, s[0:1]
	global_load_b64 v[4:5], v[2:3], off
	s_wait_loadcnt 0x0
	v_pk_fma_f32 v[0:1], s[12:13], v[4:5], v[0:1] op_sel_hi:[0,1,1]
	global_store_b64 v[2:3], v[0:1], off
.LBB50_23:
	s_endpgm
	.section	.rodata,"a",@progbits
	.p2align	6, 0x0
	.amdhsa_kernel _ZN9rocsparseL19gebsrmvn_2xn_kernelILj128ELj12ELj4EfEEvi20rocsparse_direction_NS_24const_host_device_scalarIT2_EEPKiS6_PKS3_S8_S4_PS3_21rocsparse_index_base_b
		.amdhsa_group_segment_fixed_size 0
		.amdhsa_private_segment_fixed_size 0
		.amdhsa_kernarg_size 72
		.amdhsa_user_sgpr_count 2
		.amdhsa_user_sgpr_dispatch_ptr 0
		.amdhsa_user_sgpr_queue_ptr 0
		.amdhsa_user_sgpr_kernarg_segment_ptr 1
		.amdhsa_user_sgpr_dispatch_id 0
		.amdhsa_user_sgpr_kernarg_preload_length 0
		.amdhsa_user_sgpr_kernarg_preload_offset 0
		.amdhsa_user_sgpr_private_segment_size 0
		.amdhsa_wavefront_size32 1
		.amdhsa_uses_dynamic_stack 0
		.amdhsa_enable_private_segment 0
		.amdhsa_system_sgpr_workgroup_id_x 1
		.amdhsa_system_sgpr_workgroup_id_y 0
		.amdhsa_system_sgpr_workgroup_id_z 0
		.amdhsa_system_sgpr_workgroup_info 0
		.amdhsa_system_vgpr_workitem_id 0
		.amdhsa_next_free_vgpr 54
		.amdhsa_next_free_sgpr 18
		.amdhsa_named_barrier_count 0
		.amdhsa_reserve_vcc 1
		.amdhsa_float_round_mode_32 0
		.amdhsa_float_round_mode_16_64 0
		.amdhsa_float_denorm_mode_32 3
		.amdhsa_float_denorm_mode_16_64 3
		.amdhsa_fp16_overflow 0
		.amdhsa_memory_ordered 1
		.amdhsa_forward_progress 1
		.amdhsa_inst_pref_size 16
		.amdhsa_round_robin_scheduling 0
		.amdhsa_exception_fp_ieee_invalid_op 0
		.amdhsa_exception_fp_denorm_src 0
		.amdhsa_exception_fp_ieee_div_zero 0
		.amdhsa_exception_fp_ieee_overflow 0
		.amdhsa_exception_fp_ieee_underflow 0
		.amdhsa_exception_fp_ieee_inexact 0
		.amdhsa_exception_int_div_zero 0
	.end_amdhsa_kernel
	.section	.text._ZN9rocsparseL19gebsrmvn_2xn_kernelILj128ELj12ELj4EfEEvi20rocsparse_direction_NS_24const_host_device_scalarIT2_EEPKiS6_PKS3_S8_S4_PS3_21rocsparse_index_base_b,"axG",@progbits,_ZN9rocsparseL19gebsrmvn_2xn_kernelILj128ELj12ELj4EfEEvi20rocsparse_direction_NS_24const_host_device_scalarIT2_EEPKiS6_PKS3_S8_S4_PS3_21rocsparse_index_base_b,comdat
.Lfunc_end50:
	.size	_ZN9rocsparseL19gebsrmvn_2xn_kernelILj128ELj12ELj4EfEEvi20rocsparse_direction_NS_24const_host_device_scalarIT2_EEPKiS6_PKS3_S8_S4_PS3_21rocsparse_index_base_b, .Lfunc_end50-_ZN9rocsparseL19gebsrmvn_2xn_kernelILj128ELj12ELj4EfEEvi20rocsparse_direction_NS_24const_host_device_scalarIT2_EEPKiS6_PKS3_S8_S4_PS3_21rocsparse_index_base_b
                                        ; -- End function
	.set _ZN9rocsparseL19gebsrmvn_2xn_kernelILj128ELj12ELj4EfEEvi20rocsparse_direction_NS_24const_host_device_scalarIT2_EEPKiS6_PKS3_S8_S4_PS3_21rocsparse_index_base_b.num_vgpr, 54
	.set _ZN9rocsparseL19gebsrmvn_2xn_kernelILj128ELj12ELj4EfEEvi20rocsparse_direction_NS_24const_host_device_scalarIT2_EEPKiS6_PKS3_S8_S4_PS3_21rocsparse_index_base_b.num_agpr, 0
	.set _ZN9rocsparseL19gebsrmvn_2xn_kernelILj128ELj12ELj4EfEEvi20rocsparse_direction_NS_24const_host_device_scalarIT2_EEPKiS6_PKS3_S8_S4_PS3_21rocsparse_index_base_b.numbered_sgpr, 18
	.set _ZN9rocsparseL19gebsrmvn_2xn_kernelILj128ELj12ELj4EfEEvi20rocsparse_direction_NS_24const_host_device_scalarIT2_EEPKiS6_PKS3_S8_S4_PS3_21rocsparse_index_base_b.num_named_barrier, 0
	.set _ZN9rocsparseL19gebsrmvn_2xn_kernelILj128ELj12ELj4EfEEvi20rocsparse_direction_NS_24const_host_device_scalarIT2_EEPKiS6_PKS3_S8_S4_PS3_21rocsparse_index_base_b.private_seg_size, 0
	.set _ZN9rocsparseL19gebsrmvn_2xn_kernelILj128ELj12ELj4EfEEvi20rocsparse_direction_NS_24const_host_device_scalarIT2_EEPKiS6_PKS3_S8_S4_PS3_21rocsparse_index_base_b.uses_vcc, 1
	.set _ZN9rocsparseL19gebsrmvn_2xn_kernelILj128ELj12ELj4EfEEvi20rocsparse_direction_NS_24const_host_device_scalarIT2_EEPKiS6_PKS3_S8_S4_PS3_21rocsparse_index_base_b.uses_flat_scratch, 0
	.set _ZN9rocsparseL19gebsrmvn_2xn_kernelILj128ELj12ELj4EfEEvi20rocsparse_direction_NS_24const_host_device_scalarIT2_EEPKiS6_PKS3_S8_S4_PS3_21rocsparse_index_base_b.has_dyn_sized_stack, 0
	.set _ZN9rocsparseL19gebsrmvn_2xn_kernelILj128ELj12ELj4EfEEvi20rocsparse_direction_NS_24const_host_device_scalarIT2_EEPKiS6_PKS3_S8_S4_PS3_21rocsparse_index_base_b.has_recursion, 0
	.set _ZN9rocsparseL19gebsrmvn_2xn_kernelILj128ELj12ELj4EfEEvi20rocsparse_direction_NS_24const_host_device_scalarIT2_EEPKiS6_PKS3_S8_S4_PS3_21rocsparse_index_base_b.has_indirect_call, 0
	.section	.AMDGPU.csdata,"",@progbits
; Kernel info:
; codeLenInByte = 1972
; TotalNumSgprs: 20
; NumVgprs: 54
; ScratchSize: 0
; MemoryBound: 0
; FloatMode: 240
; IeeeMode: 1
; LDSByteSize: 0 bytes/workgroup (compile time only)
; SGPRBlocks: 0
; VGPRBlocks: 3
; NumSGPRsForWavesPerEU: 20
; NumVGPRsForWavesPerEU: 54
; NamedBarCnt: 0
; Occupancy: 16
; WaveLimiterHint : 1
; COMPUTE_PGM_RSRC2:SCRATCH_EN: 0
; COMPUTE_PGM_RSRC2:USER_SGPR: 2
; COMPUTE_PGM_RSRC2:TRAP_HANDLER: 0
; COMPUTE_PGM_RSRC2:TGID_X_EN: 1
; COMPUTE_PGM_RSRC2:TGID_Y_EN: 0
; COMPUTE_PGM_RSRC2:TGID_Z_EN: 0
; COMPUTE_PGM_RSRC2:TIDIG_COMP_CNT: 0
	.section	.text._ZN9rocsparseL19gebsrmvn_2xn_kernelILj128ELj12ELj8EfEEvi20rocsparse_direction_NS_24const_host_device_scalarIT2_EEPKiS6_PKS3_S8_S4_PS3_21rocsparse_index_base_b,"axG",@progbits,_ZN9rocsparseL19gebsrmvn_2xn_kernelILj128ELj12ELj8EfEEvi20rocsparse_direction_NS_24const_host_device_scalarIT2_EEPKiS6_PKS3_S8_S4_PS3_21rocsparse_index_base_b,comdat
	.globl	_ZN9rocsparseL19gebsrmvn_2xn_kernelILj128ELj12ELj8EfEEvi20rocsparse_direction_NS_24const_host_device_scalarIT2_EEPKiS6_PKS3_S8_S4_PS3_21rocsparse_index_base_b ; -- Begin function _ZN9rocsparseL19gebsrmvn_2xn_kernelILj128ELj12ELj8EfEEvi20rocsparse_direction_NS_24const_host_device_scalarIT2_EEPKiS6_PKS3_S8_S4_PS3_21rocsparse_index_base_b
	.p2align	8
	.type	_ZN9rocsparseL19gebsrmvn_2xn_kernelILj128ELj12ELj8EfEEvi20rocsparse_direction_NS_24const_host_device_scalarIT2_EEPKiS6_PKS3_S8_S4_PS3_21rocsparse_index_base_b,@function
_ZN9rocsparseL19gebsrmvn_2xn_kernelILj128ELj12ELj8EfEEvi20rocsparse_direction_NS_24const_host_device_scalarIT2_EEPKiS6_PKS3_S8_S4_PS3_21rocsparse_index_base_b: ; @_ZN9rocsparseL19gebsrmvn_2xn_kernelILj128ELj12ELj8EfEEvi20rocsparse_direction_NS_24const_host_device_scalarIT2_EEPKiS6_PKS3_S8_S4_PS3_21rocsparse_index_base_b
; %bb.0:
	s_clause 0x2
	s_load_b64 s[16:17], s[0:1], 0x40
	s_load_b64 s[14:15], s[0:1], 0x8
	;; [unrolled: 1-line block ×3, first 2 shown]
	s_wait_kmcnt 0x0
	s_bitcmp1_b32 s17, 0
	s_cselect_b32 s2, -1, 0
	s_delay_alu instid0(SALU_CYCLE_1)
	s_and_b32 vcc_lo, exec_lo, s2
	s_xor_b32 s2, s2, -1
	s_cbranch_vccnz .LBB51_2
; %bb.1:
	s_load_b32 s14, s[14:15], 0x0
.LBB51_2:
	s_and_not1_b32 vcc_lo, exec_lo, s2
	s_cbranch_vccnz .LBB51_4
; %bb.3:
	s_load_b32 s12, s[12:13], 0x0
.LBB51_4:
	s_wait_kmcnt 0x0
	s_cmp_eq_f32 s14, 0
	s_cselect_b32 s2, -1, 0
	s_cmp_eq_f32 s12, 1.0
	s_cselect_b32 s3, -1, 0
	s_delay_alu instid0(SALU_CYCLE_1) | instskip(NEXT) | instid1(SALU_CYCLE_1)
	s_and_b32 s2, s2, s3
	s_and_b32 vcc_lo, exec_lo, s2
	s_cbranch_vccnz .LBB51_23
; %bb.5:
	s_load_b64 s[2:3], s[0:1], 0x0
	s_bfe_u32 s4, ttmp6, 0x4000c
	s_and_b32 s5, ttmp6, 15
	s_add_co_i32 s4, s4, 1
	s_getreg_b32 s6, hwreg(HW_REG_IB_STS2, 6, 4)
	s_mul_i32 s4, ttmp9, s4
	v_lshrrev_b32_e32 v1, 3, v0
	s_add_co_i32 s5, s5, s4
	s_cmp_eq_u32 s6, 0
	s_cselect_b32 s4, ttmp9, s5
	s_delay_alu instid0(VALU_DEP_1) | instid1(SALU_CYCLE_1)
	v_lshl_or_b32 v2, s4, 4, v1
	s_wait_kmcnt 0x0
	s_delay_alu instid0(VALU_DEP_1)
	v_cmp_gt_i32_e32 vcc_lo, s2, v2
	s_and_saveexec_b32 s2, vcc_lo
	s_cbranch_execz .LBB51_23
; %bb.6:
	s_load_b256 s[4:11], s[0:1], 0x10
	v_ashrrev_i32_e32 v3, 31, v2
	s_cmp_lg_u32 s3, 0
	s_wait_kmcnt 0x0
	s_delay_alu instid0(VALU_DEP_1)
	v_lshl_add_u64 v[4:5], v[2:3], 2, s[4:5]
	v_and_b32_e32 v3, 7, v0
	global_load_b64 v[4:5], v[4:5], off
	s_wait_loadcnt 0x0
	v_subrev_nc_u32_e32 v0, s16, v4
	v_subrev_nc_u32_e32 v8, s16, v5
	s_delay_alu instid0(VALU_DEP_2) | instskip(NEXT) | instid1(VALU_DEP_1)
	v_add_nc_u32_e32 v9, v0, v3
	v_cmp_lt_i32_e64 s2, v9, v8
	s_cbranch_scc0 .LBB51_12
; %bb.7:
	v_mov_b32_e32 v1, 0
	s_delay_alu instid0(VALU_DEP_1)
	v_mov_b32_e32 v0, v1
	s_and_saveexec_b32 s3, s2
	s_cbranch_execz .LBB51_11
; %bb.8:
	v_mad_u32 v4, v9, 24, 22
	v_dual_mov_b32 v7, 0 :: v_dual_mov_b32 v10, v9
	s_mov_b32 s4, 0
	s_delay_alu instid0(VALU_DEP_1)
	v_dual_mov_b32 v0, v7 :: v_dual_mov_b32 v1, v7
.LBB51_9:                               ; =>This Inner Loop Header: Depth=1
	global_load_b32 v5, v10, s[6:7] scale_offset
	v_subrev_nc_u32_e32 v6, 22, v4
	s_wait_xcnt 0x0
	v_dual_mov_b32 v29, v7 :: v_dual_add_nc_u32 v10, 8, v10
	s_delay_alu instid0(VALU_DEP_2)
	v_lshl_add_u64 v[20:21], v[6:7], 2, s[8:9]
	v_add_nc_u32_e32 v6, -14, v4
	s_clause 0x1
	global_load_b128 v[12:15], v[20:21], off offset:16
	global_load_b128 v[16:19], v[20:21], off
	v_lshl_add_u64 v[24:25], v[6:7], 2, s[8:9]
	v_cmp_ge_i32_e32 vcc_lo, v10, v8
	s_or_b32 s4, vcc_lo, s4
	s_wait_loadcnt 0x2
	v_subrev_nc_u32_e32 v5, s16, v5
	s_delay_alu instid0(VALU_DEP_1) | instskip(SKIP_1) | instid1(VALU_DEP_1)
	v_mul_lo_u32 v28, v5, 12
	v_mov_b32_e32 v5, v7
	v_lshl_add_u64 v[46:47], v[4:5], 2, s[8:9]
	s_delay_alu instid0(VALU_DEP_3) | instskip(SKIP_4) | instid1(VALU_DEP_1)
	v_lshl_add_u64 v[26:27], v[28:29], 2, s[10:11]
	global_load_b64 v[32:33], v[24:25], off
	global_load_b128 v[20:23], v[26:27], off
	v_add_nc_u32_e32 v6, 4, v28
	s_wait_xcnt 0x1
	v_lshl_add_u64 v[24:25], v[6:7], 2, s[10:11]
	v_add_nc_u32_e32 v6, -12, v4
	global_load_b128 v[24:27], v[24:25], off
	v_lshl_add_u64 v[30:31], v[6:7], 2, s[8:9]
	v_add_nc_u32_e32 v6, -10, v4
	global_load_b64 v[36:37], v[30:31], off
	v_lshl_add_u64 v[34:35], v[6:7], 2, s[8:9]
	v_add_nc_u32_e32 v6, -8, v4
	global_load_b64 v[34:35], v[34:35], off
	s_wait_xcnt 0x1
	v_lshl_add_u64 v[30:31], v[6:7], 2, s[8:9]
	v_add_nc_u32_e32 v6, -6, v4
	global_load_b64 v[40:41], v[30:31], off
	v_lshl_add_u64 v[38:39], v[6:7], 2, s[8:9]
	v_add_nc_u32_e32 v6, 8, v28
	s_delay_alu instid0(VALU_DEP_1)
	v_lshl_add_u64 v[42:43], v[6:7], 2, s[10:11]
	v_add_nc_u32_e32 v6, -4, v4
	global_load_b64 v[44:45], v[38:39], off
	global_load_b128 v[28:31], v[42:43], off
	s_wait_xcnt 0x1
	v_lshl_add_u64 v[38:39], v[6:7], 2, s[8:9]
	v_add_nc_u32_e32 v6, -2, v4
	v_add_nc_u32_e32 v4, 0xc0, v4
	global_load_b64 v[38:39], v[38:39], off
	s_wait_xcnt 0x1
	v_lshl_add_u64 v[42:43], v[6:7], 2, s[8:9]
	s_clause 0x1
	global_load_b64 v[48:49], v[42:43], off
	global_load_b64 v[50:51], v[46:47], off
	s_wait_loadcnt 0x9
	v_pk_fma_f32 v[0:1], v[16:17], v[20:21], v[0:1] op_sel_hi:[1,0,1]
	v_mov_b32_e32 v6, v23
	s_delay_alu instid0(VALU_DEP_2) | instskip(NEXT) | instid1(VALU_DEP_1)
	v_pk_fma_f32 v[0:1], v[18:19], v[20:21], v[0:1] op_sel:[0,1,0]
	v_pk_fma_f32 v[0:1], v[12:13], v[22:23], v[0:1] op_sel_hi:[1,0,1]
	s_delay_alu instid0(VALU_DEP_1) | instskip(SKIP_2) | instid1(VALU_DEP_2)
	v_pk_fma_f32 v[0:1], v[14:15], v[6:7], v[0:1] op_sel_hi:[1,0,1]
	s_wait_loadcnt 0x8
	v_mov_b32_e32 v6, v27
	v_pk_fma_f32 v[0:1], v[32:33], v[24:25], v[0:1] op_sel_hi:[1,0,1]
	s_wait_loadcnt 0x7
	s_delay_alu instid0(VALU_DEP_1) | instskip(SKIP_1) | instid1(VALU_DEP_1)
	v_pk_fma_f32 v[0:1], v[36:37], v[24:25], v[0:1] op_sel:[0,1,0]
	s_wait_loadcnt 0x6
	v_pk_fma_f32 v[0:1], v[34:35], v[26:27], v[0:1] op_sel_hi:[1,0,1]
	s_wait_loadcnt 0x5
	s_delay_alu instid0(VALU_DEP_1) | instskip(SKIP_2) | instid1(VALU_DEP_2)
	v_pk_fma_f32 v[0:1], v[40:41], v[6:7], v[0:1] op_sel_hi:[1,0,1]
	s_wait_loadcnt 0x3
	v_mov_b32_e32 v6, v31
	v_pk_fma_f32 v[0:1], v[44:45], v[28:29], v[0:1] op_sel_hi:[1,0,1]
	s_wait_loadcnt 0x2
	s_delay_alu instid0(VALU_DEP_1) | instskip(SKIP_1) | instid1(VALU_DEP_1)
	v_pk_fma_f32 v[0:1], v[38:39], v[28:29], v[0:1] op_sel:[0,1,0]
	s_wait_loadcnt 0x1
	v_pk_fma_f32 v[0:1], v[48:49], v[30:31], v[0:1] op_sel_hi:[1,0,1]
	s_wait_loadcnt 0x0
	s_delay_alu instid0(VALU_DEP_1)
	v_pk_fma_f32 v[0:1], v[50:51], v[6:7], v[0:1] op_sel_hi:[1,0,1]
	s_and_not1_b32 exec_lo, exec_lo, s4
	s_cbranch_execnz .LBB51_9
; %bb.10:
	s_or_b32 exec_lo, exec_lo, s4
.LBB51_11:
	s_delay_alu instid0(SALU_CYCLE_1)
	s_or_b32 exec_lo, exec_lo, s3
	s_cbranch_execz .LBB51_13
	s_branch .LBB51_18
.LBB51_12:
                                        ; implicit-def: $vgpr1
.LBB51_13:
	v_mov_b32_e32 v1, 0
	s_delay_alu instid0(VALU_DEP_1)
	v_mov_b32_e32 v0, v1
	s_and_saveexec_b32 s3, s2
	s_cbranch_execz .LBB51_17
; %bb.14:
	v_mad_u32 v6, v9, 24, 23
	v_mov_b32_e32 v5, 0
	s_mov_b32 s2, 0
	s_delay_alu instid0(VALU_DEP_1)
	v_dual_mov_b32 v0, v5 :: v_dual_mov_b32 v1, v5
.LBB51_15:                              ; =>This Inner Loop Header: Depth=1
	global_load_b32 v4, v9, s[6:7] scale_offset
	v_dual_mov_b32 v27, v5 :: v_dual_add_nc_u32 v7, -10, v6
	v_dual_add_nc_u32 v30, -3, v6 :: v_dual_add_nc_u32 v32, -2, v6
	s_wait_loadcnt 0x0
	v_subrev_nc_u32_e32 v4, s16, v4
	s_delay_alu instid0(VALU_DEP_1) | instskip(SKIP_1) | instid1(VALU_DEP_1)
	v_mul_lo_u32 v26, v4, 12
	v_subrev_nc_u32_e32 v4, 23, v6
	v_lshl_add_u64 v[22:23], v[4:5], 2, s[8:9]
	v_add_nc_u32_e32 v4, -11, v6
	global_load_b128 v[10:13], v[22:23], off
	v_lshl_add_u64 v[18:19], v[26:27], 2, s[10:11]
	global_load_b32 v31, v4, s[8:9] scale_offset
	global_load_b128 v[14:17], v[18:19], off
	s_wait_xcnt 0x1
	v_add_nc_u32_e32 v4, -9, v6
	global_load_b32 v33, v7, s[8:9] scale_offset
	v_add_nc_u32_e32 v27, -7, v6
	global_load_b32 v35, v4, s[8:9] scale_offset
	s_wait_xcnt 0x1
	v_add_nc_u32_e32 v7, -8, v6
	s_wait_xcnt 0x0
	v_add_nc_u32_e32 v4, 4, v26
	s_clause 0x1
	global_load_b32 v37, v7, s[8:9] scale_offset
	global_load_b128 v[18:21], v[22:23], off offset:16
	v_lshl_add_u64 v[28:29], v[4:5], 2, s[10:11]
	s_wait_xcnt 0x1
	v_dual_add_nc_u32 v4, -6, v6 :: v_dual_add_nc_u32 v7, -5, v6
	global_load_b32 v39, v27, s[8:9] scale_offset
	global_load_b128 v[22:25], v[28:29], off
	s_wait_xcnt 0x1
	v_add_nc_u32_e32 v27, -4, v6
	s_clause 0x2
	global_load_b32 v41, v4, s[8:9] scale_offset
	global_load_b32 v43, v7, s[8:9] scale_offset
	;; [unrolled: 1-line block ×3, first 2 shown]
	s_wait_xcnt 0x2
	v_add_nc_u32_e32 v4, 8, v26
	s_wait_xcnt 0x1
	v_add_nc_u32_e32 v7, -15, v6
	s_delay_alu instid0(VALU_DEP_2)
	v_lshl_add_u64 v[46:47], v[4:5], 2, s[10:11]
	v_add_nc_u32_e32 v4, -14, v6
	s_clause 0x1
	global_load_b32 v48, v7, s[8:9] scale_offset
	global_load_b32 v49, v30, s[8:9] scale_offset
	global_load_b128 v[26:29], v[46:47], off
	s_wait_xcnt 0x2
	v_add_nc_u32_e32 v7, -13, v6
	s_clause 0x1
	global_load_b32 v46, v4, s[8:9] scale_offset
	global_load_b32 v47, v32, s[8:9] scale_offset
	s_wait_xcnt 0x1
	v_dual_add_nc_u32 v30, -1, v6 :: v_dual_add_nc_u32 v4, -12, v6
	s_clause 0x3
	global_load_b32 v50, v7, s[8:9] scale_offset
	global_load_b32 v51, v30, s[8:9] scale_offset
	;; [unrolled: 1-line block ×4, first 2 shown]
	v_add_nc_u32_e32 v9, 8, v9
	s_wait_xcnt 0x0
	v_add_nc_u32_e32 v6, 0xc0, v6
	s_wait_loadcnt 0x14
	v_dual_mov_b32 v30, v10 :: v_dual_mov_b32 v32, v11
	v_dual_mov_b32 v34, v12 :: v_dual_mov_b32 v36, v13
	s_wait_loadcnt 0x12
	s_delay_alu instid0(VALU_DEP_2) | instskip(SKIP_2) | instid1(VALU_DEP_2)
	v_pk_fma_f32 v[0:1], v[30:31], v[14:15], v[0:1] op_sel_hi:[1,0,1]
	v_mov_b32_e32 v4, v17
	s_wait_loadcnt 0x11
	v_pk_fma_f32 v[0:1], v[32:33], v[14:15], v[0:1] op_sel:[0,1,0]
	s_wait_loadcnt 0x10
	s_delay_alu instid0(VALU_DEP_1) | instskip(SKIP_3) | instid1(VALU_DEP_3)
	v_pk_fma_f32 v[0:1], v[34:35], v[16:17], v[0:1] op_sel_hi:[1,0,1]
	s_wait_loadcnt 0xe
	v_dual_mov_b32 v38, v18 :: v_dual_mov_b32 v40, v19
	v_mov_b32_e32 v42, v20
	v_pk_fma_f32 v[0:1], v[36:37], v[4:5], v[0:1] op_sel_hi:[1,0,1]
	s_wait_loadcnt 0xc
	v_dual_mov_b32 v44, v21 :: v_dual_mov_b32 v4, v25
	s_delay_alu instid0(VALU_DEP_2) | instskip(SKIP_1) | instid1(VALU_DEP_1)
	v_pk_fma_f32 v[0:1], v[38:39], v[22:23], v[0:1] op_sel_hi:[1,0,1]
	s_wait_loadcnt 0xb
	v_pk_fma_f32 v[0:1], v[40:41], v[22:23], v[0:1] op_sel:[0,1,0]
	s_wait_loadcnt 0xa
	s_delay_alu instid0(VALU_DEP_1) | instskip(SKIP_1) | instid1(VALU_DEP_1)
	v_pk_fma_f32 v[0:1], v[42:43], v[24:25], v[0:1] op_sel_hi:[1,0,1]
	s_wait_loadcnt 0x9
	v_pk_fma_f32 v[0:1], v[44:45], v[4:5], v[0:1] op_sel_hi:[1,0,1]
	s_wait_loadcnt 0x6
	v_mov_b32_e32 v4, v29
	v_cmp_ge_i32_e32 vcc_lo, v9, v8
	s_delay_alu instid0(VALU_DEP_3) | instskip(SKIP_2) | instid1(VALU_DEP_1)
	v_pk_fma_f32 v[0:1], v[48:49], v[26:27], v[0:1] op_sel_hi:[1,0,1]
	s_or_b32 s2, vcc_lo, s2
	s_wait_loadcnt 0x4
	v_pk_fma_f32 v[0:1], v[46:47], v[26:27], v[0:1] op_sel:[0,1,0]
	s_wait_loadcnt 0x2
	s_delay_alu instid0(VALU_DEP_1) | instskip(SKIP_1) | instid1(VALU_DEP_1)
	v_pk_fma_f32 v[0:1], v[50:51], v[28:29], v[0:1] op_sel_hi:[1,0,1]
	s_wait_loadcnt 0x0
	v_pk_fma_f32 v[0:1], v[52:53], v[4:5], v[0:1] op_sel_hi:[1,0,1]
	s_and_not1_b32 exec_lo, exec_lo, s2
	s_cbranch_execnz .LBB51_15
; %bb.16:
	s_or_b32 exec_lo, exec_lo, s2
.LBB51_17:
	s_delay_alu instid0(SALU_CYCLE_1)
	s_or_b32 exec_lo, exec_lo, s3
.LBB51_18:
	v_mbcnt_lo_u32_b32 v6, -1, 0
	s_mov_b32 s2, -1
	s_delay_alu instid0(VALU_DEP_1) | instskip(SKIP_1) | instid1(VALU_DEP_1)
	v_xor_b32_e32 v7, 2, v6
	v_xor_b32_e32 v4, 4, v6
	v_cmp_gt_i32_e32 vcc_lo, 32, v4
	v_cndmask_b32_e32 v4, v6, v4, vcc_lo
	s_delay_alu instid0(VALU_DEP_4) | instskip(SKIP_1) | instid1(VALU_DEP_1)
	v_cmp_gt_i32_e32 vcc_lo, 32, v7
	v_cndmask_b32_e32 v7, v6, v7, vcc_lo
	v_dual_lshlrev_b32 v7, 2, v7 :: v_dual_lshlrev_b32 v5, 2, v4
	ds_bpermute_b32 v4, v5, v0
	ds_bpermute_b32 v5, v5, v1
	s_wait_dscnt 0x0
	v_pk_add_f32 v[0:1], v[0:1], v[4:5]
	ds_bpermute_b32 v4, v7, v0
	ds_bpermute_b32 v5, v7, v1
	v_xor_b32_e32 v7, 1, v6
	s_delay_alu instid0(VALU_DEP_1) | instskip(SKIP_2) | instid1(VALU_DEP_2)
	v_cmp_gt_i32_e32 vcc_lo, 32, v7
	v_cndmask_b32_e32 v6, v6, v7, vcc_lo
	v_cmp_eq_u32_e32 vcc_lo, 7, v3
	v_lshlrev_b32_e32 v6, 2, v6
	s_wait_dscnt 0x0
	v_pk_add_f32 v[0:1], v[0:1], v[4:5]
	ds_bpermute_b32 v4, v6, v0
	ds_bpermute_b32 v5, v6, v1
	s_and_b32 exec_lo, exec_lo, vcc_lo
	s_cbranch_execz .LBB51_23
; %bb.19:
	s_load_b64 s[0:1], s[0:1], 0x38
	s_wait_dscnt 0x0
	v_pk_add_f32 v[0:1], v[0:1], v[4:5]
	v_lshlrev_b32_e32 v2, 1, v2
	s_cmp_eq_f32 s12, 0
	s_cbranch_scc0 .LBB51_21
; %bb.20:
	s_delay_alu instid0(VALU_DEP_1) | instskip(SKIP_3) | instid1(VALU_DEP_2)
	v_ashrrev_i32_e32 v3, 31, v2
	v_pk_mul_f32 v[6:7], s[14:15], v[0:1] op_sel_hi:[0,1]
	s_mov_b32 s2, 0
	s_wait_kmcnt 0x0
	v_lshl_add_u64 v[4:5], v[2:3], 2, s[0:1]
	global_store_b64 v[4:5], v[6:7], off
.LBB51_21:
	s_and_not1_b32 vcc_lo, exec_lo, s2
	s_cbranch_vccnz .LBB51_23
; %bb.22:
	v_ashrrev_i32_e32 v3, 31, v2
	v_pk_mul_f32 v[0:1], s[14:15], v[0:1] op_sel_hi:[0,1]
	s_wait_kmcnt 0x0
	s_delay_alu instid0(VALU_DEP_2)
	v_lshl_add_u64 v[2:3], v[2:3], 2, s[0:1]
	global_load_b64 v[4:5], v[2:3], off
	s_wait_loadcnt 0x0
	v_pk_fma_f32 v[0:1], s[12:13], v[4:5], v[0:1] op_sel_hi:[0,1,1]
	global_store_b64 v[2:3], v[0:1], off
.LBB51_23:
	s_endpgm
	.section	.rodata,"a",@progbits
	.p2align	6, 0x0
	.amdhsa_kernel _ZN9rocsparseL19gebsrmvn_2xn_kernelILj128ELj12ELj8EfEEvi20rocsparse_direction_NS_24const_host_device_scalarIT2_EEPKiS6_PKS3_S8_S4_PS3_21rocsparse_index_base_b
		.amdhsa_group_segment_fixed_size 0
		.amdhsa_private_segment_fixed_size 0
		.amdhsa_kernarg_size 72
		.amdhsa_user_sgpr_count 2
		.amdhsa_user_sgpr_dispatch_ptr 0
		.amdhsa_user_sgpr_queue_ptr 0
		.amdhsa_user_sgpr_kernarg_segment_ptr 1
		.amdhsa_user_sgpr_dispatch_id 0
		.amdhsa_user_sgpr_kernarg_preload_length 0
		.amdhsa_user_sgpr_kernarg_preload_offset 0
		.amdhsa_user_sgpr_private_segment_size 0
		.amdhsa_wavefront_size32 1
		.amdhsa_uses_dynamic_stack 0
		.amdhsa_enable_private_segment 0
		.amdhsa_system_sgpr_workgroup_id_x 1
		.amdhsa_system_sgpr_workgroup_id_y 0
		.amdhsa_system_sgpr_workgroup_id_z 0
		.amdhsa_system_sgpr_workgroup_info 0
		.amdhsa_system_vgpr_workitem_id 0
		.amdhsa_next_free_vgpr 54
		.amdhsa_next_free_sgpr 18
		.amdhsa_named_barrier_count 0
		.amdhsa_reserve_vcc 1
		.amdhsa_float_round_mode_32 0
		.amdhsa_float_round_mode_16_64 0
		.amdhsa_float_denorm_mode_32 3
		.amdhsa_float_denorm_mode_16_64 3
		.amdhsa_fp16_overflow 0
		.amdhsa_memory_ordered 1
		.amdhsa_forward_progress 1
		.amdhsa_inst_pref_size 16
		.amdhsa_round_robin_scheduling 0
		.amdhsa_exception_fp_ieee_invalid_op 0
		.amdhsa_exception_fp_denorm_src 0
		.amdhsa_exception_fp_ieee_div_zero 0
		.amdhsa_exception_fp_ieee_overflow 0
		.amdhsa_exception_fp_ieee_underflow 0
		.amdhsa_exception_fp_ieee_inexact 0
		.amdhsa_exception_int_div_zero 0
	.end_amdhsa_kernel
	.section	.text._ZN9rocsparseL19gebsrmvn_2xn_kernelILj128ELj12ELj8EfEEvi20rocsparse_direction_NS_24const_host_device_scalarIT2_EEPKiS6_PKS3_S8_S4_PS3_21rocsparse_index_base_b,"axG",@progbits,_ZN9rocsparseL19gebsrmvn_2xn_kernelILj128ELj12ELj8EfEEvi20rocsparse_direction_NS_24const_host_device_scalarIT2_EEPKiS6_PKS3_S8_S4_PS3_21rocsparse_index_base_b,comdat
.Lfunc_end51:
	.size	_ZN9rocsparseL19gebsrmvn_2xn_kernelILj128ELj12ELj8EfEEvi20rocsparse_direction_NS_24const_host_device_scalarIT2_EEPKiS6_PKS3_S8_S4_PS3_21rocsparse_index_base_b, .Lfunc_end51-_ZN9rocsparseL19gebsrmvn_2xn_kernelILj128ELj12ELj8EfEEvi20rocsparse_direction_NS_24const_host_device_scalarIT2_EEPKiS6_PKS3_S8_S4_PS3_21rocsparse_index_base_b
                                        ; -- End function
	.set _ZN9rocsparseL19gebsrmvn_2xn_kernelILj128ELj12ELj8EfEEvi20rocsparse_direction_NS_24const_host_device_scalarIT2_EEPKiS6_PKS3_S8_S4_PS3_21rocsparse_index_base_b.num_vgpr, 54
	.set _ZN9rocsparseL19gebsrmvn_2xn_kernelILj128ELj12ELj8EfEEvi20rocsparse_direction_NS_24const_host_device_scalarIT2_EEPKiS6_PKS3_S8_S4_PS3_21rocsparse_index_base_b.num_agpr, 0
	.set _ZN9rocsparseL19gebsrmvn_2xn_kernelILj128ELj12ELj8EfEEvi20rocsparse_direction_NS_24const_host_device_scalarIT2_EEPKiS6_PKS3_S8_S4_PS3_21rocsparse_index_base_b.numbered_sgpr, 18
	.set _ZN9rocsparseL19gebsrmvn_2xn_kernelILj128ELj12ELj8EfEEvi20rocsparse_direction_NS_24const_host_device_scalarIT2_EEPKiS6_PKS3_S8_S4_PS3_21rocsparse_index_base_b.num_named_barrier, 0
	.set _ZN9rocsparseL19gebsrmvn_2xn_kernelILj128ELj12ELj8EfEEvi20rocsparse_direction_NS_24const_host_device_scalarIT2_EEPKiS6_PKS3_S8_S4_PS3_21rocsparse_index_base_b.private_seg_size, 0
	.set _ZN9rocsparseL19gebsrmvn_2xn_kernelILj128ELj12ELj8EfEEvi20rocsparse_direction_NS_24const_host_device_scalarIT2_EEPKiS6_PKS3_S8_S4_PS3_21rocsparse_index_base_b.uses_vcc, 1
	.set _ZN9rocsparseL19gebsrmvn_2xn_kernelILj128ELj12ELj8EfEEvi20rocsparse_direction_NS_24const_host_device_scalarIT2_EEPKiS6_PKS3_S8_S4_PS3_21rocsparse_index_base_b.uses_flat_scratch, 0
	.set _ZN9rocsparseL19gebsrmvn_2xn_kernelILj128ELj12ELj8EfEEvi20rocsparse_direction_NS_24const_host_device_scalarIT2_EEPKiS6_PKS3_S8_S4_PS3_21rocsparse_index_base_b.has_dyn_sized_stack, 0
	.set _ZN9rocsparseL19gebsrmvn_2xn_kernelILj128ELj12ELj8EfEEvi20rocsparse_direction_NS_24const_host_device_scalarIT2_EEPKiS6_PKS3_S8_S4_PS3_21rocsparse_index_base_b.has_recursion, 0
	.set _ZN9rocsparseL19gebsrmvn_2xn_kernelILj128ELj12ELj8EfEEvi20rocsparse_direction_NS_24const_host_device_scalarIT2_EEPKiS6_PKS3_S8_S4_PS3_21rocsparse_index_base_b.has_indirect_call, 0
	.section	.AMDGPU.csdata,"",@progbits
; Kernel info:
; codeLenInByte = 2020
; TotalNumSgprs: 20
; NumVgprs: 54
; ScratchSize: 0
; MemoryBound: 0
; FloatMode: 240
; IeeeMode: 1
; LDSByteSize: 0 bytes/workgroup (compile time only)
; SGPRBlocks: 0
; VGPRBlocks: 3
; NumSGPRsForWavesPerEU: 20
; NumVGPRsForWavesPerEU: 54
; NamedBarCnt: 0
; Occupancy: 16
; WaveLimiterHint : 1
; COMPUTE_PGM_RSRC2:SCRATCH_EN: 0
; COMPUTE_PGM_RSRC2:USER_SGPR: 2
; COMPUTE_PGM_RSRC2:TRAP_HANDLER: 0
; COMPUTE_PGM_RSRC2:TGID_X_EN: 1
; COMPUTE_PGM_RSRC2:TGID_Y_EN: 0
; COMPUTE_PGM_RSRC2:TGID_Z_EN: 0
; COMPUTE_PGM_RSRC2:TIDIG_COMP_CNT: 0
	.section	.text._ZN9rocsparseL19gebsrmvn_2xn_kernelILj128ELj12ELj16EfEEvi20rocsparse_direction_NS_24const_host_device_scalarIT2_EEPKiS6_PKS3_S8_S4_PS3_21rocsparse_index_base_b,"axG",@progbits,_ZN9rocsparseL19gebsrmvn_2xn_kernelILj128ELj12ELj16EfEEvi20rocsparse_direction_NS_24const_host_device_scalarIT2_EEPKiS6_PKS3_S8_S4_PS3_21rocsparse_index_base_b,comdat
	.globl	_ZN9rocsparseL19gebsrmvn_2xn_kernelILj128ELj12ELj16EfEEvi20rocsparse_direction_NS_24const_host_device_scalarIT2_EEPKiS6_PKS3_S8_S4_PS3_21rocsparse_index_base_b ; -- Begin function _ZN9rocsparseL19gebsrmvn_2xn_kernelILj128ELj12ELj16EfEEvi20rocsparse_direction_NS_24const_host_device_scalarIT2_EEPKiS6_PKS3_S8_S4_PS3_21rocsparse_index_base_b
	.p2align	8
	.type	_ZN9rocsparseL19gebsrmvn_2xn_kernelILj128ELj12ELj16EfEEvi20rocsparse_direction_NS_24const_host_device_scalarIT2_EEPKiS6_PKS3_S8_S4_PS3_21rocsparse_index_base_b,@function
_ZN9rocsparseL19gebsrmvn_2xn_kernelILj128ELj12ELj16EfEEvi20rocsparse_direction_NS_24const_host_device_scalarIT2_EEPKiS6_PKS3_S8_S4_PS3_21rocsparse_index_base_b: ; @_ZN9rocsparseL19gebsrmvn_2xn_kernelILj128ELj12ELj16EfEEvi20rocsparse_direction_NS_24const_host_device_scalarIT2_EEPKiS6_PKS3_S8_S4_PS3_21rocsparse_index_base_b
; %bb.0:
	s_clause 0x2
	s_load_b64 s[16:17], s[0:1], 0x40
	s_load_b64 s[14:15], s[0:1], 0x8
	;; [unrolled: 1-line block ×3, first 2 shown]
	s_wait_kmcnt 0x0
	s_bitcmp1_b32 s17, 0
	s_cselect_b32 s2, -1, 0
	s_delay_alu instid0(SALU_CYCLE_1)
	s_and_b32 vcc_lo, exec_lo, s2
	s_xor_b32 s2, s2, -1
	s_cbranch_vccnz .LBB52_2
; %bb.1:
	s_load_b32 s14, s[14:15], 0x0
.LBB52_2:
	s_and_not1_b32 vcc_lo, exec_lo, s2
	s_cbranch_vccnz .LBB52_4
; %bb.3:
	s_load_b32 s12, s[12:13], 0x0
.LBB52_4:
	s_wait_kmcnt 0x0
	s_cmp_eq_f32 s14, 0
	s_cselect_b32 s2, -1, 0
	s_cmp_eq_f32 s12, 1.0
	s_cselect_b32 s3, -1, 0
	s_delay_alu instid0(SALU_CYCLE_1) | instskip(NEXT) | instid1(SALU_CYCLE_1)
	s_and_b32 s2, s2, s3
	s_and_b32 vcc_lo, exec_lo, s2
	s_cbranch_vccnz .LBB52_23
; %bb.5:
	s_load_b64 s[2:3], s[0:1], 0x0
	s_bfe_u32 s4, ttmp6, 0x4000c
	s_and_b32 s5, ttmp6, 15
	s_add_co_i32 s4, s4, 1
	s_getreg_b32 s6, hwreg(HW_REG_IB_STS2, 6, 4)
	s_mul_i32 s4, ttmp9, s4
	v_lshrrev_b32_e32 v1, 4, v0
	s_add_co_i32 s5, s5, s4
	s_cmp_eq_u32 s6, 0
	s_cselect_b32 s4, ttmp9, s5
	s_delay_alu instid0(VALU_DEP_1) | instid1(SALU_CYCLE_1)
	v_lshl_or_b32 v2, s4, 3, v1
	s_wait_kmcnt 0x0
	s_delay_alu instid0(VALU_DEP_1)
	v_cmp_gt_i32_e32 vcc_lo, s2, v2
	s_and_saveexec_b32 s2, vcc_lo
	s_cbranch_execz .LBB52_23
; %bb.6:
	s_load_b256 s[4:11], s[0:1], 0x10
	v_ashrrev_i32_e32 v3, 31, v2
	s_cmp_lg_u32 s3, 0
	s_wait_kmcnt 0x0
	s_delay_alu instid0(VALU_DEP_1)
	v_lshl_add_u64 v[4:5], v[2:3], 2, s[4:5]
	v_and_b32_e32 v3, 15, v0
	global_load_b64 v[4:5], v[4:5], off
	s_wait_loadcnt 0x0
	v_subrev_nc_u32_e32 v0, s16, v4
	v_subrev_nc_u32_e32 v8, s16, v5
	s_delay_alu instid0(VALU_DEP_2) | instskip(NEXT) | instid1(VALU_DEP_1)
	v_add_nc_u32_e32 v9, v0, v3
	v_cmp_lt_i32_e64 s2, v9, v8
	s_cbranch_scc0 .LBB52_12
; %bb.7:
	v_mov_b32_e32 v1, 0
	s_delay_alu instid0(VALU_DEP_1)
	v_mov_b32_e32 v0, v1
	s_and_saveexec_b32 s3, s2
	s_cbranch_execz .LBB52_11
; %bb.8:
	v_mad_u32 v4, v9, 24, 22
	v_dual_mov_b32 v7, 0 :: v_dual_mov_b32 v10, v9
	s_mov_b32 s4, 0
	s_delay_alu instid0(VALU_DEP_1)
	v_dual_mov_b32 v0, v7 :: v_dual_mov_b32 v1, v7
.LBB52_9:                               ; =>This Inner Loop Header: Depth=1
	global_load_b32 v5, v10, s[6:7] scale_offset
	v_subrev_nc_u32_e32 v6, 22, v4
	s_wait_xcnt 0x0
	v_dual_mov_b32 v29, v7 :: v_dual_add_nc_u32 v10, 16, v10
	s_delay_alu instid0(VALU_DEP_2)
	v_lshl_add_u64 v[20:21], v[6:7], 2, s[8:9]
	v_add_nc_u32_e32 v6, -14, v4
	s_clause 0x1
	global_load_b128 v[12:15], v[20:21], off offset:16
	global_load_b128 v[16:19], v[20:21], off
	v_lshl_add_u64 v[24:25], v[6:7], 2, s[8:9]
	v_cmp_ge_i32_e32 vcc_lo, v10, v8
	s_or_b32 s4, vcc_lo, s4
	s_wait_loadcnt 0x2
	v_subrev_nc_u32_e32 v5, s16, v5
	s_delay_alu instid0(VALU_DEP_1) | instskip(SKIP_1) | instid1(VALU_DEP_1)
	v_mul_lo_u32 v28, v5, 12
	v_mov_b32_e32 v5, v7
	v_lshl_add_u64 v[46:47], v[4:5], 2, s[8:9]
	s_delay_alu instid0(VALU_DEP_3) | instskip(SKIP_4) | instid1(VALU_DEP_1)
	v_lshl_add_u64 v[26:27], v[28:29], 2, s[10:11]
	global_load_b64 v[32:33], v[24:25], off
	global_load_b128 v[20:23], v[26:27], off
	v_add_nc_u32_e32 v6, 4, v28
	s_wait_xcnt 0x1
	v_lshl_add_u64 v[24:25], v[6:7], 2, s[10:11]
	v_add_nc_u32_e32 v6, -12, v4
	global_load_b128 v[24:27], v[24:25], off
	v_lshl_add_u64 v[30:31], v[6:7], 2, s[8:9]
	v_add_nc_u32_e32 v6, -10, v4
	global_load_b64 v[36:37], v[30:31], off
	v_lshl_add_u64 v[34:35], v[6:7], 2, s[8:9]
	v_add_nc_u32_e32 v6, -8, v4
	global_load_b64 v[34:35], v[34:35], off
	s_wait_xcnt 0x1
	v_lshl_add_u64 v[30:31], v[6:7], 2, s[8:9]
	v_add_nc_u32_e32 v6, -6, v4
	global_load_b64 v[40:41], v[30:31], off
	v_lshl_add_u64 v[38:39], v[6:7], 2, s[8:9]
	v_add_nc_u32_e32 v6, 8, v28
	s_delay_alu instid0(VALU_DEP_1)
	v_lshl_add_u64 v[42:43], v[6:7], 2, s[10:11]
	v_add_nc_u32_e32 v6, -4, v4
	global_load_b64 v[44:45], v[38:39], off
	global_load_b128 v[28:31], v[42:43], off
	s_wait_xcnt 0x1
	v_lshl_add_u64 v[38:39], v[6:7], 2, s[8:9]
	v_add_nc_u32_e32 v6, -2, v4
	v_add_nc_u32_e32 v4, 0x180, v4
	global_load_b64 v[38:39], v[38:39], off
	s_wait_xcnt 0x1
	v_lshl_add_u64 v[42:43], v[6:7], 2, s[8:9]
	s_clause 0x1
	global_load_b64 v[48:49], v[42:43], off
	global_load_b64 v[50:51], v[46:47], off
	s_wait_loadcnt 0x9
	v_pk_fma_f32 v[0:1], v[16:17], v[20:21], v[0:1] op_sel_hi:[1,0,1]
	v_mov_b32_e32 v6, v23
	s_delay_alu instid0(VALU_DEP_2) | instskip(NEXT) | instid1(VALU_DEP_1)
	v_pk_fma_f32 v[0:1], v[18:19], v[20:21], v[0:1] op_sel:[0,1,0]
	v_pk_fma_f32 v[0:1], v[12:13], v[22:23], v[0:1] op_sel_hi:[1,0,1]
	s_delay_alu instid0(VALU_DEP_1) | instskip(SKIP_2) | instid1(VALU_DEP_2)
	v_pk_fma_f32 v[0:1], v[14:15], v[6:7], v[0:1] op_sel_hi:[1,0,1]
	s_wait_loadcnt 0x8
	v_mov_b32_e32 v6, v27
	v_pk_fma_f32 v[0:1], v[32:33], v[24:25], v[0:1] op_sel_hi:[1,0,1]
	s_wait_loadcnt 0x7
	s_delay_alu instid0(VALU_DEP_1) | instskip(SKIP_1) | instid1(VALU_DEP_1)
	v_pk_fma_f32 v[0:1], v[36:37], v[24:25], v[0:1] op_sel:[0,1,0]
	s_wait_loadcnt 0x6
	v_pk_fma_f32 v[0:1], v[34:35], v[26:27], v[0:1] op_sel_hi:[1,0,1]
	s_wait_loadcnt 0x5
	s_delay_alu instid0(VALU_DEP_1) | instskip(SKIP_2) | instid1(VALU_DEP_2)
	v_pk_fma_f32 v[0:1], v[40:41], v[6:7], v[0:1] op_sel_hi:[1,0,1]
	s_wait_loadcnt 0x3
	v_mov_b32_e32 v6, v31
	v_pk_fma_f32 v[0:1], v[44:45], v[28:29], v[0:1] op_sel_hi:[1,0,1]
	s_wait_loadcnt 0x2
	s_delay_alu instid0(VALU_DEP_1) | instskip(SKIP_1) | instid1(VALU_DEP_1)
	v_pk_fma_f32 v[0:1], v[38:39], v[28:29], v[0:1] op_sel:[0,1,0]
	s_wait_loadcnt 0x1
	v_pk_fma_f32 v[0:1], v[48:49], v[30:31], v[0:1] op_sel_hi:[1,0,1]
	s_wait_loadcnt 0x0
	s_delay_alu instid0(VALU_DEP_1)
	v_pk_fma_f32 v[0:1], v[50:51], v[6:7], v[0:1] op_sel_hi:[1,0,1]
	s_and_not1_b32 exec_lo, exec_lo, s4
	s_cbranch_execnz .LBB52_9
; %bb.10:
	s_or_b32 exec_lo, exec_lo, s4
.LBB52_11:
	s_delay_alu instid0(SALU_CYCLE_1)
	s_or_b32 exec_lo, exec_lo, s3
	s_cbranch_execz .LBB52_13
	s_branch .LBB52_18
.LBB52_12:
                                        ; implicit-def: $vgpr1
.LBB52_13:
	v_mov_b32_e32 v1, 0
	s_delay_alu instid0(VALU_DEP_1)
	v_mov_b32_e32 v0, v1
	s_and_saveexec_b32 s3, s2
	s_cbranch_execz .LBB52_17
; %bb.14:
	v_mad_u32 v6, v9, 24, 23
	v_mov_b32_e32 v5, 0
	s_mov_b32 s2, 0
	s_delay_alu instid0(VALU_DEP_1)
	v_dual_mov_b32 v0, v5 :: v_dual_mov_b32 v1, v5
.LBB52_15:                              ; =>This Inner Loop Header: Depth=1
	global_load_b32 v4, v9, s[6:7] scale_offset
	v_dual_mov_b32 v27, v5 :: v_dual_add_nc_u32 v7, -10, v6
	v_dual_add_nc_u32 v30, -3, v6 :: v_dual_add_nc_u32 v32, -2, v6
	s_wait_loadcnt 0x0
	v_subrev_nc_u32_e32 v4, s16, v4
	s_delay_alu instid0(VALU_DEP_1) | instskip(SKIP_1) | instid1(VALU_DEP_1)
	v_mul_lo_u32 v26, v4, 12
	v_subrev_nc_u32_e32 v4, 23, v6
	v_lshl_add_u64 v[22:23], v[4:5], 2, s[8:9]
	v_add_nc_u32_e32 v4, -11, v6
	global_load_b128 v[10:13], v[22:23], off
	v_lshl_add_u64 v[18:19], v[26:27], 2, s[10:11]
	global_load_b32 v31, v4, s[8:9] scale_offset
	global_load_b128 v[14:17], v[18:19], off
	s_wait_xcnt 0x1
	v_add_nc_u32_e32 v4, -9, v6
	global_load_b32 v33, v7, s[8:9] scale_offset
	v_add_nc_u32_e32 v27, -7, v6
	global_load_b32 v35, v4, s[8:9] scale_offset
	s_wait_xcnt 0x1
	v_add_nc_u32_e32 v7, -8, v6
	s_wait_xcnt 0x0
	v_add_nc_u32_e32 v4, 4, v26
	s_clause 0x1
	global_load_b32 v37, v7, s[8:9] scale_offset
	global_load_b128 v[18:21], v[22:23], off offset:16
	v_lshl_add_u64 v[28:29], v[4:5], 2, s[10:11]
	s_wait_xcnt 0x1
	v_dual_add_nc_u32 v4, -6, v6 :: v_dual_add_nc_u32 v7, -5, v6
	global_load_b32 v39, v27, s[8:9] scale_offset
	global_load_b128 v[22:25], v[28:29], off
	s_wait_xcnt 0x1
	v_add_nc_u32_e32 v27, -4, v6
	s_clause 0x2
	global_load_b32 v41, v4, s[8:9] scale_offset
	global_load_b32 v43, v7, s[8:9] scale_offset
	;; [unrolled: 1-line block ×3, first 2 shown]
	s_wait_xcnt 0x2
	v_add_nc_u32_e32 v4, 8, v26
	s_wait_xcnt 0x1
	v_add_nc_u32_e32 v7, -15, v6
	s_delay_alu instid0(VALU_DEP_2)
	v_lshl_add_u64 v[46:47], v[4:5], 2, s[10:11]
	v_add_nc_u32_e32 v4, -14, v6
	s_clause 0x1
	global_load_b32 v48, v7, s[8:9] scale_offset
	global_load_b32 v49, v30, s[8:9] scale_offset
	global_load_b128 v[26:29], v[46:47], off
	s_wait_xcnt 0x2
	v_add_nc_u32_e32 v7, -13, v6
	s_clause 0x1
	global_load_b32 v46, v4, s[8:9] scale_offset
	global_load_b32 v47, v32, s[8:9] scale_offset
	s_wait_xcnt 0x1
	v_dual_add_nc_u32 v30, -1, v6 :: v_dual_add_nc_u32 v4, -12, v6
	s_clause 0x3
	global_load_b32 v50, v7, s[8:9] scale_offset
	global_load_b32 v51, v30, s[8:9] scale_offset
	;; [unrolled: 1-line block ×4, first 2 shown]
	v_add_nc_u32_e32 v9, 16, v9
	s_wait_xcnt 0x0
	v_add_nc_u32_e32 v6, 0x180, v6
	s_wait_loadcnt 0x14
	v_dual_mov_b32 v30, v10 :: v_dual_mov_b32 v32, v11
	v_dual_mov_b32 v34, v12 :: v_dual_mov_b32 v36, v13
	s_wait_loadcnt 0x12
	s_delay_alu instid0(VALU_DEP_2) | instskip(SKIP_2) | instid1(VALU_DEP_2)
	v_pk_fma_f32 v[0:1], v[30:31], v[14:15], v[0:1] op_sel_hi:[1,0,1]
	v_mov_b32_e32 v4, v17
	s_wait_loadcnt 0x11
	v_pk_fma_f32 v[0:1], v[32:33], v[14:15], v[0:1] op_sel:[0,1,0]
	s_wait_loadcnt 0x10
	s_delay_alu instid0(VALU_DEP_1) | instskip(SKIP_3) | instid1(VALU_DEP_3)
	v_pk_fma_f32 v[0:1], v[34:35], v[16:17], v[0:1] op_sel_hi:[1,0,1]
	s_wait_loadcnt 0xe
	v_dual_mov_b32 v38, v18 :: v_dual_mov_b32 v40, v19
	v_mov_b32_e32 v42, v20
	v_pk_fma_f32 v[0:1], v[36:37], v[4:5], v[0:1] op_sel_hi:[1,0,1]
	s_wait_loadcnt 0xc
	v_dual_mov_b32 v44, v21 :: v_dual_mov_b32 v4, v25
	s_delay_alu instid0(VALU_DEP_2) | instskip(SKIP_1) | instid1(VALU_DEP_1)
	v_pk_fma_f32 v[0:1], v[38:39], v[22:23], v[0:1] op_sel_hi:[1,0,1]
	s_wait_loadcnt 0xb
	v_pk_fma_f32 v[0:1], v[40:41], v[22:23], v[0:1] op_sel:[0,1,0]
	s_wait_loadcnt 0xa
	s_delay_alu instid0(VALU_DEP_1) | instskip(SKIP_1) | instid1(VALU_DEP_1)
	v_pk_fma_f32 v[0:1], v[42:43], v[24:25], v[0:1] op_sel_hi:[1,0,1]
	s_wait_loadcnt 0x9
	v_pk_fma_f32 v[0:1], v[44:45], v[4:5], v[0:1] op_sel_hi:[1,0,1]
	s_wait_loadcnt 0x6
	v_mov_b32_e32 v4, v29
	v_cmp_ge_i32_e32 vcc_lo, v9, v8
	s_delay_alu instid0(VALU_DEP_3) | instskip(SKIP_2) | instid1(VALU_DEP_1)
	v_pk_fma_f32 v[0:1], v[48:49], v[26:27], v[0:1] op_sel_hi:[1,0,1]
	s_or_b32 s2, vcc_lo, s2
	s_wait_loadcnt 0x4
	v_pk_fma_f32 v[0:1], v[46:47], v[26:27], v[0:1] op_sel:[0,1,0]
	s_wait_loadcnt 0x2
	s_delay_alu instid0(VALU_DEP_1) | instskip(SKIP_1) | instid1(VALU_DEP_1)
	v_pk_fma_f32 v[0:1], v[50:51], v[28:29], v[0:1] op_sel_hi:[1,0,1]
	s_wait_loadcnt 0x0
	v_pk_fma_f32 v[0:1], v[52:53], v[4:5], v[0:1] op_sel_hi:[1,0,1]
	s_and_not1_b32 exec_lo, exec_lo, s2
	s_cbranch_execnz .LBB52_15
; %bb.16:
	s_or_b32 exec_lo, exec_lo, s2
.LBB52_17:
	s_delay_alu instid0(SALU_CYCLE_1)
	s_or_b32 exec_lo, exec_lo, s3
.LBB52_18:
	v_mbcnt_lo_u32_b32 v6, -1, 0
	s_mov_b32 s2, -1
	s_delay_alu instid0(VALU_DEP_1) | instskip(SKIP_1) | instid1(VALU_DEP_1)
	v_xor_b32_e32 v7, 4, v6
	v_xor_b32_e32 v4, 8, v6
	v_cmp_gt_i32_e32 vcc_lo, 32, v4
	v_cndmask_b32_e32 v4, v6, v4, vcc_lo
	s_delay_alu instid0(VALU_DEP_4) | instskip(SKIP_1) | instid1(VALU_DEP_1)
	v_cmp_gt_i32_e32 vcc_lo, 32, v7
	v_cndmask_b32_e32 v7, v6, v7, vcc_lo
	v_dual_lshlrev_b32 v7, 2, v7 :: v_dual_lshlrev_b32 v5, 2, v4
	ds_bpermute_b32 v4, v5, v0
	ds_bpermute_b32 v5, v5, v1
	s_wait_dscnt 0x0
	v_pk_add_f32 v[0:1], v[0:1], v[4:5]
	ds_bpermute_b32 v4, v7, v0
	ds_bpermute_b32 v5, v7, v1
	v_xor_b32_e32 v7, 2, v6
	s_delay_alu instid0(VALU_DEP_1) | instskip(SKIP_1) | instid1(VALU_DEP_1)
	v_cmp_gt_i32_e32 vcc_lo, 32, v7
	v_cndmask_b32_e32 v7, v6, v7, vcc_lo
	v_lshlrev_b32_e32 v7, 2, v7
	s_wait_dscnt 0x0
	v_pk_add_f32 v[0:1], v[0:1], v[4:5]
	ds_bpermute_b32 v4, v7, v0
	ds_bpermute_b32 v5, v7, v1
	v_xor_b32_e32 v7, 1, v6
	s_delay_alu instid0(VALU_DEP_1) | instskip(SKIP_2) | instid1(VALU_DEP_2)
	v_cmp_gt_i32_e32 vcc_lo, 32, v7
	v_cndmask_b32_e32 v6, v6, v7, vcc_lo
	v_cmp_eq_u32_e32 vcc_lo, 15, v3
	v_lshlrev_b32_e32 v6, 2, v6
	s_wait_dscnt 0x0
	v_pk_add_f32 v[0:1], v[0:1], v[4:5]
	ds_bpermute_b32 v4, v6, v0
	ds_bpermute_b32 v5, v6, v1
	s_and_b32 exec_lo, exec_lo, vcc_lo
	s_cbranch_execz .LBB52_23
; %bb.19:
	s_load_b64 s[0:1], s[0:1], 0x38
	s_wait_dscnt 0x0
	v_pk_add_f32 v[0:1], v[0:1], v[4:5]
	v_lshlrev_b32_e32 v2, 1, v2
	s_cmp_eq_f32 s12, 0
	s_cbranch_scc0 .LBB52_21
; %bb.20:
	s_delay_alu instid0(VALU_DEP_1) | instskip(SKIP_3) | instid1(VALU_DEP_2)
	v_ashrrev_i32_e32 v3, 31, v2
	v_pk_mul_f32 v[6:7], s[14:15], v[0:1] op_sel_hi:[0,1]
	s_mov_b32 s2, 0
	s_wait_kmcnt 0x0
	v_lshl_add_u64 v[4:5], v[2:3], 2, s[0:1]
	global_store_b64 v[4:5], v[6:7], off
.LBB52_21:
	s_and_not1_b32 vcc_lo, exec_lo, s2
	s_cbranch_vccnz .LBB52_23
; %bb.22:
	v_ashrrev_i32_e32 v3, 31, v2
	v_pk_mul_f32 v[0:1], s[14:15], v[0:1] op_sel_hi:[0,1]
	s_wait_kmcnt 0x0
	s_delay_alu instid0(VALU_DEP_2)
	v_lshl_add_u64 v[2:3], v[2:3], 2, s[0:1]
	global_load_b64 v[4:5], v[2:3], off
	s_wait_loadcnt 0x0
	v_pk_fma_f32 v[0:1], s[12:13], v[4:5], v[0:1] op_sel_hi:[0,1,1]
	global_store_b64 v[2:3], v[0:1], off
.LBB52_23:
	s_endpgm
	.section	.rodata,"a",@progbits
	.p2align	6, 0x0
	.amdhsa_kernel _ZN9rocsparseL19gebsrmvn_2xn_kernelILj128ELj12ELj16EfEEvi20rocsparse_direction_NS_24const_host_device_scalarIT2_EEPKiS6_PKS3_S8_S4_PS3_21rocsparse_index_base_b
		.amdhsa_group_segment_fixed_size 0
		.amdhsa_private_segment_fixed_size 0
		.amdhsa_kernarg_size 72
		.amdhsa_user_sgpr_count 2
		.amdhsa_user_sgpr_dispatch_ptr 0
		.amdhsa_user_sgpr_queue_ptr 0
		.amdhsa_user_sgpr_kernarg_segment_ptr 1
		.amdhsa_user_sgpr_dispatch_id 0
		.amdhsa_user_sgpr_kernarg_preload_length 0
		.amdhsa_user_sgpr_kernarg_preload_offset 0
		.amdhsa_user_sgpr_private_segment_size 0
		.amdhsa_wavefront_size32 1
		.amdhsa_uses_dynamic_stack 0
		.amdhsa_enable_private_segment 0
		.amdhsa_system_sgpr_workgroup_id_x 1
		.amdhsa_system_sgpr_workgroup_id_y 0
		.amdhsa_system_sgpr_workgroup_id_z 0
		.amdhsa_system_sgpr_workgroup_info 0
		.amdhsa_system_vgpr_workitem_id 0
		.amdhsa_next_free_vgpr 54
		.amdhsa_next_free_sgpr 18
		.amdhsa_named_barrier_count 0
		.amdhsa_reserve_vcc 1
		.amdhsa_float_round_mode_32 0
		.amdhsa_float_round_mode_16_64 0
		.amdhsa_float_denorm_mode_32 3
		.amdhsa_float_denorm_mode_16_64 3
		.amdhsa_fp16_overflow 0
		.amdhsa_memory_ordered 1
		.amdhsa_forward_progress 1
		.amdhsa_inst_pref_size 17
		.amdhsa_round_robin_scheduling 0
		.amdhsa_exception_fp_ieee_invalid_op 0
		.amdhsa_exception_fp_denorm_src 0
		.amdhsa_exception_fp_ieee_div_zero 0
		.amdhsa_exception_fp_ieee_overflow 0
		.amdhsa_exception_fp_ieee_underflow 0
		.amdhsa_exception_fp_ieee_inexact 0
		.amdhsa_exception_int_div_zero 0
	.end_amdhsa_kernel
	.section	.text._ZN9rocsparseL19gebsrmvn_2xn_kernelILj128ELj12ELj16EfEEvi20rocsparse_direction_NS_24const_host_device_scalarIT2_EEPKiS6_PKS3_S8_S4_PS3_21rocsparse_index_base_b,"axG",@progbits,_ZN9rocsparseL19gebsrmvn_2xn_kernelILj128ELj12ELj16EfEEvi20rocsparse_direction_NS_24const_host_device_scalarIT2_EEPKiS6_PKS3_S8_S4_PS3_21rocsparse_index_base_b,comdat
.Lfunc_end52:
	.size	_ZN9rocsparseL19gebsrmvn_2xn_kernelILj128ELj12ELj16EfEEvi20rocsparse_direction_NS_24const_host_device_scalarIT2_EEPKiS6_PKS3_S8_S4_PS3_21rocsparse_index_base_b, .Lfunc_end52-_ZN9rocsparseL19gebsrmvn_2xn_kernelILj128ELj12ELj16EfEEvi20rocsparse_direction_NS_24const_host_device_scalarIT2_EEPKiS6_PKS3_S8_S4_PS3_21rocsparse_index_base_b
                                        ; -- End function
	.set _ZN9rocsparseL19gebsrmvn_2xn_kernelILj128ELj12ELj16EfEEvi20rocsparse_direction_NS_24const_host_device_scalarIT2_EEPKiS6_PKS3_S8_S4_PS3_21rocsparse_index_base_b.num_vgpr, 54
	.set _ZN9rocsparseL19gebsrmvn_2xn_kernelILj128ELj12ELj16EfEEvi20rocsparse_direction_NS_24const_host_device_scalarIT2_EEPKiS6_PKS3_S8_S4_PS3_21rocsparse_index_base_b.num_agpr, 0
	.set _ZN9rocsparseL19gebsrmvn_2xn_kernelILj128ELj12ELj16EfEEvi20rocsparse_direction_NS_24const_host_device_scalarIT2_EEPKiS6_PKS3_S8_S4_PS3_21rocsparse_index_base_b.numbered_sgpr, 18
	.set _ZN9rocsparseL19gebsrmvn_2xn_kernelILj128ELj12ELj16EfEEvi20rocsparse_direction_NS_24const_host_device_scalarIT2_EEPKiS6_PKS3_S8_S4_PS3_21rocsparse_index_base_b.num_named_barrier, 0
	.set _ZN9rocsparseL19gebsrmvn_2xn_kernelILj128ELj12ELj16EfEEvi20rocsparse_direction_NS_24const_host_device_scalarIT2_EEPKiS6_PKS3_S8_S4_PS3_21rocsparse_index_base_b.private_seg_size, 0
	.set _ZN9rocsparseL19gebsrmvn_2xn_kernelILj128ELj12ELj16EfEEvi20rocsparse_direction_NS_24const_host_device_scalarIT2_EEPKiS6_PKS3_S8_S4_PS3_21rocsparse_index_base_b.uses_vcc, 1
	.set _ZN9rocsparseL19gebsrmvn_2xn_kernelILj128ELj12ELj16EfEEvi20rocsparse_direction_NS_24const_host_device_scalarIT2_EEPKiS6_PKS3_S8_S4_PS3_21rocsparse_index_base_b.uses_flat_scratch, 0
	.set _ZN9rocsparseL19gebsrmvn_2xn_kernelILj128ELj12ELj16EfEEvi20rocsparse_direction_NS_24const_host_device_scalarIT2_EEPKiS6_PKS3_S8_S4_PS3_21rocsparse_index_base_b.has_dyn_sized_stack, 0
	.set _ZN9rocsparseL19gebsrmvn_2xn_kernelILj128ELj12ELj16EfEEvi20rocsparse_direction_NS_24const_host_device_scalarIT2_EEPKiS6_PKS3_S8_S4_PS3_21rocsparse_index_base_b.has_recursion, 0
	.set _ZN9rocsparseL19gebsrmvn_2xn_kernelILj128ELj12ELj16EfEEvi20rocsparse_direction_NS_24const_host_device_scalarIT2_EEPKiS6_PKS3_S8_S4_PS3_21rocsparse_index_base_b.has_indirect_call, 0
	.section	.AMDGPU.csdata,"",@progbits
; Kernel info:
; codeLenInByte = 2068
; TotalNumSgprs: 20
; NumVgprs: 54
; ScratchSize: 0
; MemoryBound: 0
; FloatMode: 240
; IeeeMode: 1
; LDSByteSize: 0 bytes/workgroup (compile time only)
; SGPRBlocks: 0
; VGPRBlocks: 3
; NumSGPRsForWavesPerEU: 20
; NumVGPRsForWavesPerEU: 54
; NamedBarCnt: 0
; Occupancy: 16
; WaveLimiterHint : 1
; COMPUTE_PGM_RSRC2:SCRATCH_EN: 0
; COMPUTE_PGM_RSRC2:USER_SGPR: 2
; COMPUTE_PGM_RSRC2:TRAP_HANDLER: 0
; COMPUTE_PGM_RSRC2:TGID_X_EN: 1
; COMPUTE_PGM_RSRC2:TGID_Y_EN: 0
; COMPUTE_PGM_RSRC2:TGID_Z_EN: 0
; COMPUTE_PGM_RSRC2:TIDIG_COMP_CNT: 0
	.section	.text._ZN9rocsparseL19gebsrmvn_2xn_kernelILj128ELj12ELj32EfEEvi20rocsparse_direction_NS_24const_host_device_scalarIT2_EEPKiS6_PKS3_S8_S4_PS3_21rocsparse_index_base_b,"axG",@progbits,_ZN9rocsparseL19gebsrmvn_2xn_kernelILj128ELj12ELj32EfEEvi20rocsparse_direction_NS_24const_host_device_scalarIT2_EEPKiS6_PKS3_S8_S4_PS3_21rocsparse_index_base_b,comdat
	.globl	_ZN9rocsparseL19gebsrmvn_2xn_kernelILj128ELj12ELj32EfEEvi20rocsparse_direction_NS_24const_host_device_scalarIT2_EEPKiS6_PKS3_S8_S4_PS3_21rocsparse_index_base_b ; -- Begin function _ZN9rocsparseL19gebsrmvn_2xn_kernelILj128ELj12ELj32EfEEvi20rocsparse_direction_NS_24const_host_device_scalarIT2_EEPKiS6_PKS3_S8_S4_PS3_21rocsparse_index_base_b
	.p2align	8
	.type	_ZN9rocsparseL19gebsrmvn_2xn_kernelILj128ELj12ELj32EfEEvi20rocsparse_direction_NS_24const_host_device_scalarIT2_EEPKiS6_PKS3_S8_S4_PS3_21rocsparse_index_base_b,@function
_ZN9rocsparseL19gebsrmvn_2xn_kernelILj128ELj12ELj32EfEEvi20rocsparse_direction_NS_24const_host_device_scalarIT2_EEPKiS6_PKS3_S8_S4_PS3_21rocsparse_index_base_b: ; @_ZN9rocsparseL19gebsrmvn_2xn_kernelILj128ELj12ELj32EfEEvi20rocsparse_direction_NS_24const_host_device_scalarIT2_EEPKiS6_PKS3_S8_S4_PS3_21rocsparse_index_base_b
; %bb.0:
	s_clause 0x2
	s_load_b64 s[16:17], s[0:1], 0x40
	s_load_b64 s[14:15], s[0:1], 0x8
	;; [unrolled: 1-line block ×3, first 2 shown]
	s_wait_kmcnt 0x0
	s_bitcmp1_b32 s17, 0
	s_cselect_b32 s2, -1, 0
	s_delay_alu instid0(SALU_CYCLE_1)
	s_and_b32 vcc_lo, exec_lo, s2
	s_xor_b32 s2, s2, -1
	s_cbranch_vccnz .LBB53_2
; %bb.1:
	s_load_b32 s14, s[14:15], 0x0
.LBB53_2:
	s_and_not1_b32 vcc_lo, exec_lo, s2
	s_cbranch_vccnz .LBB53_4
; %bb.3:
	s_load_b32 s12, s[12:13], 0x0
.LBB53_4:
	s_wait_kmcnt 0x0
	s_cmp_eq_f32 s14, 0
	s_cselect_b32 s2, -1, 0
	s_cmp_eq_f32 s12, 1.0
	s_cselect_b32 s3, -1, 0
	s_delay_alu instid0(SALU_CYCLE_1) | instskip(NEXT) | instid1(SALU_CYCLE_1)
	s_and_b32 s2, s2, s3
	s_and_b32 vcc_lo, exec_lo, s2
	s_cbranch_vccnz .LBB53_23
; %bb.5:
	s_load_b64 s[2:3], s[0:1], 0x0
	s_bfe_u32 s4, ttmp6, 0x4000c
	s_and_b32 s5, ttmp6, 15
	s_add_co_i32 s4, s4, 1
	s_getreg_b32 s6, hwreg(HW_REG_IB_STS2, 6, 4)
	s_mul_i32 s4, ttmp9, s4
	v_lshrrev_b32_e32 v1, 5, v0
	s_add_co_i32 s5, s5, s4
	s_cmp_eq_u32 s6, 0
	s_cselect_b32 s4, ttmp9, s5
	s_delay_alu instid0(VALU_DEP_1) | instid1(SALU_CYCLE_1)
	v_lshl_or_b32 v2, s4, 2, v1
	s_wait_kmcnt 0x0
	s_delay_alu instid0(VALU_DEP_1)
	v_cmp_gt_i32_e32 vcc_lo, s2, v2
	s_and_saveexec_b32 s2, vcc_lo
	s_cbranch_execz .LBB53_23
; %bb.6:
	s_load_b256 s[4:11], s[0:1], 0x10
	v_ashrrev_i32_e32 v3, 31, v2
	s_cmp_lg_u32 s3, 0
	s_wait_kmcnt 0x0
	s_delay_alu instid0(VALU_DEP_1)
	v_lshl_add_u64 v[4:5], v[2:3], 2, s[4:5]
	v_and_b32_e32 v3, 31, v0
	global_load_b64 v[4:5], v[4:5], off
	s_wait_loadcnt 0x0
	v_subrev_nc_u32_e32 v0, s16, v4
	v_subrev_nc_u32_e32 v8, s16, v5
	s_delay_alu instid0(VALU_DEP_2) | instskip(NEXT) | instid1(VALU_DEP_1)
	v_add_nc_u32_e32 v9, v0, v3
	v_cmp_lt_i32_e64 s2, v9, v8
	s_cbranch_scc0 .LBB53_12
; %bb.7:
	v_mov_b32_e32 v1, 0
	s_delay_alu instid0(VALU_DEP_1)
	v_mov_b32_e32 v0, v1
	s_and_saveexec_b32 s3, s2
	s_cbranch_execz .LBB53_11
; %bb.8:
	v_mad_u32 v4, v9, 24, 22
	v_dual_mov_b32 v7, 0 :: v_dual_mov_b32 v10, v9
	s_mov_b32 s4, 0
	s_delay_alu instid0(VALU_DEP_1)
	v_dual_mov_b32 v0, v7 :: v_dual_mov_b32 v1, v7
.LBB53_9:                               ; =>This Inner Loop Header: Depth=1
	global_load_b32 v5, v10, s[6:7] scale_offset
	v_subrev_nc_u32_e32 v6, 22, v4
	s_wait_xcnt 0x0
	v_dual_mov_b32 v29, v7 :: v_dual_add_nc_u32 v10, 32, v10
	s_delay_alu instid0(VALU_DEP_2)
	v_lshl_add_u64 v[20:21], v[6:7], 2, s[8:9]
	v_add_nc_u32_e32 v6, -14, v4
	s_clause 0x1
	global_load_b128 v[12:15], v[20:21], off offset:16
	global_load_b128 v[16:19], v[20:21], off
	v_lshl_add_u64 v[24:25], v[6:7], 2, s[8:9]
	v_cmp_ge_i32_e32 vcc_lo, v10, v8
	s_or_b32 s4, vcc_lo, s4
	s_wait_loadcnt 0x2
	v_subrev_nc_u32_e32 v5, s16, v5
	s_delay_alu instid0(VALU_DEP_1) | instskip(SKIP_1) | instid1(VALU_DEP_1)
	v_mul_lo_u32 v28, v5, 12
	v_mov_b32_e32 v5, v7
	v_lshl_add_u64 v[46:47], v[4:5], 2, s[8:9]
	s_delay_alu instid0(VALU_DEP_3) | instskip(SKIP_4) | instid1(VALU_DEP_1)
	v_lshl_add_u64 v[26:27], v[28:29], 2, s[10:11]
	global_load_b64 v[32:33], v[24:25], off
	global_load_b128 v[20:23], v[26:27], off
	v_add_nc_u32_e32 v6, 4, v28
	s_wait_xcnt 0x1
	v_lshl_add_u64 v[24:25], v[6:7], 2, s[10:11]
	v_add_nc_u32_e32 v6, -12, v4
	global_load_b128 v[24:27], v[24:25], off
	v_lshl_add_u64 v[30:31], v[6:7], 2, s[8:9]
	v_add_nc_u32_e32 v6, -10, v4
	global_load_b64 v[36:37], v[30:31], off
	v_lshl_add_u64 v[34:35], v[6:7], 2, s[8:9]
	v_add_nc_u32_e32 v6, -8, v4
	global_load_b64 v[34:35], v[34:35], off
	s_wait_xcnt 0x1
	v_lshl_add_u64 v[30:31], v[6:7], 2, s[8:9]
	v_add_nc_u32_e32 v6, -6, v4
	global_load_b64 v[40:41], v[30:31], off
	v_lshl_add_u64 v[38:39], v[6:7], 2, s[8:9]
	v_add_nc_u32_e32 v6, 8, v28
	s_delay_alu instid0(VALU_DEP_1)
	v_lshl_add_u64 v[42:43], v[6:7], 2, s[10:11]
	v_add_nc_u32_e32 v6, -4, v4
	global_load_b64 v[44:45], v[38:39], off
	global_load_b128 v[28:31], v[42:43], off
	s_wait_xcnt 0x1
	v_lshl_add_u64 v[38:39], v[6:7], 2, s[8:9]
	v_add_nc_u32_e32 v6, -2, v4
	v_add_nc_u32_e32 v4, 0x300, v4
	global_load_b64 v[38:39], v[38:39], off
	s_wait_xcnt 0x1
	v_lshl_add_u64 v[42:43], v[6:7], 2, s[8:9]
	s_clause 0x1
	global_load_b64 v[48:49], v[42:43], off
	global_load_b64 v[50:51], v[46:47], off
	s_wait_loadcnt 0x9
	v_pk_fma_f32 v[0:1], v[16:17], v[20:21], v[0:1] op_sel_hi:[1,0,1]
	v_mov_b32_e32 v6, v23
	s_delay_alu instid0(VALU_DEP_2) | instskip(NEXT) | instid1(VALU_DEP_1)
	v_pk_fma_f32 v[0:1], v[18:19], v[20:21], v[0:1] op_sel:[0,1,0]
	v_pk_fma_f32 v[0:1], v[12:13], v[22:23], v[0:1] op_sel_hi:[1,0,1]
	s_delay_alu instid0(VALU_DEP_1) | instskip(SKIP_2) | instid1(VALU_DEP_2)
	v_pk_fma_f32 v[0:1], v[14:15], v[6:7], v[0:1] op_sel_hi:[1,0,1]
	s_wait_loadcnt 0x8
	v_mov_b32_e32 v6, v27
	v_pk_fma_f32 v[0:1], v[32:33], v[24:25], v[0:1] op_sel_hi:[1,0,1]
	s_wait_loadcnt 0x7
	s_delay_alu instid0(VALU_DEP_1) | instskip(SKIP_1) | instid1(VALU_DEP_1)
	v_pk_fma_f32 v[0:1], v[36:37], v[24:25], v[0:1] op_sel:[0,1,0]
	s_wait_loadcnt 0x6
	v_pk_fma_f32 v[0:1], v[34:35], v[26:27], v[0:1] op_sel_hi:[1,0,1]
	s_wait_loadcnt 0x5
	s_delay_alu instid0(VALU_DEP_1) | instskip(SKIP_2) | instid1(VALU_DEP_2)
	v_pk_fma_f32 v[0:1], v[40:41], v[6:7], v[0:1] op_sel_hi:[1,0,1]
	s_wait_loadcnt 0x3
	v_mov_b32_e32 v6, v31
	v_pk_fma_f32 v[0:1], v[44:45], v[28:29], v[0:1] op_sel_hi:[1,0,1]
	s_wait_loadcnt 0x2
	s_delay_alu instid0(VALU_DEP_1) | instskip(SKIP_1) | instid1(VALU_DEP_1)
	v_pk_fma_f32 v[0:1], v[38:39], v[28:29], v[0:1] op_sel:[0,1,0]
	s_wait_loadcnt 0x1
	v_pk_fma_f32 v[0:1], v[48:49], v[30:31], v[0:1] op_sel_hi:[1,0,1]
	s_wait_loadcnt 0x0
	s_delay_alu instid0(VALU_DEP_1)
	v_pk_fma_f32 v[0:1], v[50:51], v[6:7], v[0:1] op_sel_hi:[1,0,1]
	s_and_not1_b32 exec_lo, exec_lo, s4
	s_cbranch_execnz .LBB53_9
; %bb.10:
	s_or_b32 exec_lo, exec_lo, s4
.LBB53_11:
	s_delay_alu instid0(SALU_CYCLE_1)
	s_or_b32 exec_lo, exec_lo, s3
	s_cbranch_execz .LBB53_13
	s_branch .LBB53_18
.LBB53_12:
                                        ; implicit-def: $vgpr1
.LBB53_13:
	v_mov_b32_e32 v1, 0
	s_delay_alu instid0(VALU_DEP_1)
	v_mov_b32_e32 v0, v1
	s_and_saveexec_b32 s3, s2
	s_cbranch_execz .LBB53_17
; %bb.14:
	v_mad_u32 v6, v9, 24, 23
	v_mov_b32_e32 v5, 0
	s_mov_b32 s2, 0
	s_delay_alu instid0(VALU_DEP_1)
	v_dual_mov_b32 v0, v5 :: v_dual_mov_b32 v1, v5
.LBB53_15:                              ; =>This Inner Loop Header: Depth=1
	global_load_b32 v4, v9, s[6:7] scale_offset
	v_dual_mov_b32 v27, v5 :: v_dual_add_nc_u32 v7, -10, v6
	v_dual_add_nc_u32 v30, -3, v6 :: v_dual_add_nc_u32 v32, -2, v6
	s_wait_loadcnt 0x0
	v_subrev_nc_u32_e32 v4, s16, v4
	s_delay_alu instid0(VALU_DEP_1) | instskip(SKIP_1) | instid1(VALU_DEP_1)
	v_mul_lo_u32 v26, v4, 12
	v_subrev_nc_u32_e32 v4, 23, v6
	v_lshl_add_u64 v[22:23], v[4:5], 2, s[8:9]
	v_add_nc_u32_e32 v4, -11, v6
	global_load_b128 v[10:13], v[22:23], off
	v_lshl_add_u64 v[18:19], v[26:27], 2, s[10:11]
	global_load_b32 v31, v4, s[8:9] scale_offset
	global_load_b128 v[14:17], v[18:19], off
	s_wait_xcnt 0x1
	v_add_nc_u32_e32 v4, -9, v6
	global_load_b32 v33, v7, s[8:9] scale_offset
	v_add_nc_u32_e32 v27, -7, v6
	global_load_b32 v35, v4, s[8:9] scale_offset
	s_wait_xcnt 0x1
	v_add_nc_u32_e32 v7, -8, v6
	s_wait_xcnt 0x0
	v_add_nc_u32_e32 v4, 4, v26
	s_clause 0x1
	global_load_b32 v37, v7, s[8:9] scale_offset
	global_load_b128 v[18:21], v[22:23], off offset:16
	v_lshl_add_u64 v[28:29], v[4:5], 2, s[10:11]
	s_wait_xcnt 0x1
	v_dual_add_nc_u32 v4, -6, v6 :: v_dual_add_nc_u32 v7, -5, v6
	global_load_b32 v39, v27, s[8:9] scale_offset
	global_load_b128 v[22:25], v[28:29], off
	s_wait_xcnt 0x1
	v_add_nc_u32_e32 v27, -4, v6
	s_clause 0x2
	global_load_b32 v41, v4, s[8:9] scale_offset
	global_load_b32 v43, v7, s[8:9] scale_offset
	;; [unrolled: 1-line block ×3, first 2 shown]
	s_wait_xcnt 0x2
	v_add_nc_u32_e32 v4, 8, v26
	s_wait_xcnt 0x1
	v_add_nc_u32_e32 v7, -15, v6
	s_delay_alu instid0(VALU_DEP_2)
	v_lshl_add_u64 v[46:47], v[4:5], 2, s[10:11]
	v_add_nc_u32_e32 v4, -14, v6
	s_clause 0x1
	global_load_b32 v48, v7, s[8:9] scale_offset
	global_load_b32 v49, v30, s[8:9] scale_offset
	global_load_b128 v[26:29], v[46:47], off
	s_wait_xcnt 0x2
	v_add_nc_u32_e32 v7, -13, v6
	s_clause 0x1
	global_load_b32 v46, v4, s[8:9] scale_offset
	global_load_b32 v47, v32, s[8:9] scale_offset
	s_wait_xcnt 0x1
	v_dual_add_nc_u32 v30, -1, v6 :: v_dual_add_nc_u32 v4, -12, v6
	s_clause 0x3
	global_load_b32 v50, v7, s[8:9] scale_offset
	global_load_b32 v51, v30, s[8:9] scale_offset
	;; [unrolled: 1-line block ×4, first 2 shown]
	v_add_nc_u32_e32 v9, 32, v9
	s_wait_xcnt 0x0
	v_add_nc_u32_e32 v6, 0x300, v6
	s_wait_loadcnt 0x14
	v_dual_mov_b32 v30, v10 :: v_dual_mov_b32 v32, v11
	v_dual_mov_b32 v34, v12 :: v_dual_mov_b32 v36, v13
	s_wait_loadcnt 0x12
	s_delay_alu instid0(VALU_DEP_2) | instskip(SKIP_2) | instid1(VALU_DEP_2)
	v_pk_fma_f32 v[0:1], v[30:31], v[14:15], v[0:1] op_sel_hi:[1,0,1]
	v_mov_b32_e32 v4, v17
	s_wait_loadcnt 0x11
	v_pk_fma_f32 v[0:1], v[32:33], v[14:15], v[0:1] op_sel:[0,1,0]
	s_wait_loadcnt 0x10
	s_delay_alu instid0(VALU_DEP_1) | instskip(SKIP_3) | instid1(VALU_DEP_3)
	v_pk_fma_f32 v[0:1], v[34:35], v[16:17], v[0:1] op_sel_hi:[1,0,1]
	s_wait_loadcnt 0xe
	v_dual_mov_b32 v38, v18 :: v_dual_mov_b32 v40, v19
	v_mov_b32_e32 v42, v20
	v_pk_fma_f32 v[0:1], v[36:37], v[4:5], v[0:1] op_sel_hi:[1,0,1]
	s_wait_loadcnt 0xc
	v_dual_mov_b32 v44, v21 :: v_dual_mov_b32 v4, v25
	s_delay_alu instid0(VALU_DEP_2) | instskip(SKIP_1) | instid1(VALU_DEP_1)
	v_pk_fma_f32 v[0:1], v[38:39], v[22:23], v[0:1] op_sel_hi:[1,0,1]
	s_wait_loadcnt 0xb
	v_pk_fma_f32 v[0:1], v[40:41], v[22:23], v[0:1] op_sel:[0,1,0]
	s_wait_loadcnt 0xa
	s_delay_alu instid0(VALU_DEP_1) | instskip(SKIP_1) | instid1(VALU_DEP_1)
	v_pk_fma_f32 v[0:1], v[42:43], v[24:25], v[0:1] op_sel_hi:[1,0,1]
	s_wait_loadcnt 0x9
	v_pk_fma_f32 v[0:1], v[44:45], v[4:5], v[0:1] op_sel_hi:[1,0,1]
	s_wait_loadcnt 0x6
	v_mov_b32_e32 v4, v29
	v_cmp_ge_i32_e32 vcc_lo, v9, v8
	s_delay_alu instid0(VALU_DEP_3) | instskip(SKIP_2) | instid1(VALU_DEP_1)
	v_pk_fma_f32 v[0:1], v[48:49], v[26:27], v[0:1] op_sel_hi:[1,0,1]
	s_or_b32 s2, vcc_lo, s2
	s_wait_loadcnt 0x4
	v_pk_fma_f32 v[0:1], v[46:47], v[26:27], v[0:1] op_sel:[0,1,0]
	s_wait_loadcnt 0x2
	s_delay_alu instid0(VALU_DEP_1) | instskip(SKIP_1) | instid1(VALU_DEP_1)
	v_pk_fma_f32 v[0:1], v[50:51], v[28:29], v[0:1] op_sel_hi:[1,0,1]
	s_wait_loadcnt 0x0
	v_pk_fma_f32 v[0:1], v[52:53], v[4:5], v[0:1] op_sel_hi:[1,0,1]
	s_and_not1_b32 exec_lo, exec_lo, s2
	s_cbranch_execnz .LBB53_15
; %bb.16:
	s_or_b32 exec_lo, exec_lo, s2
.LBB53_17:
	s_delay_alu instid0(SALU_CYCLE_1)
	s_or_b32 exec_lo, exec_lo, s3
.LBB53_18:
	v_mbcnt_lo_u32_b32 v6, -1, 0
	s_mov_b32 s2, -1
	s_delay_alu instid0(VALU_DEP_1) | instskip(SKIP_1) | instid1(VALU_DEP_1)
	v_xor_b32_e32 v7, 8, v6
	v_xor_b32_e32 v4, 16, v6
	v_cmp_gt_i32_e32 vcc_lo, 32, v4
	v_cndmask_b32_e32 v4, v6, v4, vcc_lo
	s_delay_alu instid0(VALU_DEP_4) | instskip(SKIP_1) | instid1(VALU_DEP_1)
	v_cmp_gt_i32_e32 vcc_lo, 32, v7
	v_cndmask_b32_e32 v7, v6, v7, vcc_lo
	v_dual_lshlrev_b32 v7, 2, v7 :: v_dual_lshlrev_b32 v5, 2, v4
	ds_bpermute_b32 v4, v5, v0
	ds_bpermute_b32 v5, v5, v1
	s_wait_dscnt 0x0
	v_pk_add_f32 v[0:1], v[0:1], v[4:5]
	ds_bpermute_b32 v4, v7, v0
	ds_bpermute_b32 v5, v7, v1
	v_xor_b32_e32 v7, 4, v6
	s_delay_alu instid0(VALU_DEP_1) | instskip(SKIP_1) | instid1(VALU_DEP_1)
	v_cmp_gt_i32_e32 vcc_lo, 32, v7
	v_cndmask_b32_e32 v7, v6, v7, vcc_lo
	v_lshlrev_b32_e32 v7, 2, v7
	s_wait_dscnt 0x0
	v_pk_add_f32 v[0:1], v[0:1], v[4:5]
	ds_bpermute_b32 v4, v7, v0
	ds_bpermute_b32 v5, v7, v1
	v_xor_b32_e32 v7, 2, v6
	s_delay_alu instid0(VALU_DEP_1) | instskip(SKIP_1) | instid1(VALU_DEP_1)
	v_cmp_gt_i32_e32 vcc_lo, 32, v7
	v_cndmask_b32_e32 v7, v6, v7, vcc_lo
	v_lshlrev_b32_e32 v7, 2, v7
	s_wait_dscnt 0x0
	v_pk_add_f32 v[0:1], v[0:1], v[4:5]
	ds_bpermute_b32 v4, v7, v0
	ds_bpermute_b32 v5, v7, v1
	v_xor_b32_e32 v7, 1, v6
	s_delay_alu instid0(VALU_DEP_1) | instskip(SKIP_2) | instid1(VALU_DEP_2)
	v_cmp_gt_i32_e32 vcc_lo, 32, v7
	v_cndmask_b32_e32 v6, v6, v7, vcc_lo
	v_cmp_eq_u32_e32 vcc_lo, 31, v3
	v_lshlrev_b32_e32 v6, 2, v6
	s_wait_dscnt 0x0
	v_pk_add_f32 v[0:1], v[0:1], v[4:5]
	ds_bpermute_b32 v4, v6, v0
	ds_bpermute_b32 v5, v6, v1
	s_and_b32 exec_lo, exec_lo, vcc_lo
	s_cbranch_execz .LBB53_23
; %bb.19:
	s_load_b64 s[0:1], s[0:1], 0x38
	s_wait_dscnt 0x0
	v_pk_add_f32 v[0:1], v[0:1], v[4:5]
	v_lshlrev_b32_e32 v2, 1, v2
	s_cmp_eq_f32 s12, 0
	s_cbranch_scc0 .LBB53_21
; %bb.20:
	s_delay_alu instid0(VALU_DEP_1) | instskip(SKIP_3) | instid1(VALU_DEP_2)
	v_ashrrev_i32_e32 v3, 31, v2
	v_pk_mul_f32 v[6:7], s[14:15], v[0:1] op_sel_hi:[0,1]
	s_mov_b32 s2, 0
	s_wait_kmcnt 0x0
	v_lshl_add_u64 v[4:5], v[2:3], 2, s[0:1]
	global_store_b64 v[4:5], v[6:7], off
.LBB53_21:
	s_and_not1_b32 vcc_lo, exec_lo, s2
	s_cbranch_vccnz .LBB53_23
; %bb.22:
	v_ashrrev_i32_e32 v3, 31, v2
	v_pk_mul_f32 v[0:1], s[14:15], v[0:1] op_sel_hi:[0,1]
	s_wait_kmcnt 0x0
	s_delay_alu instid0(VALU_DEP_2)
	v_lshl_add_u64 v[2:3], v[2:3], 2, s[0:1]
	global_load_b64 v[4:5], v[2:3], off
	s_wait_loadcnt 0x0
	v_pk_fma_f32 v[0:1], s[12:13], v[4:5], v[0:1] op_sel_hi:[0,1,1]
	global_store_b64 v[2:3], v[0:1], off
.LBB53_23:
	s_endpgm
	.section	.rodata,"a",@progbits
	.p2align	6, 0x0
	.amdhsa_kernel _ZN9rocsparseL19gebsrmvn_2xn_kernelILj128ELj12ELj32EfEEvi20rocsparse_direction_NS_24const_host_device_scalarIT2_EEPKiS6_PKS3_S8_S4_PS3_21rocsparse_index_base_b
		.amdhsa_group_segment_fixed_size 0
		.amdhsa_private_segment_fixed_size 0
		.amdhsa_kernarg_size 72
		.amdhsa_user_sgpr_count 2
		.amdhsa_user_sgpr_dispatch_ptr 0
		.amdhsa_user_sgpr_queue_ptr 0
		.amdhsa_user_sgpr_kernarg_segment_ptr 1
		.amdhsa_user_sgpr_dispatch_id 0
		.amdhsa_user_sgpr_kernarg_preload_length 0
		.amdhsa_user_sgpr_kernarg_preload_offset 0
		.amdhsa_user_sgpr_private_segment_size 0
		.amdhsa_wavefront_size32 1
		.amdhsa_uses_dynamic_stack 0
		.amdhsa_enable_private_segment 0
		.amdhsa_system_sgpr_workgroup_id_x 1
		.amdhsa_system_sgpr_workgroup_id_y 0
		.amdhsa_system_sgpr_workgroup_id_z 0
		.amdhsa_system_sgpr_workgroup_info 0
		.amdhsa_system_vgpr_workitem_id 0
		.amdhsa_next_free_vgpr 54
		.amdhsa_next_free_sgpr 18
		.amdhsa_named_barrier_count 0
		.amdhsa_reserve_vcc 1
		.amdhsa_float_round_mode_32 0
		.amdhsa_float_round_mode_16_64 0
		.amdhsa_float_denorm_mode_32 3
		.amdhsa_float_denorm_mode_16_64 3
		.amdhsa_fp16_overflow 0
		.amdhsa_memory_ordered 1
		.amdhsa_forward_progress 1
		.amdhsa_inst_pref_size 17
		.amdhsa_round_robin_scheduling 0
		.amdhsa_exception_fp_ieee_invalid_op 0
		.amdhsa_exception_fp_denorm_src 0
		.amdhsa_exception_fp_ieee_div_zero 0
		.amdhsa_exception_fp_ieee_overflow 0
		.amdhsa_exception_fp_ieee_underflow 0
		.amdhsa_exception_fp_ieee_inexact 0
		.amdhsa_exception_int_div_zero 0
	.end_amdhsa_kernel
	.section	.text._ZN9rocsparseL19gebsrmvn_2xn_kernelILj128ELj12ELj32EfEEvi20rocsparse_direction_NS_24const_host_device_scalarIT2_EEPKiS6_PKS3_S8_S4_PS3_21rocsparse_index_base_b,"axG",@progbits,_ZN9rocsparseL19gebsrmvn_2xn_kernelILj128ELj12ELj32EfEEvi20rocsparse_direction_NS_24const_host_device_scalarIT2_EEPKiS6_PKS3_S8_S4_PS3_21rocsparse_index_base_b,comdat
.Lfunc_end53:
	.size	_ZN9rocsparseL19gebsrmvn_2xn_kernelILj128ELj12ELj32EfEEvi20rocsparse_direction_NS_24const_host_device_scalarIT2_EEPKiS6_PKS3_S8_S4_PS3_21rocsparse_index_base_b, .Lfunc_end53-_ZN9rocsparseL19gebsrmvn_2xn_kernelILj128ELj12ELj32EfEEvi20rocsparse_direction_NS_24const_host_device_scalarIT2_EEPKiS6_PKS3_S8_S4_PS3_21rocsparse_index_base_b
                                        ; -- End function
	.set _ZN9rocsparseL19gebsrmvn_2xn_kernelILj128ELj12ELj32EfEEvi20rocsparse_direction_NS_24const_host_device_scalarIT2_EEPKiS6_PKS3_S8_S4_PS3_21rocsparse_index_base_b.num_vgpr, 54
	.set _ZN9rocsparseL19gebsrmvn_2xn_kernelILj128ELj12ELj32EfEEvi20rocsparse_direction_NS_24const_host_device_scalarIT2_EEPKiS6_PKS3_S8_S4_PS3_21rocsparse_index_base_b.num_agpr, 0
	.set _ZN9rocsparseL19gebsrmvn_2xn_kernelILj128ELj12ELj32EfEEvi20rocsparse_direction_NS_24const_host_device_scalarIT2_EEPKiS6_PKS3_S8_S4_PS3_21rocsparse_index_base_b.numbered_sgpr, 18
	.set _ZN9rocsparseL19gebsrmvn_2xn_kernelILj128ELj12ELj32EfEEvi20rocsparse_direction_NS_24const_host_device_scalarIT2_EEPKiS6_PKS3_S8_S4_PS3_21rocsparse_index_base_b.num_named_barrier, 0
	.set _ZN9rocsparseL19gebsrmvn_2xn_kernelILj128ELj12ELj32EfEEvi20rocsparse_direction_NS_24const_host_device_scalarIT2_EEPKiS6_PKS3_S8_S4_PS3_21rocsparse_index_base_b.private_seg_size, 0
	.set _ZN9rocsparseL19gebsrmvn_2xn_kernelILj128ELj12ELj32EfEEvi20rocsparse_direction_NS_24const_host_device_scalarIT2_EEPKiS6_PKS3_S8_S4_PS3_21rocsparse_index_base_b.uses_vcc, 1
	.set _ZN9rocsparseL19gebsrmvn_2xn_kernelILj128ELj12ELj32EfEEvi20rocsparse_direction_NS_24const_host_device_scalarIT2_EEPKiS6_PKS3_S8_S4_PS3_21rocsparse_index_base_b.uses_flat_scratch, 0
	.set _ZN9rocsparseL19gebsrmvn_2xn_kernelILj128ELj12ELj32EfEEvi20rocsparse_direction_NS_24const_host_device_scalarIT2_EEPKiS6_PKS3_S8_S4_PS3_21rocsparse_index_base_b.has_dyn_sized_stack, 0
	.set _ZN9rocsparseL19gebsrmvn_2xn_kernelILj128ELj12ELj32EfEEvi20rocsparse_direction_NS_24const_host_device_scalarIT2_EEPKiS6_PKS3_S8_S4_PS3_21rocsparse_index_base_b.has_recursion, 0
	.set _ZN9rocsparseL19gebsrmvn_2xn_kernelILj128ELj12ELj32EfEEvi20rocsparse_direction_NS_24const_host_device_scalarIT2_EEPKiS6_PKS3_S8_S4_PS3_21rocsparse_index_base_b.has_indirect_call, 0
	.section	.AMDGPU.csdata,"",@progbits
; Kernel info:
; codeLenInByte = 2116
; TotalNumSgprs: 20
; NumVgprs: 54
; ScratchSize: 0
; MemoryBound: 0
; FloatMode: 240
; IeeeMode: 1
; LDSByteSize: 0 bytes/workgroup (compile time only)
; SGPRBlocks: 0
; VGPRBlocks: 3
; NumSGPRsForWavesPerEU: 20
; NumVGPRsForWavesPerEU: 54
; NamedBarCnt: 0
; Occupancy: 16
; WaveLimiterHint : 1
; COMPUTE_PGM_RSRC2:SCRATCH_EN: 0
; COMPUTE_PGM_RSRC2:USER_SGPR: 2
; COMPUTE_PGM_RSRC2:TRAP_HANDLER: 0
; COMPUTE_PGM_RSRC2:TGID_X_EN: 1
; COMPUTE_PGM_RSRC2:TGID_Y_EN: 0
; COMPUTE_PGM_RSRC2:TGID_Z_EN: 0
; COMPUTE_PGM_RSRC2:TIDIG_COMP_CNT: 0
	.section	.text._ZN9rocsparseL19gebsrmvn_2xn_kernelILj128ELj12ELj64EfEEvi20rocsparse_direction_NS_24const_host_device_scalarIT2_EEPKiS6_PKS3_S8_S4_PS3_21rocsparse_index_base_b,"axG",@progbits,_ZN9rocsparseL19gebsrmvn_2xn_kernelILj128ELj12ELj64EfEEvi20rocsparse_direction_NS_24const_host_device_scalarIT2_EEPKiS6_PKS3_S8_S4_PS3_21rocsparse_index_base_b,comdat
	.globl	_ZN9rocsparseL19gebsrmvn_2xn_kernelILj128ELj12ELj64EfEEvi20rocsparse_direction_NS_24const_host_device_scalarIT2_EEPKiS6_PKS3_S8_S4_PS3_21rocsparse_index_base_b ; -- Begin function _ZN9rocsparseL19gebsrmvn_2xn_kernelILj128ELj12ELj64EfEEvi20rocsparse_direction_NS_24const_host_device_scalarIT2_EEPKiS6_PKS3_S8_S4_PS3_21rocsparse_index_base_b
	.p2align	8
	.type	_ZN9rocsparseL19gebsrmvn_2xn_kernelILj128ELj12ELj64EfEEvi20rocsparse_direction_NS_24const_host_device_scalarIT2_EEPKiS6_PKS3_S8_S4_PS3_21rocsparse_index_base_b,@function
_ZN9rocsparseL19gebsrmvn_2xn_kernelILj128ELj12ELj64EfEEvi20rocsparse_direction_NS_24const_host_device_scalarIT2_EEPKiS6_PKS3_S8_S4_PS3_21rocsparse_index_base_b: ; @_ZN9rocsparseL19gebsrmvn_2xn_kernelILj128ELj12ELj64EfEEvi20rocsparse_direction_NS_24const_host_device_scalarIT2_EEPKiS6_PKS3_S8_S4_PS3_21rocsparse_index_base_b
; %bb.0:
	s_clause 0x2
	s_load_b64 s[16:17], s[0:1], 0x40
	s_load_b64 s[14:15], s[0:1], 0x8
	;; [unrolled: 1-line block ×3, first 2 shown]
	s_wait_kmcnt 0x0
	s_bitcmp1_b32 s17, 0
	s_cselect_b32 s2, -1, 0
	s_delay_alu instid0(SALU_CYCLE_1)
	s_and_b32 vcc_lo, exec_lo, s2
	s_xor_b32 s2, s2, -1
	s_cbranch_vccnz .LBB54_2
; %bb.1:
	s_load_b32 s14, s[14:15], 0x0
.LBB54_2:
	s_and_not1_b32 vcc_lo, exec_lo, s2
	s_cbranch_vccnz .LBB54_4
; %bb.3:
	s_load_b32 s12, s[12:13], 0x0
.LBB54_4:
	s_wait_kmcnt 0x0
	s_cmp_eq_f32 s14, 0
	s_cselect_b32 s2, -1, 0
	s_cmp_eq_f32 s12, 1.0
	s_cselect_b32 s3, -1, 0
	s_delay_alu instid0(SALU_CYCLE_1) | instskip(NEXT) | instid1(SALU_CYCLE_1)
	s_and_b32 s2, s2, s3
	s_and_b32 vcc_lo, exec_lo, s2
	s_cbranch_vccnz .LBB54_23
; %bb.5:
	s_load_b64 s[2:3], s[0:1], 0x0
	s_bfe_u32 s4, ttmp6, 0x4000c
	s_and_b32 s5, ttmp6, 15
	s_add_co_i32 s4, s4, 1
	s_getreg_b32 s6, hwreg(HW_REG_IB_STS2, 6, 4)
	s_mul_i32 s4, ttmp9, s4
	v_lshrrev_b32_e32 v1, 6, v0
	s_add_co_i32 s5, s5, s4
	s_cmp_eq_u32 s6, 0
	s_cselect_b32 s4, ttmp9, s5
	s_delay_alu instid0(VALU_DEP_1) | instid1(SALU_CYCLE_1)
	v_lshl_or_b32 v2, s4, 1, v1
	s_wait_kmcnt 0x0
	s_delay_alu instid0(VALU_DEP_1)
	v_cmp_gt_i32_e32 vcc_lo, s2, v2
	s_and_saveexec_b32 s2, vcc_lo
	s_cbranch_execz .LBB54_23
; %bb.6:
	s_load_b256 s[4:11], s[0:1], 0x10
	v_ashrrev_i32_e32 v3, 31, v2
	s_cmp_lg_u32 s3, 0
	s_wait_kmcnt 0x0
	s_delay_alu instid0(VALU_DEP_1)
	v_lshl_add_u64 v[4:5], v[2:3], 2, s[4:5]
	v_and_b32_e32 v3, 63, v0
	global_load_b64 v[4:5], v[4:5], off
	s_wait_loadcnt 0x0
	v_subrev_nc_u32_e32 v0, s16, v4
	v_subrev_nc_u32_e32 v8, s16, v5
	s_delay_alu instid0(VALU_DEP_2) | instskip(NEXT) | instid1(VALU_DEP_1)
	v_add_nc_u32_e32 v9, v0, v3
	v_cmp_lt_i32_e64 s2, v9, v8
	s_cbranch_scc0 .LBB54_12
; %bb.7:
	v_mov_b32_e32 v1, 0
	s_delay_alu instid0(VALU_DEP_1)
	v_mov_b32_e32 v0, v1
	s_and_saveexec_b32 s3, s2
	s_cbranch_execz .LBB54_11
; %bb.8:
	v_mad_u32 v4, v9, 24, 22
	v_dual_mov_b32 v7, 0 :: v_dual_mov_b32 v10, v9
	s_mov_b32 s4, 0
	s_delay_alu instid0(VALU_DEP_1)
	v_dual_mov_b32 v0, v7 :: v_dual_mov_b32 v1, v7
.LBB54_9:                               ; =>This Inner Loop Header: Depth=1
	global_load_b32 v5, v10, s[6:7] scale_offset
	v_subrev_nc_u32_e32 v6, 22, v4
	s_wait_xcnt 0x0
	v_dual_mov_b32 v29, v7 :: v_dual_add_nc_u32 v10, 64, v10
	s_delay_alu instid0(VALU_DEP_2)
	v_lshl_add_u64 v[20:21], v[6:7], 2, s[8:9]
	v_add_nc_u32_e32 v6, -14, v4
	s_clause 0x1
	global_load_b128 v[12:15], v[20:21], off offset:16
	global_load_b128 v[16:19], v[20:21], off
	v_lshl_add_u64 v[24:25], v[6:7], 2, s[8:9]
	v_cmp_ge_i32_e32 vcc_lo, v10, v8
	s_or_b32 s4, vcc_lo, s4
	s_wait_loadcnt 0x2
	v_subrev_nc_u32_e32 v5, s16, v5
	s_delay_alu instid0(VALU_DEP_1) | instskip(SKIP_1) | instid1(VALU_DEP_1)
	v_mul_lo_u32 v28, v5, 12
	v_mov_b32_e32 v5, v7
	v_lshl_add_u64 v[46:47], v[4:5], 2, s[8:9]
	s_delay_alu instid0(VALU_DEP_3) | instskip(SKIP_4) | instid1(VALU_DEP_1)
	v_lshl_add_u64 v[26:27], v[28:29], 2, s[10:11]
	global_load_b64 v[32:33], v[24:25], off
	global_load_b128 v[20:23], v[26:27], off
	v_add_nc_u32_e32 v6, 4, v28
	s_wait_xcnt 0x1
	v_lshl_add_u64 v[24:25], v[6:7], 2, s[10:11]
	v_add_nc_u32_e32 v6, -12, v4
	global_load_b128 v[24:27], v[24:25], off
	v_lshl_add_u64 v[30:31], v[6:7], 2, s[8:9]
	v_add_nc_u32_e32 v6, -10, v4
	global_load_b64 v[36:37], v[30:31], off
	v_lshl_add_u64 v[34:35], v[6:7], 2, s[8:9]
	v_add_nc_u32_e32 v6, -8, v4
	global_load_b64 v[34:35], v[34:35], off
	s_wait_xcnt 0x1
	v_lshl_add_u64 v[30:31], v[6:7], 2, s[8:9]
	v_add_nc_u32_e32 v6, -6, v4
	global_load_b64 v[40:41], v[30:31], off
	v_lshl_add_u64 v[38:39], v[6:7], 2, s[8:9]
	v_add_nc_u32_e32 v6, 8, v28
	s_delay_alu instid0(VALU_DEP_1)
	v_lshl_add_u64 v[42:43], v[6:7], 2, s[10:11]
	v_add_nc_u32_e32 v6, -4, v4
	global_load_b64 v[44:45], v[38:39], off
	global_load_b128 v[28:31], v[42:43], off
	s_wait_xcnt 0x1
	v_lshl_add_u64 v[38:39], v[6:7], 2, s[8:9]
	v_add_nc_u32_e32 v6, -2, v4
	v_add_nc_u32_e32 v4, 0x600, v4
	global_load_b64 v[38:39], v[38:39], off
	s_wait_xcnt 0x1
	v_lshl_add_u64 v[42:43], v[6:7], 2, s[8:9]
	s_clause 0x1
	global_load_b64 v[48:49], v[42:43], off
	global_load_b64 v[50:51], v[46:47], off
	s_wait_loadcnt 0x9
	v_pk_fma_f32 v[0:1], v[16:17], v[20:21], v[0:1] op_sel_hi:[1,0,1]
	v_mov_b32_e32 v6, v23
	s_delay_alu instid0(VALU_DEP_2) | instskip(NEXT) | instid1(VALU_DEP_1)
	v_pk_fma_f32 v[0:1], v[18:19], v[20:21], v[0:1] op_sel:[0,1,0]
	v_pk_fma_f32 v[0:1], v[12:13], v[22:23], v[0:1] op_sel_hi:[1,0,1]
	s_delay_alu instid0(VALU_DEP_1) | instskip(SKIP_2) | instid1(VALU_DEP_2)
	v_pk_fma_f32 v[0:1], v[14:15], v[6:7], v[0:1] op_sel_hi:[1,0,1]
	s_wait_loadcnt 0x8
	v_mov_b32_e32 v6, v27
	v_pk_fma_f32 v[0:1], v[32:33], v[24:25], v[0:1] op_sel_hi:[1,0,1]
	s_wait_loadcnt 0x7
	s_delay_alu instid0(VALU_DEP_1) | instskip(SKIP_1) | instid1(VALU_DEP_1)
	v_pk_fma_f32 v[0:1], v[36:37], v[24:25], v[0:1] op_sel:[0,1,0]
	s_wait_loadcnt 0x6
	v_pk_fma_f32 v[0:1], v[34:35], v[26:27], v[0:1] op_sel_hi:[1,0,1]
	s_wait_loadcnt 0x5
	s_delay_alu instid0(VALU_DEP_1) | instskip(SKIP_2) | instid1(VALU_DEP_2)
	v_pk_fma_f32 v[0:1], v[40:41], v[6:7], v[0:1] op_sel_hi:[1,0,1]
	s_wait_loadcnt 0x3
	v_mov_b32_e32 v6, v31
	v_pk_fma_f32 v[0:1], v[44:45], v[28:29], v[0:1] op_sel_hi:[1,0,1]
	s_wait_loadcnt 0x2
	s_delay_alu instid0(VALU_DEP_1) | instskip(SKIP_1) | instid1(VALU_DEP_1)
	v_pk_fma_f32 v[0:1], v[38:39], v[28:29], v[0:1] op_sel:[0,1,0]
	s_wait_loadcnt 0x1
	v_pk_fma_f32 v[0:1], v[48:49], v[30:31], v[0:1] op_sel_hi:[1,0,1]
	s_wait_loadcnt 0x0
	s_delay_alu instid0(VALU_DEP_1)
	v_pk_fma_f32 v[0:1], v[50:51], v[6:7], v[0:1] op_sel_hi:[1,0,1]
	s_and_not1_b32 exec_lo, exec_lo, s4
	s_cbranch_execnz .LBB54_9
; %bb.10:
	s_or_b32 exec_lo, exec_lo, s4
.LBB54_11:
	s_delay_alu instid0(SALU_CYCLE_1)
	s_or_b32 exec_lo, exec_lo, s3
	s_cbranch_execz .LBB54_13
	s_branch .LBB54_18
.LBB54_12:
                                        ; implicit-def: $vgpr1
.LBB54_13:
	v_mov_b32_e32 v1, 0
	s_delay_alu instid0(VALU_DEP_1)
	v_mov_b32_e32 v0, v1
	s_and_saveexec_b32 s3, s2
	s_cbranch_execz .LBB54_17
; %bb.14:
	v_mad_u32 v6, v9, 24, 23
	v_mov_b32_e32 v5, 0
	s_mov_b32 s2, 0
	s_delay_alu instid0(VALU_DEP_1)
	v_dual_mov_b32 v0, v5 :: v_dual_mov_b32 v1, v5
.LBB54_15:                              ; =>This Inner Loop Header: Depth=1
	global_load_b32 v4, v9, s[6:7] scale_offset
	v_dual_mov_b32 v27, v5 :: v_dual_add_nc_u32 v7, -10, v6
	v_dual_add_nc_u32 v30, -3, v6 :: v_dual_add_nc_u32 v32, -2, v6
	s_wait_loadcnt 0x0
	v_subrev_nc_u32_e32 v4, s16, v4
	s_delay_alu instid0(VALU_DEP_1) | instskip(SKIP_1) | instid1(VALU_DEP_1)
	v_mul_lo_u32 v26, v4, 12
	v_subrev_nc_u32_e32 v4, 23, v6
	v_lshl_add_u64 v[22:23], v[4:5], 2, s[8:9]
	v_add_nc_u32_e32 v4, -11, v6
	global_load_b128 v[10:13], v[22:23], off
	v_lshl_add_u64 v[18:19], v[26:27], 2, s[10:11]
	global_load_b32 v31, v4, s[8:9] scale_offset
	global_load_b128 v[14:17], v[18:19], off
	s_wait_xcnt 0x1
	v_add_nc_u32_e32 v4, -9, v6
	global_load_b32 v33, v7, s[8:9] scale_offset
	v_add_nc_u32_e32 v27, -7, v6
	global_load_b32 v35, v4, s[8:9] scale_offset
	s_wait_xcnt 0x1
	v_add_nc_u32_e32 v7, -8, v6
	s_wait_xcnt 0x0
	v_add_nc_u32_e32 v4, 4, v26
	s_clause 0x1
	global_load_b32 v37, v7, s[8:9] scale_offset
	global_load_b128 v[18:21], v[22:23], off offset:16
	v_lshl_add_u64 v[28:29], v[4:5], 2, s[10:11]
	s_wait_xcnt 0x1
	v_dual_add_nc_u32 v4, -6, v6 :: v_dual_add_nc_u32 v7, -5, v6
	global_load_b32 v39, v27, s[8:9] scale_offset
	global_load_b128 v[22:25], v[28:29], off
	s_wait_xcnt 0x1
	v_add_nc_u32_e32 v27, -4, v6
	s_clause 0x2
	global_load_b32 v41, v4, s[8:9] scale_offset
	global_load_b32 v43, v7, s[8:9] scale_offset
	;; [unrolled: 1-line block ×3, first 2 shown]
	s_wait_xcnt 0x2
	v_add_nc_u32_e32 v4, 8, v26
	s_wait_xcnt 0x1
	v_add_nc_u32_e32 v7, -15, v6
	s_delay_alu instid0(VALU_DEP_2)
	v_lshl_add_u64 v[46:47], v[4:5], 2, s[10:11]
	v_add_nc_u32_e32 v4, -14, v6
	s_clause 0x1
	global_load_b32 v48, v7, s[8:9] scale_offset
	global_load_b32 v49, v30, s[8:9] scale_offset
	global_load_b128 v[26:29], v[46:47], off
	s_wait_xcnt 0x2
	v_add_nc_u32_e32 v7, -13, v6
	s_clause 0x1
	global_load_b32 v46, v4, s[8:9] scale_offset
	global_load_b32 v47, v32, s[8:9] scale_offset
	s_wait_xcnt 0x1
	v_dual_add_nc_u32 v30, -1, v6 :: v_dual_add_nc_u32 v4, -12, v6
	s_clause 0x3
	global_load_b32 v50, v7, s[8:9] scale_offset
	global_load_b32 v51, v30, s[8:9] scale_offset
	;; [unrolled: 1-line block ×4, first 2 shown]
	v_add_nc_u32_e32 v9, 64, v9
	s_wait_xcnt 0x0
	v_add_nc_u32_e32 v6, 0x600, v6
	s_wait_loadcnt 0x14
	v_dual_mov_b32 v30, v10 :: v_dual_mov_b32 v32, v11
	v_dual_mov_b32 v34, v12 :: v_dual_mov_b32 v36, v13
	s_wait_loadcnt 0x12
	s_delay_alu instid0(VALU_DEP_2) | instskip(SKIP_2) | instid1(VALU_DEP_2)
	v_pk_fma_f32 v[0:1], v[30:31], v[14:15], v[0:1] op_sel_hi:[1,0,1]
	v_mov_b32_e32 v4, v17
	s_wait_loadcnt 0x11
	v_pk_fma_f32 v[0:1], v[32:33], v[14:15], v[0:1] op_sel:[0,1,0]
	s_wait_loadcnt 0x10
	s_delay_alu instid0(VALU_DEP_1) | instskip(SKIP_3) | instid1(VALU_DEP_3)
	v_pk_fma_f32 v[0:1], v[34:35], v[16:17], v[0:1] op_sel_hi:[1,0,1]
	s_wait_loadcnt 0xe
	v_dual_mov_b32 v38, v18 :: v_dual_mov_b32 v40, v19
	v_mov_b32_e32 v42, v20
	v_pk_fma_f32 v[0:1], v[36:37], v[4:5], v[0:1] op_sel_hi:[1,0,1]
	s_wait_loadcnt 0xc
	v_dual_mov_b32 v44, v21 :: v_dual_mov_b32 v4, v25
	s_delay_alu instid0(VALU_DEP_2) | instskip(SKIP_1) | instid1(VALU_DEP_1)
	v_pk_fma_f32 v[0:1], v[38:39], v[22:23], v[0:1] op_sel_hi:[1,0,1]
	s_wait_loadcnt 0xb
	v_pk_fma_f32 v[0:1], v[40:41], v[22:23], v[0:1] op_sel:[0,1,0]
	s_wait_loadcnt 0xa
	s_delay_alu instid0(VALU_DEP_1) | instskip(SKIP_1) | instid1(VALU_DEP_1)
	v_pk_fma_f32 v[0:1], v[42:43], v[24:25], v[0:1] op_sel_hi:[1,0,1]
	s_wait_loadcnt 0x9
	v_pk_fma_f32 v[0:1], v[44:45], v[4:5], v[0:1] op_sel_hi:[1,0,1]
	s_wait_loadcnt 0x6
	v_mov_b32_e32 v4, v29
	v_cmp_ge_i32_e32 vcc_lo, v9, v8
	s_delay_alu instid0(VALU_DEP_3) | instskip(SKIP_2) | instid1(VALU_DEP_1)
	v_pk_fma_f32 v[0:1], v[48:49], v[26:27], v[0:1] op_sel_hi:[1,0,1]
	s_or_b32 s2, vcc_lo, s2
	s_wait_loadcnt 0x4
	v_pk_fma_f32 v[0:1], v[46:47], v[26:27], v[0:1] op_sel:[0,1,0]
	s_wait_loadcnt 0x2
	s_delay_alu instid0(VALU_DEP_1) | instskip(SKIP_1) | instid1(VALU_DEP_1)
	v_pk_fma_f32 v[0:1], v[50:51], v[28:29], v[0:1] op_sel_hi:[1,0,1]
	s_wait_loadcnt 0x0
	v_pk_fma_f32 v[0:1], v[52:53], v[4:5], v[0:1] op_sel_hi:[1,0,1]
	s_and_not1_b32 exec_lo, exec_lo, s2
	s_cbranch_execnz .LBB54_15
; %bb.16:
	s_or_b32 exec_lo, exec_lo, s2
.LBB54_17:
	s_delay_alu instid0(SALU_CYCLE_1)
	s_or_b32 exec_lo, exec_lo, s3
.LBB54_18:
	v_mbcnt_lo_u32_b32 v6, -1, 0
	s_mov_b32 s2, -1
	s_delay_alu instid0(VALU_DEP_1) | instskip(SKIP_1) | instid1(VALU_DEP_1)
	v_xor_b32_e32 v7, 16, v6
	v_or_b32_e32 v4, 32, v6
	v_cmp_gt_i32_e32 vcc_lo, 32, v4
	v_cndmask_b32_e32 v4, v6, v4, vcc_lo
	s_delay_alu instid0(VALU_DEP_4) | instskip(SKIP_1) | instid1(VALU_DEP_1)
	v_cmp_gt_i32_e32 vcc_lo, 32, v7
	v_cndmask_b32_e32 v7, v6, v7, vcc_lo
	v_dual_lshlrev_b32 v7, 2, v7 :: v_dual_lshlrev_b32 v5, 2, v4
	ds_bpermute_b32 v4, v5, v0
	ds_bpermute_b32 v5, v5, v1
	s_wait_dscnt 0x0
	v_pk_add_f32 v[0:1], v[0:1], v[4:5]
	ds_bpermute_b32 v4, v7, v0
	ds_bpermute_b32 v5, v7, v1
	v_xor_b32_e32 v7, 8, v6
	s_delay_alu instid0(VALU_DEP_1) | instskip(SKIP_1) | instid1(VALU_DEP_1)
	v_cmp_gt_i32_e32 vcc_lo, 32, v7
	v_cndmask_b32_e32 v7, v6, v7, vcc_lo
	v_lshlrev_b32_e32 v7, 2, v7
	s_wait_dscnt 0x0
	v_pk_add_f32 v[0:1], v[0:1], v[4:5]
	ds_bpermute_b32 v4, v7, v0
	ds_bpermute_b32 v5, v7, v1
	v_xor_b32_e32 v7, 4, v6
	s_delay_alu instid0(VALU_DEP_1) | instskip(SKIP_1) | instid1(VALU_DEP_1)
	v_cmp_gt_i32_e32 vcc_lo, 32, v7
	v_cndmask_b32_e32 v7, v6, v7, vcc_lo
	v_lshlrev_b32_e32 v7, 2, v7
	s_wait_dscnt 0x0
	v_pk_add_f32 v[0:1], v[0:1], v[4:5]
	ds_bpermute_b32 v4, v7, v0
	ds_bpermute_b32 v5, v7, v1
	v_xor_b32_e32 v7, 2, v6
	s_delay_alu instid0(VALU_DEP_1) | instskip(SKIP_1) | instid1(VALU_DEP_1)
	v_cmp_gt_i32_e32 vcc_lo, 32, v7
	v_cndmask_b32_e32 v7, v6, v7, vcc_lo
	v_lshlrev_b32_e32 v7, 2, v7
	s_wait_dscnt 0x0
	v_pk_add_f32 v[0:1], v[0:1], v[4:5]
	ds_bpermute_b32 v4, v7, v0
	ds_bpermute_b32 v5, v7, v1
	v_xor_b32_e32 v7, 1, v6
	s_delay_alu instid0(VALU_DEP_1) | instskip(SKIP_2) | instid1(VALU_DEP_2)
	v_cmp_gt_i32_e32 vcc_lo, 32, v7
	v_cndmask_b32_e32 v6, v6, v7, vcc_lo
	v_cmp_eq_u32_e32 vcc_lo, 63, v3
	v_lshlrev_b32_e32 v6, 2, v6
	s_wait_dscnt 0x0
	v_pk_add_f32 v[0:1], v[0:1], v[4:5]
	ds_bpermute_b32 v4, v6, v0
	ds_bpermute_b32 v5, v6, v1
	s_and_b32 exec_lo, exec_lo, vcc_lo
	s_cbranch_execz .LBB54_23
; %bb.19:
	s_load_b64 s[0:1], s[0:1], 0x38
	s_wait_dscnt 0x0
	v_pk_add_f32 v[0:1], v[0:1], v[4:5]
	v_lshlrev_b32_e32 v2, 1, v2
	s_cmp_eq_f32 s12, 0
	s_cbranch_scc0 .LBB54_21
; %bb.20:
	s_delay_alu instid0(VALU_DEP_1) | instskip(SKIP_3) | instid1(VALU_DEP_2)
	v_ashrrev_i32_e32 v3, 31, v2
	v_pk_mul_f32 v[6:7], s[14:15], v[0:1] op_sel_hi:[0,1]
	s_mov_b32 s2, 0
	s_wait_kmcnt 0x0
	v_lshl_add_u64 v[4:5], v[2:3], 2, s[0:1]
	global_store_b64 v[4:5], v[6:7], off
.LBB54_21:
	s_and_not1_b32 vcc_lo, exec_lo, s2
	s_cbranch_vccnz .LBB54_23
; %bb.22:
	v_ashrrev_i32_e32 v3, 31, v2
	v_pk_mul_f32 v[0:1], s[14:15], v[0:1] op_sel_hi:[0,1]
	s_wait_kmcnt 0x0
	s_delay_alu instid0(VALU_DEP_2)
	v_lshl_add_u64 v[2:3], v[2:3], 2, s[0:1]
	global_load_b64 v[4:5], v[2:3], off
	s_wait_loadcnt 0x0
	v_pk_fma_f32 v[0:1], s[12:13], v[4:5], v[0:1] op_sel_hi:[0,1,1]
	global_store_b64 v[2:3], v[0:1], off
.LBB54_23:
	s_endpgm
	.section	.rodata,"a",@progbits
	.p2align	6, 0x0
	.amdhsa_kernel _ZN9rocsparseL19gebsrmvn_2xn_kernelILj128ELj12ELj64EfEEvi20rocsparse_direction_NS_24const_host_device_scalarIT2_EEPKiS6_PKS3_S8_S4_PS3_21rocsparse_index_base_b
		.amdhsa_group_segment_fixed_size 0
		.amdhsa_private_segment_fixed_size 0
		.amdhsa_kernarg_size 72
		.amdhsa_user_sgpr_count 2
		.amdhsa_user_sgpr_dispatch_ptr 0
		.amdhsa_user_sgpr_queue_ptr 0
		.amdhsa_user_sgpr_kernarg_segment_ptr 1
		.amdhsa_user_sgpr_dispatch_id 0
		.amdhsa_user_sgpr_kernarg_preload_length 0
		.amdhsa_user_sgpr_kernarg_preload_offset 0
		.amdhsa_user_sgpr_private_segment_size 0
		.amdhsa_wavefront_size32 1
		.amdhsa_uses_dynamic_stack 0
		.amdhsa_enable_private_segment 0
		.amdhsa_system_sgpr_workgroup_id_x 1
		.amdhsa_system_sgpr_workgroup_id_y 0
		.amdhsa_system_sgpr_workgroup_id_z 0
		.amdhsa_system_sgpr_workgroup_info 0
		.amdhsa_system_vgpr_workitem_id 0
		.amdhsa_next_free_vgpr 54
		.amdhsa_next_free_sgpr 18
		.amdhsa_named_barrier_count 0
		.amdhsa_reserve_vcc 1
		.amdhsa_float_round_mode_32 0
		.amdhsa_float_round_mode_16_64 0
		.amdhsa_float_denorm_mode_32 3
		.amdhsa_float_denorm_mode_16_64 3
		.amdhsa_fp16_overflow 0
		.amdhsa_memory_ordered 1
		.amdhsa_forward_progress 1
		.amdhsa_inst_pref_size 17
		.amdhsa_round_robin_scheduling 0
		.amdhsa_exception_fp_ieee_invalid_op 0
		.amdhsa_exception_fp_denorm_src 0
		.amdhsa_exception_fp_ieee_div_zero 0
		.amdhsa_exception_fp_ieee_overflow 0
		.amdhsa_exception_fp_ieee_underflow 0
		.amdhsa_exception_fp_ieee_inexact 0
		.amdhsa_exception_int_div_zero 0
	.end_amdhsa_kernel
	.section	.text._ZN9rocsparseL19gebsrmvn_2xn_kernelILj128ELj12ELj64EfEEvi20rocsparse_direction_NS_24const_host_device_scalarIT2_EEPKiS6_PKS3_S8_S4_PS3_21rocsparse_index_base_b,"axG",@progbits,_ZN9rocsparseL19gebsrmvn_2xn_kernelILj128ELj12ELj64EfEEvi20rocsparse_direction_NS_24const_host_device_scalarIT2_EEPKiS6_PKS3_S8_S4_PS3_21rocsparse_index_base_b,comdat
.Lfunc_end54:
	.size	_ZN9rocsparseL19gebsrmvn_2xn_kernelILj128ELj12ELj64EfEEvi20rocsparse_direction_NS_24const_host_device_scalarIT2_EEPKiS6_PKS3_S8_S4_PS3_21rocsparse_index_base_b, .Lfunc_end54-_ZN9rocsparseL19gebsrmvn_2xn_kernelILj128ELj12ELj64EfEEvi20rocsparse_direction_NS_24const_host_device_scalarIT2_EEPKiS6_PKS3_S8_S4_PS3_21rocsparse_index_base_b
                                        ; -- End function
	.set _ZN9rocsparseL19gebsrmvn_2xn_kernelILj128ELj12ELj64EfEEvi20rocsparse_direction_NS_24const_host_device_scalarIT2_EEPKiS6_PKS3_S8_S4_PS3_21rocsparse_index_base_b.num_vgpr, 54
	.set _ZN9rocsparseL19gebsrmvn_2xn_kernelILj128ELj12ELj64EfEEvi20rocsparse_direction_NS_24const_host_device_scalarIT2_EEPKiS6_PKS3_S8_S4_PS3_21rocsparse_index_base_b.num_agpr, 0
	.set _ZN9rocsparseL19gebsrmvn_2xn_kernelILj128ELj12ELj64EfEEvi20rocsparse_direction_NS_24const_host_device_scalarIT2_EEPKiS6_PKS3_S8_S4_PS3_21rocsparse_index_base_b.numbered_sgpr, 18
	.set _ZN9rocsparseL19gebsrmvn_2xn_kernelILj128ELj12ELj64EfEEvi20rocsparse_direction_NS_24const_host_device_scalarIT2_EEPKiS6_PKS3_S8_S4_PS3_21rocsparse_index_base_b.num_named_barrier, 0
	.set _ZN9rocsparseL19gebsrmvn_2xn_kernelILj128ELj12ELj64EfEEvi20rocsparse_direction_NS_24const_host_device_scalarIT2_EEPKiS6_PKS3_S8_S4_PS3_21rocsparse_index_base_b.private_seg_size, 0
	.set _ZN9rocsparseL19gebsrmvn_2xn_kernelILj128ELj12ELj64EfEEvi20rocsparse_direction_NS_24const_host_device_scalarIT2_EEPKiS6_PKS3_S8_S4_PS3_21rocsparse_index_base_b.uses_vcc, 1
	.set _ZN9rocsparseL19gebsrmvn_2xn_kernelILj128ELj12ELj64EfEEvi20rocsparse_direction_NS_24const_host_device_scalarIT2_EEPKiS6_PKS3_S8_S4_PS3_21rocsparse_index_base_b.uses_flat_scratch, 0
	.set _ZN9rocsparseL19gebsrmvn_2xn_kernelILj128ELj12ELj64EfEEvi20rocsparse_direction_NS_24const_host_device_scalarIT2_EEPKiS6_PKS3_S8_S4_PS3_21rocsparse_index_base_b.has_dyn_sized_stack, 0
	.set _ZN9rocsparseL19gebsrmvn_2xn_kernelILj128ELj12ELj64EfEEvi20rocsparse_direction_NS_24const_host_device_scalarIT2_EEPKiS6_PKS3_S8_S4_PS3_21rocsparse_index_base_b.has_recursion, 0
	.set _ZN9rocsparseL19gebsrmvn_2xn_kernelILj128ELj12ELj64EfEEvi20rocsparse_direction_NS_24const_host_device_scalarIT2_EEPKiS6_PKS3_S8_S4_PS3_21rocsparse_index_base_b.has_indirect_call, 0
	.section	.AMDGPU.csdata,"",@progbits
; Kernel info:
; codeLenInByte = 2164
; TotalNumSgprs: 20
; NumVgprs: 54
; ScratchSize: 0
; MemoryBound: 0
; FloatMode: 240
; IeeeMode: 1
; LDSByteSize: 0 bytes/workgroup (compile time only)
; SGPRBlocks: 0
; VGPRBlocks: 3
; NumSGPRsForWavesPerEU: 20
; NumVGPRsForWavesPerEU: 54
; NamedBarCnt: 0
; Occupancy: 16
; WaveLimiterHint : 1
; COMPUTE_PGM_RSRC2:SCRATCH_EN: 0
; COMPUTE_PGM_RSRC2:USER_SGPR: 2
; COMPUTE_PGM_RSRC2:TRAP_HANDLER: 0
; COMPUTE_PGM_RSRC2:TGID_X_EN: 1
; COMPUTE_PGM_RSRC2:TGID_Y_EN: 0
; COMPUTE_PGM_RSRC2:TGID_Z_EN: 0
; COMPUTE_PGM_RSRC2:TIDIG_COMP_CNT: 0
	.section	.text._ZN9rocsparseL19gebsrmvn_2xn_kernelILj128ELj13ELj4EfEEvi20rocsparse_direction_NS_24const_host_device_scalarIT2_EEPKiS6_PKS3_S8_S4_PS3_21rocsparse_index_base_b,"axG",@progbits,_ZN9rocsparseL19gebsrmvn_2xn_kernelILj128ELj13ELj4EfEEvi20rocsparse_direction_NS_24const_host_device_scalarIT2_EEPKiS6_PKS3_S8_S4_PS3_21rocsparse_index_base_b,comdat
	.globl	_ZN9rocsparseL19gebsrmvn_2xn_kernelILj128ELj13ELj4EfEEvi20rocsparse_direction_NS_24const_host_device_scalarIT2_EEPKiS6_PKS3_S8_S4_PS3_21rocsparse_index_base_b ; -- Begin function _ZN9rocsparseL19gebsrmvn_2xn_kernelILj128ELj13ELj4EfEEvi20rocsparse_direction_NS_24const_host_device_scalarIT2_EEPKiS6_PKS3_S8_S4_PS3_21rocsparse_index_base_b
	.p2align	8
	.type	_ZN9rocsparseL19gebsrmvn_2xn_kernelILj128ELj13ELj4EfEEvi20rocsparse_direction_NS_24const_host_device_scalarIT2_EEPKiS6_PKS3_S8_S4_PS3_21rocsparse_index_base_b,@function
_ZN9rocsparseL19gebsrmvn_2xn_kernelILj128ELj13ELj4EfEEvi20rocsparse_direction_NS_24const_host_device_scalarIT2_EEPKiS6_PKS3_S8_S4_PS3_21rocsparse_index_base_b: ; @_ZN9rocsparseL19gebsrmvn_2xn_kernelILj128ELj13ELj4EfEEvi20rocsparse_direction_NS_24const_host_device_scalarIT2_EEPKiS6_PKS3_S8_S4_PS3_21rocsparse_index_base_b
; %bb.0:
	s_clause 0x2
	s_load_b64 s[16:17], s[0:1], 0x40
	s_load_b64 s[14:15], s[0:1], 0x8
	s_load_b64 s[12:13], s[0:1], 0x30
	s_wait_kmcnt 0x0
	s_bitcmp1_b32 s17, 0
	s_cselect_b32 s2, -1, 0
	s_delay_alu instid0(SALU_CYCLE_1)
	s_and_b32 vcc_lo, exec_lo, s2
	s_xor_b32 s2, s2, -1
	s_cbranch_vccnz .LBB55_2
; %bb.1:
	s_load_b32 s14, s[14:15], 0x0
.LBB55_2:
	s_and_not1_b32 vcc_lo, exec_lo, s2
	s_cbranch_vccnz .LBB55_4
; %bb.3:
	s_load_b32 s12, s[12:13], 0x0
.LBB55_4:
	s_wait_kmcnt 0x0
	s_cmp_eq_f32 s14, 0
	s_cselect_b32 s2, -1, 0
	s_cmp_eq_f32 s12, 1.0
	s_cselect_b32 s3, -1, 0
	s_delay_alu instid0(SALU_CYCLE_1) | instskip(NEXT) | instid1(SALU_CYCLE_1)
	s_and_b32 s2, s2, s3
	s_and_b32 vcc_lo, exec_lo, s2
	s_cbranch_vccnz .LBB55_23
; %bb.5:
	s_load_b64 s[2:3], s[0:1], 0x0
	s_bfe_u32 s4, ttmp6, 0x4000c
	s_and_b32 s5, ttmp6, 15
	s_add_co_i32 s4, s4, 1
	s_getreg_b32 s6, hwreg(HW_REG_IB_STS2, 6, 4)
	s_mul_i32 s4, ttmp9, s4
	v_lshrrev_b32_e32 v1, 2, v0
	s_add_co_i32 s5, s5, s4
	s_cmp_eq_u32 s6, 0
	s_cselect_b32 s4, ttmp9, s5
	s_delay_alu instid0(VALU_DEP_1) | instid1(SALU_CYCLE_1)
	v_lshl_or_b32 v2, s4, 5, v1
	s_wait_kmcnt 0x0
	s_delay_alu instid0(VALU_DEP_1)
	v_cmp_gt_i32_e32 vcc_lo, s2, v2
	s_and_saveexec_b32 s2, vcc_lo
	s_cbranch_execz .LBB55_23
; %bb.6:
	s_load_b256 s[4:11], s[0:1], 0x10
	v_ashrrev_i32_e32 v3, 31, v2
	s_cmp_lg_u32 s3, 0
	s_wait_kmcnt 0x0
	s_delay_alu instid0(VALU_DEP_1)
	v_lshl_add_u64 v[4:5], v[2:3], 2, s[4:5]
	v_and_b32_e32 v3, 3, v0
	global_load_b64 v[4:5], v[4:5], off
	s_wait_loadcnt 0x0
	v_subrev_nc_u32_e32 v0, s16, v4
	v_subrev_nc_u32_e32 v8, s16, v5
	s_delay_alu instid0(VALU_DEP_2) | instskip(NEXT) | instid1(VALU_DEP_1)
	v_add_nc_u32_e32 v9, v0, v3
	v_cmp_lt_i32_e64 s2, v9, v8
	s_cbranch_scc0 .LBB55_12
; %bb.7:
	v_mov_b32_e32 v1, 0
	s_delay_alu instid0(VALU_DEP_1)
	v_mov_b32_e32 v0, v1
	s_and_saveexec_b32 s3, s2
	s_cbranch_execz .LBB55_11
; %bb.8:
	v_mad_u32 v4, v9, 26, 24
	v_dual_mov_b32 v7, 0 :: v_dual_mov_b32 v10, v9
	s_mov_b32 s4, 0
	s_delay_alu instid0(VALU_DEP_1)
	v_dual_mov_b32 v0, v7 :: v_dual_mov_b32 v1, v7
.LBB55_9:                               ; =>This Inner Loop Header: Depth=1
	global_load_b32 v5, v10, s[6:7] scale_offset
	v_subrev_nc_u32_e32 v6, 24, v4
	s_wait_xcnt 0x0
	v_add_nc_u32_e32 v10, 4, v10
	s_delay_alu instid0(VALU_DEP_2) | instskip(SKIP_1) | instid1(VALU_DEP_3)
	v_lshl_add_u64 v[12:13], v[6:7], 2, s[8:9]
	v_subrev_nc_u32_e32 v6, 22, v4
	v_cmp_ge_i32_e32 vcc_lo, v10, v8
	global_load_b64 v[12:13], v[12:13], off
	v_lshl_add_u64 v[14:15], v[6:7], 2, s[8:9]
	v_subrev_nc_u32_e32 v6, 20, v4
	s_or_b32 s4, vcc_lo, s4
	s_delay_alu instid0(VALU_DEP_1)
	v_lshl_add_u64 v[16:17], v[6:7], 2, s[8:9]
	v_subrev_nc_u32_e32 v6, 18, v4
	s_clause 0x1
	global_load_b64 v[18:19], v[14:15], off
	global_load_b64 v[20:21], v[16:17], off
	s_wait_xcnt 0x1
	v_lshl_add_u64 v[14:15], v[6:7], 2, s[8:9]
	global_load_b64 v[14:15], v[14:15], off
	s_wait_loadcnt 0x4
	v_subrev_nc_u32_e32 v5, s16, v5
	s_delay_alu instid0(VALU_DEP_1) | instskip(NEXT) | instid1(VALU_DEP_1)
	v_mul_lo_u32 v11, v5, 13
	v_dual_add_nc_u32 v6, -16, v4 :: v_dual_add_nc_u32 v5, 1, v11
	global_load_b32 v24, v11, s[10:11] scale_offset
	s_wait_xcnt 0x2
	v_lshl_add_u64 v[16:17], v[6:7], 2, s[8:9]
	v_dual_add_nc_u32 v6, -14, v4 :: v_dual_add_nc_u32 v25, 2, v11
	global_load_b32 v26, v5, s[10:11] scale_offset
	s_wait_xcnt 0x0
	v_add_nc_u32_e32 v5, 3, v11
	global_load_b64 v[16:17], v[16:17], off
	v_lshl_add_u64 v[22:23], v[6:7], 2, s[8:9]
	v_add_nc_u32_e32 v6, -12, v4
	s_clause 0x1
	global_load_b32 v30, v25, s[10:11] scale_offset
	global_load_b32 v32, v5, s[10:11] scale_offset
	s_wait_xcnt 0x0
	v_dual_add_nc_u32 v25, 4, v11 :: v_dual_add_nc_u32 v5, 5, v11
	v_lshl_add_u64 v[28:29], v[6:7], 2, s[8:9]
	v_add_nc_u32_e32 v6, -10, v4
	global_load_b64 v[22:23], v[22:23], off
	s_clause 0x1
	global_load_b32 v36, v25, s[10:11] scale_offset
	global_load_b32 v38, v5, s[10:11] scale_offset
	s_wait_xcnt 0x1
	v_add_nc_u32_e32 v25, 6, v11
	v_lshl_add_u64 v[34:35], v[6:7], 2, s[8:9]
	s_wait_xcnt 0x0
	v_dual_add_nc_u32 v6, -8, v4 :: v_dual_add_nc_u32 v5, 7, v11
	global_load_b64 v[28:29], v[28:29], off
	global_load_b32 v42, v25, s[10:11] scale_offset
	global_load_b64 v[34:35], v[34:35], off
	v_lshl_add_u64 v[40:41], v[6:7], 2, s[8:9]
	global_load_b32 v44, v5, s[10:11] scale_offset
	s_wait_xcnt 0x2
	v_dual_add_nc_u32 v6, -6, v4 :: v_dual_add_nc_u32 v25, 8, v11
	s_wait_xcnt 0x0
	v_add_nc_u32_e32 v5, 9, v11
	global_load_b64 v[40:41], v[40:41], off
	v_add_nc_u32_e32 v27, 11, v11
	v_lshl_add_u64 v[46:47], v[6:7], 2, s[8:9]
	v_add_nc_u32_e32 v6, -4, v4
	global_load_b32 v48, v25, s[10:11] scale_offset
	global_load_b64 v[50:51], v[46:47], off
	s_wait_xcnt 0x1
	v_add_nc_u32_e32 v25, 10, v11
	s_wait_xcnt 0x0
	v_lshl_add_u64 v[46:47], v[6:7], 2, s[8:9]
	v_add_nc_u32_e32 v6, -2, v4
	global_load_b32 v52, v5, s[10:11] scale_offset
	global_load_b64 v[46:47], v[46:47], off
	v_lshl_add_u64 v[54:55], v[6:7], 2, s[8:9]
	global_load_b32 v6, v25, s[10:11] scale_offset
	s_wait_xcnt 0x2
	v_mov_b32_e32 v5, v7
	global_load_b64 v[54:55], v[54:55], off
	v_lshl_add_u64 v[56:57], v[4:5], 2, s[8:9]
	v_add_nc_u32_e32 v5, 12, v11
	global_load_b32 v58, v27, s[10:11] scale_offset
	global_load_b64 v[60:61], v[56:57], off
	global_load_b32 v62, v5, s[10:11] scale_offset
	v_add_nc_u32_e32 v4, 0x68, v4
	s_wait_loadcnt 0x15
	v_pk_fma_f32 v[0:1], v[12:13], v[24:25], v[0:1] op_sel_hi:[1,0,1]
	s_wait_loadcnt 0x14
	s_delay_alu instid0(VALU_DEP_1) | instskip(SKIP_1) | instid1(VALU_DEP_1)
	v_pk_fma_f32 v[0:1], v[18:19], v[26:27], v[0:1] op_sel_hi:[1,0,1]
	s_wait_loadcnt 0x12
	v_pk_fma_f32 v[0:1], v[20:21], v[30:31], v[0:1] op_sel_hi:[1,0,1]
	s_wait_loadcnt 0x11
	s_delay_alu instid0(VALU_DEP_1) | instskip(SKIP_1) | instid1(VALU_DEP_1)
	v_pk_fma_f32 v[0:1], v[14:15], v[32:33], v[0:1] op_sel_hi:[1,0,1]
	;; [unrolled: 5-line block ×6, first 2 shown]
	s_wait_loadcnt 0x0
	v_pk_fma_f32 v[0:1], v[60:61], v[62:63], v[0:1] op_sel_hi:[1,0,1]
	s_and_not1_b32 exec_lo, exec_lo, s4
	s_cbranch_execnz .LBB55_9
; %bb.10:
	s_or_b32 exec_lo, exec_lo, s4
.LBB55_11:
	s_delay_alu instid0(SALU_CYCLE_1)
	s_or_b32 exec_lo, exec_lo, s3
	s_cbranch_execz .LBB55_13
	s_branch .LBB55_18
.LBB55_12:
                                        ; implicit-def: $vgpr1
.LBB55_13:
	v_mov_b32_e32 v1, 0
	s_delay_alu instid0(VALU_DEP_1)
	v_mov_b32_e32 v0, v1
	s_and_saveexec_b32 s3, s2
	s_cbranch_execz .LBB55_17
; %bb.14:
	v_mad_u32 v6, v9, 26, 25
	v_mov_b32_e32 v5, 0
	s_mov_b32 s2, 0
	s_delay_alu instid0(VALU_DEP_1)
	v_dual_mov_b32 v0, v5 :: v_dual_mov_b32 v1, v5
.LBB55_15:                              ; =>This Inner Loop Header: Depth=1
	global_load_b32 v7, v9, s[6:7] scale_offset
	v_subrev_nc_u32_e32 v4, 25, v6
	v_dual_add_nc_u32 v12, -12, v6 :: v_dual_add_nc_u32 v14, -11, v6
	v_subrev_nc_u32_e32 v17, 23, v6
	v_dual_add_nc_u32 v20, -10, v6 :: v_dual_add_nc_u32 v24, -9, v6
	s_delay_alu instid0(VALU_DEP_4)
	v_lshl_add_u64 v[10:11], v[4:5], 2, s[8:9]
	v_subrev_nc_u32_e32 v21, 22, v6
	v_subrev_nc_u32_e32 v25, 21, v6
	v_dual_add_nc_u32 v28, -8, v6 :: v_dual_add_nc_u32 v32, -7, v6
	global_load_b64 v[10:11], v[10:11], off
	v_subrev_nc_u32_e32 v29, 20, v6
	v_subrev_nc_u32_e32 v33, 19, v6
	;; [unrolled: 1-line block ×3, first 2 shown]
	s_wait_xcnt 0x1
	v_dual_add_nc_u32 v9, 4, v9 :: v_dual_add_nc_u32 v36, -6, v6
	s_delay_alu instid0(VALU_DEP_1) | instskip(SKIP_3) | instid1(VALU_DEP_1)
	v_cmp_ge_i32_e32 vcc_lo, v9, v8
	s_or_b32 s2, vcc_lo, s2
	s_wait_loadcnt 0x1
	v_subrev_nc_u32_e32 v4, s16, v7
	v_mul_lo_u32 v7, v4, 13
	global_load_b32 v13, v12, s[8:9] scale_offset
	global_load_b32 v4, v7, s[10:11] scale_offset
	s_wait_xcnt 0x1
	v_add_nc_u32_e32 v12, 1, v7
	global_load_b32 v15, v14, s[8:9] scale_offset
	s_wait_xcnt 0x0
	v_add_nc_u32_e32 v14, 2, v7
	global_load_b32 v16, v12, s[10:11] scale_offset
	s_wait_xcnt 0x0
	v_add_nc_u32_e32 v12, -5, v6
	s_clause 0x1
	global_load_b32 v18, v17, s[8:9] scale_offset
	global_load_b32 v19, v20, s[8:9] scale_offset
	s_wait_xcnt 0x1
	v_add_nc_u32_e32 v17, 3, v7
	global_load_b32 v20, v14, s[10:11] scale_offset
	s_clause 0x1
	global_load_b32 v22, v21, s[8:9] scale_offset
	global_load_b32 v23, v24, s[8:9] scale_offset
	s_wait_xcnt 0x1
	v_add_nc_u32_e32 v21, 4, v7
	v_subrev_nc_u32_e32 v14, 17, v6
	global_load_b32 v24, v17, s[10:11] scale_offset
	s_wait_xcnt 0x0
	v_add_nc_u32_e32 v17, -4, v6
	s_clause 0x1
	global_load_b32 v26, v25, s[8:9] scale_offset
	global_load_b32 v27, v28, s[8:9] scale_offset
	s_wait_xcnt 0x1
	v_add_nc_u32_e32 v25, 5, v7
	global_load_b32 v28, v21, s[10:11] scale_offset
	s_wait_xcnt 0x0
	v_add_nc_u32_e32 v21, -16, v6
	s_clause 0x1
	global_load_b32 v30, v29, s[8:9] scale_offset
	global_load_b32 v31, v32, s[8:9] scale_offset
	s_wait_xcnt 0x1
	v_add_nc_u32_e32 v29, 6, v7
	;; [unrolled: 8-line block ×5, first 2 shown]
	global_load_b32 v44, v12, s[10:11] scale_offset
	s_wait_xcnt 0x0
	v_dual_add_nc_u32 v12, -14, v6 :: v_dual_add_nc_u32 v17, 10, v7
	s_clause 0x1
	global_load_b32 v46, v21, s[8:9] scale_offset
	global_load_b32 v47, v25, s[8:9] scale_offset
	;; [unrolled: 1-line block ×3, first 2 shown]
	s_clause 0x1
	global_load_b32 v50, v29, s[8:9] scale_offset
	global_load_b32 v51, v33, s[8:9] scale_offset
	s_wait_xcnt 0x2
	v_dual_add_nc_u32 v14, -1, v6 :: v_dual_add_nc_u32 v21, 11, v7
	global_load_b32 v52, v17, s[10:11] scale_offset
	s_wait_xcnt 0x0
	v_dual_add_nc_u32 v17, -13, v6 :: v_dual_add_nc_u32 v7, 12, v7
	s_clause 0x1
	global_load_b32 v54, v12, s[8:9] scale_offset
	global_load_b32 v55, v14, s[8:9] scale_offset
	;; [unrolled: 1-line block ×3, first 2 shown]
	s_clause 0x1
	global_load_b32 v58, v17, s[8:9] scale_offset
	global_load_b32 v59, v6, s[8:9] scale_offset
	s_wait_loadcnt 0x24
	s_wait_xcnt 0x3
	v_dual_mov_b32 v12, v10 :: v_dual_mov_b32 v14, v11
	global_load_b32 v10, v7, s[10:11] scale_offset
	s_wait_xcnt 0x1
	v_add_nc_u32_e32 v6, 0x68, v6
	s_wait_loadcnt 0x23
	v_pk_fma_f32 v[0:1], v[12:13], v[4:5], v[0:1] op_sel_hi:[1,0,1]
	s_wait_loadcnt 0x21
	s_delay_alu instid0(VALU_DEP_1) | instskip(SKIP_1) | instid1(VALU_DEP_1)
	v_pk_fma_f32 v[0:1], v[14:15], v[16:17], v[0:1] op_sel_hi:[1,0,1]
	s_wait_loadcnt 0x1e
	v_pk_fma_f32 v[0:1], v[18:19], v[20:21], v[0:1] op_sel_hi:[1,0,1]
	s_wait_loadcnt 0x1b
	s_delay_alu instid0(VALU_DEP_1) | instskip(SKIP_1) | instid1(VALU_DEP_1)
	v_pk_fma_f32 v[0:1], v[22:23], v[24:25], v[0:1] op_sel_hi:[1,0,1]
	;; [unrolled: 5-line block ×6, first 2 shown]
	s_wait_loadcnt 0x0
	v_pk_fma_f32 v[0:1], v[58:59], v[10:11], v[0:1] op_sel_hi:[1,0,1]
	s_and_not1_b32 exec_lo, exec_lo, s2
	s_cbranch_execnz .LBB55_15
; %bb.16:
	s_or_b32 exec_lo, exec_lo, s2
.LBB55_17:
	s_delay_alu instid0(SALU_CYCLE_1)
	s_or_b32 exec_lo, exec_lo, s3
.LBB55_18:
	v_mbcnt_lo_u32_b32 v6, -1, 0
	s_mov_b32 s2, -1
	s_delay_alu instid0(VALU_DEP_1) | instskip(SKIP_1) | instid1(VALU_DEP_1)
	v_xor_b32_e32 v7, 1, v6
	v_xor_b32_e32 v4, 2, v6
	v_cmp_gt_i32_e32 vcc_lo, 32, v4
	v_cndmask_b32_e32 v4, v6, v4, vcc_lo
	s_delay_alu instid0(VALU_DEP_4) | instskip(SKIP_2) | instid1(VALU_DEP_2)
	v_cmp_gt_i32_e32 vcc_lo, 32, v7
	v_cndmask_b32_e32 v6, v6, v7, vcc_lo
	v_cmp_eq_u32_e32 vcc_lo, 3, v3
	v_dual_lshlrev_b32 v6, 2, v6 :: v_dual_lshlrev_b32 v5, 2, v4
	ds_bpermute_b32 v4, v5, v0
	ds_bpermute_b32 v5, v5, v1
	s_wait_dscnt 0x0
	v_pk_add_f32 v[0:1], v[0:1], v[4:5]
	ds_bpermute_b32 v4, v6, v0
	ds_bpermute_b32 v5, v6, v1
	s_and_b32 exec_lo, exec_lo, vcc_lo
	s_cbranch_execz .LBB55_23
; %bb.19:
	s_load_b64 s[0:1], s[0:1], 0x38
	s_wait_dscnt 0x0
	v_pk_add_f32 v[0:1], v[0:1], v[4:5]
	v_lshlrev_b32_e32 v2, 1, v2
	s_cmp_eq_f32 s12, 0
	s_cbranch_scc0 .LBB55_21
; %bb.20:
	s_delay_alu instid0(VALU_DEP_1) | instskip(SKIP_3) | instid1(VALU_DEP_2)
	v_ashrrev_i32_e32 v3, 31, v2
	v_pk_mul_f32 v[6:7], s[14:15], v[0:1] op_sel_hi:[0,1]
	s_mov_b32 s2, 0
	s_wait_kmcnt 0x0
	v_lshl_add_u64 v[4:5], v[2:3], 2, s[0:1]
	global_store_b64 v[4:5], v[6:7], off
.LBB55_21:
	s_and_not1_b32 vcc_lo, exec_lo, s2
	s_cbranch_vccnz .LBB55_23
; %bb.22:
	v_ashrrev_i32_e32 v3, 31, v2
	v_pk_mul_f32 v[0:1], s[14:15], v[0:1] op_sel_hi:[0,1]
	s_wait_kmcnt 0x0
	s_delay_alu instid0(VALU_DEP_2)
	v_lshl_add_u64 v[2:3], v[2:3], 2, s[0:1]
	global_load_b64 v[4:5], v[2:3], off
	s_wait_loadcnt 0x0
	v_pk_fma_f32 v[0:1], s[12:13], v[4:5], v[0:1] op_sel_hi:[0,1,1]
	global_store_b64 v[2:3], v[0:1], off
.LBB55_23:
	s_endpgm
	.section	.rodata,"a",@progbits
	.p2align	6, 0x0
	.amdhsa_kernel _ZN9rocsparseL19gebsrmvn_2xn_kernelILj128ELj13ELj4EfEEvi20rocsparse_direction_NS_24const_host_device_scalarIT2_EEPKiS6_PKS3_S8_S4_PS3_21rocsparse_index_base_b
		.amdhsa_group_segment_fixed_size 0
		.amdhsa_private_segment_fixed_size 0
		.amdhsa_kernarg_size 72
		.amdhsa_user_sgpr_count 2
		.amdhsa_user_sgpr_dispatch_ptr 0
		.amdhsa_user_sgpr_queue_ptr 0
		.amdhsa_user_sgpr_kernarg_segment_ptr 1
		.amdhsa_user_sgpr_dispatch_id 0
		.amdhsa_user_sgpr_kernarg_preload_length 0
		.amdhsa_user_sgpr_kernarg_preload_offset 0
		.amdhsa_user_sgpr_private_segment_size 0
		.amdhsa_wavefront_size32 1
		.amdhsa_uses_dynamic_stack 0
		.amdhsa_enable_private_segment 0
		.amdhsa_system_sgpr_workgroup_id_x 1
		.amdhsa_system_sgpr_workgroup_id_y 0
		.amdhsa_system_sgpr_workgroup_id_z 0
		.amdhsa_system_sgpr_workgroup_info 0
		.amdhsa_system_vgpr_workitem_id 0
		.amdhsa_next_free_vgpr 64
		.amdhsa_next_free_sgpr 18
		.amdhsa_named_barrier_count 0
		.amdhsa_reserve_vcc 1
		.amdhsa_float_round_mode_32 0
		.amdhsa_float_round_mode_16_64 0
		.amdhsa_float_denorm_mode_32 3
		.amdhsa_float_denorm_mode_16_64 3
		.amdhsa_fp16_overflow 0
		.amdhsa_memory_ordered 1
		.amdhsa_forward_progress 1
		.amdhsa_inst_pref_size 20
		.amdhsa_round_robin_scheduling 0
		.amdhsa_exception_fp_ieee_invalid_op 0
		.amdhsa_exception_fp_denorm_src 0
		.amdhsa_exception_fp_ieee_div_zero 0
		.amdhsa_exception_fp_ieee_overflow 0
		.amdhsa_exception_fp_ieee_underflow 0
		.amdhsa_exception_fp_ieee_inexact 0
		.amdhsa_exception_int_div_zero 0
	.end_amdhsa_kernel
	.section	.text._ZN9rocsparseL19gebsrmvn_2xn_kernelILj128ELj13ELj4EfEEvi20rocsparse_direction_NS_24const_host_device_scalarIT2_EEPKiS6_PKS3_S8_S4_PS3_21rocsparse_index_base_b,"axG",@progbits,_ZN9rocsparseL19gebsrmvn_2xn_kernelILj128ELj13ELj4EfEEvi20rocsparse_direction_NS_24const_host_device_scalarIT2_EEPKiS6_PKS3_S8_S4_PS3_21rocsparse_index_base_b,comdat
.Lfunc_end55:
	.size	_ZN9rocsparseL19gebsrmvn_2xn_kernelILj128ELj13ELj4EfEEvi20rocsparse_direction_NS_24const_host_device_scalarIT2_EEPKiS6_PKS3_S8_S4_PS3_21rocsparse_index_base_b, .Lfunc_end55-_ZN9rocsparseL19gebsrmvn_2xn_kernelILj128ELj13ELj4EfEEvi20rocsparse_direction_NS_24const_host_device_scalarIT2_EEPKiS6_PKS3_S8_S4_PS3_21rocsparse_index_base_b
                                        ; -- End function
	.set _ZN9rocsparseL19gebsrmvn_2xn_kernelILj128ELj13ELj4EfEEvi20rocsparse_direction_NS_24const_host_device_scalarIT2_EEPKiS6_PKS3_S8_S4_PS3_21rocsparse_index_base_b.num_vgpr, 64
	.set _ZN9rocsparseL19gebsrmvn_2xn_kernelILj128ELj13ELj4EfEEvi20rocsparse_direction_NS_24const_host_device_scalarIT2_EEPKiS6_PKS3_S8_S4_PS3_21rocsparse_index_base_b.num_agpr, 0
	.set _ZN9rocsparseL19gebsrmvn_2xn_kernelILj128ELj13ELj4EfEEvi20rocsparse_direction_NS_24const_host_device_scalarIT2_EEPKiS6_PKS3_S8_S4_PS3_21rocsparse_index_base_b.numbered_sgpr, 18
	.set _ZN9rocsparseL19gebsrmvn_2xn_kernelILj128ELj13ELj4EfEEvi20rocsparse_direction_NS_24const_host_device_scalarIT2_EEPKiS6_PKS3_S8_S4_PS3_21rocsparse_index_base_b.num_named_barrier, 0
	.set _ZN9rocsparseL19gebsrmvn_2xn_kernelILj128ELj13ELj4EfEEvi20rocsparse_direction_NS_24const_host_device_scalarIT2_EEPKiS6_PKS3_S8_S4_PS3_21rocsparse_index_base_b.private_seg_size, 0
	.set _ZN9rocsparseL19gebsrmvn_2xn_kernelILj128ELj13ELj4EfEEvi20rocsparse_direction_NS_24const_host_device_scalarIT2_EEPKiS6_PKS3_S8_S4_PS3_21rocsparse_index_base_b.uses_vcc, 1
	.set _ZN9rocsparseL19gebsrmvn_2xn_kernelILj128ELj13ELj4EfEEvi20rocsparse_direction_NS_24const_host_device_scalarIT2_EEPKiS6_PKS3_S8_S4_PS3_21rocsparse_index_base_b.uses_flat_scratch, 0
	.set _ZN9rocsparseL19gebsrmvn_2xn_kernelILj128ELj13ELj4EfEEvi20rocsparse_direction_NS_24const_host_device_scalarIT2_EEPKiS6_PKS3_S8_S4_PS3_21rocsparse_index_base_b.has_dyn_sized_stack, 0
	.set _ZN9rocsparseL19gebsrmvn_2xn_kernelILj128ELj13ELj4EfEEvi20rocsparse_direction_NS_24const_host_device_scalarIT2_EEPKiS6_PKS3_S8_S4_PS3_21rocsparse_index_base_b.has_recursion, 0
	.set _ZN9rocsparseL19gebsrmvn_2xn_kernelILj128ELj13ELj4EfEEvi20rocsparse_direction_NS_24const_host_device_scalarIT2_EEPKiS6_PKS3_S8_S4_PS3_21rocsparse_index_base_b.has_indirect_call, 0
	.section	.AMDGPU.csdata,"",@progbits
; Kernel info:
; codeLenInByte = 2540
; TotalNumSgprs: 20
; NumVgprs: 64
; ScratchSize: 0
; MemoryBound: 0
; FloatMode: 240
; IeeeMode: 1
; LDSByteSize: 0 bytes/workgroup (compile time only)
; SGPRBlocks: 0
; VGPRBlocks: 3
; NumSGPRsForWavesPerEU: 20
; NumVGPRsForWavesPerEU: 64
; NamedBarCnt: 0
; Occupancy: 16
; WaveLimiterHint : 1
; COMPUTE_PGM_RSRC2:SCRATCH_EN: 0
; COMPUTE_PGM_RSRC2:USER_SGPR: 2
; COMPUTE_PGM_RSRC2:TRAP_HANDLER: 0
; COMPUTE_PGM_RSRC2:TGID_X_EN: 1
; COMPUTE_PGM_RSRC2:TGID_Y_EN: 0
; COMPUTE_PGM_RSRC2:TGID_Z_EN: 0
; COMPUTE_PGM_RSRC2:TIDIG_COMP_CNT: 0
	.section	.text._ZN9rocsparseL19gebsrmvn_2xn_kernelILj128ELj13ELj8EfEEvi20rocsparse_direction_NS_24const_host_device_scalarIT2_EEPKiS6_PKS3_S8_S4_PS3_21rocsparse_index_base_b,"axG",@progbits,_ZN9rocsparseL19gebsrmvn_2xn_kernelILj128ELj13ELj8EfEEvi20rocsparse_direction_NS_24const_host_device_scalarIT2_EEPKiS6_PKS3_S8_S4_PS3_21rocsparse_index_base_b,comdat
	.globl	_ZN9rocsparseL19gebsrmvn_2xn_kernelILj128ELj13ELj8EfEEvi20rocsparse_direction_NS_24const_host_device_scalarIT2_EEPKiS6_PKS3_S8_S4_PS3_21rocsparse_index_base_b ; -- Begin function _ZN9rocsparseL19gebsrmvn_2xn_kernelILj128ELj13ELj8EfEEvi20rocsparse_direction_NS_24const_host_device_scalarIT2_EEPKiS6_PKS3_S8_S4_PS3_21rocsparse_index_base_b
	.p2align	8
	.type	_ZN9rocsparseL19gebsrmvn_2xn_kernelILj128ELj13ELj8EfEEvi20rocsparse_direction_NS_24const_host_device_scalarIT2_EEPKiS6_PKS3_S8_S4_PS3_21rocsparse_index_base_b,@function
_ZN9rocsparseL19gebsrmvn_2xn_kernelILj128ELj13ELj8EfEEvi20rocsparse_direction_NS_24const_host_device_scalarIT2_EEPKiS6_PKS3_S8_S4_PS3_21rocsparse_index_base_b: ; @_ZN9rocsparseL19gebsrmvn_2xn_kernelILj128ELj13ELj8EfEEvi20rocsparse_direction_NS_24const_host_device_scalarIT2_EEPKiS6_PKS3_S8_S4_PS3_21rocsparse_index_base_b
; %bb.0:
	s_clause 0x2
	s_load_b64 s[16:17], s[0:1], 0x40
	s_load_b64 s[14:15], s[0:1], 0x8
	;; [unrolled: 1-line block ×3, first 2 shown]
	s_wait_kmcnt 0x0
	s_bitcmp1_b32 s17, 0
	s_cselect_b32 s2, -1, 0
	s_delay_alu instid0(SALU_CYCLE_1)
	s_and_b32 vcc_lo, exec_lo, s2
	s_xor_b32 s2, s2, -1
	s_cbranch_vccnz .LBB56_2
; %bb.1:
	s_load_b32 s14, s[14:15], 0x0
.LBB56_2:
	s_and_not1_b32 vcc_lo, exec_lo, s2
	s_cbranch_vccnz .LBB56_4
; %bb.3:
	s_load_b32 s12, s[12:13], 0x0
.LBB56_4:
	s_wait_kmcnt 0x0
	s_cmp_eq_f32 s14, 0
	s_cselect_b32 s2, -1, 0
	s_cmp_eq_f32 s12, 1.0
	s_cselect_b32 s3, -1, 0
	s_delay_alu instid0(SALU_CYCLE_1) | instskip(NEXT) | instid1(SALU_CYCLE_1)
	s_and_b32 s2, s2, s3
	s_and_b32 vcc_lo, exec_lo, s2
	s_cbranch_vccnz .LBB56_23
; %bb.5:
	s_load_b64 s[2:3], s[0:1], 0x0
	s_bfe_u32 s4, ttmp6, 0x4000c
	s_and_b32 s5, ttmp6, 15
	s_add_co_i32 s4, s4, 1
	s_getreg_b32 s6, hwreg(HW_REG_IB_STS2, 6, 4)
	s_mul_i32 s4, ttmp9, s4
	v_lshrrev_b32_e32 v1, 3, v0
	s_add_co_i32 s5, s5, s4
	s_cmp_eq_u32 s6, 0
	s_cselect_b32 s4, ttmp9, s5
	s_delay_alu instid0(VALU_DEP_1) | instid1(SALU_CYCLE_1)
	v_lshl_or_b32 v2, s4, 4, v1
	s_wait_kmcnt 0x0
	s_delay_alu instid0(VALU_DEP_1)
	v_cmp_gt_i32_e32 vcc_lo, s2, v2
	s_and_saveexec_b32 s2, vcc_lo
	s_cbranch_execz .LBB56_23
; %bb.6:
	s_load_b256 s[4:11], s[0:1], 0x10
	v_ashrrev_i32_e32 v3, 31, v2
	s_cmp_lg_u32 s3, 0
	s_wait_kmcnt 0x0
	s_delay_alu instid0(VALU_DEP_1)
	v_lshl_add_u64 v[4:5], v[2:3], 2, s[4:5]
	v_and_b32_e32 v3, 7, v0
	global_load_b64 v[4:5], v[4:5], off
	s_wait_loadcnt 0x0
	v_subrev_nc_u32_e32 v0, s16, v4
	v_subrev_nc_u32_e32 v8, s16, v5
	s_delay_alu instid0(VALU_DEP_2) | instskip(NEXT) | instid1(VALU_DEP_1)
	v_add_nc_u32_e32 v9, v0, v3
	v_cmp_lt_i32_e64 s2, v9, v8
	s_cbranch_scc0 .LBB56_12
; %bb.7:
	v_mov_b32_e32 v1, 0
	s_delay_alu instid0(VALU_DEP_1)
	v_mov_b32_e32 v0, v1
	s_and_saveexec_b32 s3, s2
	s_cbranch_execz .LBB56_11
; %bb.8:
	v_mad_u32 v4, v9, 26, 24
	v_dual_mov_b32 v7, 0 :: v_dual_mov_b32 v10, v9
	s_mov_b32 s4, 0
	s_delay_alu instid0(VALU_DEP_1)
	v_dual_mov_b32 v0, v7 :: v_dual_mov_b32 v1, v7
.LBB56_9:                               ; =>This Inner Loop Header: Depth=1
	global_load_b32 v5, v10, s[6:7] scale_offset
	v_subrev_nc_u32_e32 v6, 24, v4
	s_wait_xcnt 0x0
	v_add_nc_u32_e32 v10, 8, v10
	s_delay_alu instid0(VALU_DEP_2) | instskip(SKIP_1) | instid1(VALU_DEP_3)
	v_lshl_add_u64 v[12:13], v[6:7], 2, s[8:9]
	v_subrev_nc_u32_e32 v6, 22, v4
	v_cmp_ge_i32_e32 vcc_lo, v10, v8
	global_load_b64 v[12:13], v[12:13], off
	v_lshl_add_u64 v[14:15], v[6:7], 2, s[8:9]
	v_subrev_nc_u32_e32 v6, 20, v4
	s_or_b32 s4, vcc_lo, s4
	s_delay_alu instid0(VALU_DEP_1)
	v_lshl_add_u64 v[16:17], v[6:7], 2, s[8:9]
	v_subrev_nc_u32_e32 v6, 18, v4
	s_clause 0x1
	global_load_b64 v[18:19], v[14:15], off
	global_load_b64 v[20:21], v[16:17], off
	s_wait_xcnt 0x1
	v_lshl_add_u64 v[14:15], v[6:7], 2, s[8:9]
	global_load_b64 v[14:15], v[14:15], off
	s_wait_loadcnt 0x4
	v_subrev_nc_u32_e32 v5, s16, v5
	s_delay_alu instid0(VALU_DEP_1) | instskip(NEXT) | instid1(VALU_DEP_1)
	v_mul_lo_u32 v11, v5, 13
	v_dual_add_nc_u32 v6, -16, v4 :: v_dual_add_nc_u32 v5, 1, v11
	global_load_b32 v24, v11, s[10:11] scale_offset
	s_wait_xcnt 0x2
	v_lshl_add_u64 v[16:17], v[6:7], 2, s[8:9]
	v_dual_add_nc_u32 v6, -14, v4 :: v_dual_add_nc_u32 v25, 2, v11
	global_load_b32 v26, v5, s[10:11] scale_offset
	s_wait_xcnt 0x0
	v_add_nc_u32_e32 v5, 3, v11
	global_load_b64 v[16:17], v[16:17], off
	v_lshl_add_u64 v[22:23], v[6:7], 2, s[8:9]
	v_add_nc_u32_e32 v6, -12, v4
	s_clause 0x1
	global_load_b32 v30, v25, s[10:11] scale_offset
	global_load_b32 v32, v5, s[10:11] scale_offset
	s_wait_xcnt 0x0
	v_dual_add_nc_u32 v25, 4, v11 :: v_dual_add_nc_u32 v5, 5, v11
	v_lshl_add_u64 v[28:29], v[6:7], 2, s[8:9]
	v_add_nc_u32_e32 v6, -10, v4
	global_load_b64 v[22:23], v[22:23], off
	s_clause 0x1
	global_load_b32 v36, v25, s[10:11] scale_offset
	global_load_b32 v38, v5, s[10:11] scale_offset
	s_wait_xcnt 0x1
	v_add_nc_u32_e32 v25, 6, v11
	v_lshl_add_u64 v[34:35], v[6:7], 2, s[8:9]
	s_wait_xcnt 0x0
	v_dual_add_nc_u32 v6, -8, v4 :: v_dual_add_nc_u32 v5, 7, v11
	global_load_b64 v[28:29], v[28:29], off
	global_load_b32 v42, v25, s[10:11] scale_offset
	global_load_b64 v[34:35], v[34:35], off
	v_lshl_add_u64 v[40:41], v[6:7], 2, s[8:9]
	global_load_b32 v44, v5, s[10:11] scale_offset
	s_wait_xcnt 0x2
	v_dual_add_nc_u32 v6, -6, v4 :: v_dual_add_nc_u32 v25, 8, v11
	s_wait_xcnt 0x0
	v_add_nc_u32_e32 v5, 9, v11
	global_load_b64 v[40:41], v[40:41], off
	v_add_nc_u32_e32 v27, 11, v11
	v_lshl_add_u64 v[46:47], v[6:7], 2, s[8:9]
	v_add_nc_u32_e32 v6, -4, v4
	global_load_b32 v48, v25, s[10:11] scale_offset
	global_load_b64 v[50:51], v[46:47], off
	s_wait_xcnt 0x1
	v_add_nc_u32_e32 v25, 10, v11
	s_wait_xcnt 0x0
	v_lshl_add_u64 v[46:47], v[6:7], 2, s[8:9]
	v_add_nc_u32_e32 v6, -2, v4
	global_load_b32 v52, v5, s[10:11] scale_offset
	global_load_b64 v[46:47], v[46:47], off
	v_lshl_add_u64 v[54:55], v[6:7], 2, s[8:9]
	global_load_b32 v6, v25, s[10:11] scale_offset
	s_wait_xcnt 0x2
	v_mov_b32_e32 v5, v7
	global_load_b64 v[54:55], v[54:55], off
	v_lshl_add_u64 v[56:57], v[4:5], 2, s[8:9]
	v_add_nc_u32_e32 v5, 12, v11
	global_load_b32 v58, v27, s[10:11] scale_offset
	global_load_b64 v[60:61], v[56:57], off
	global_load_b32 v62, v5, s[10:11] scale_offset
	v_add_nc_u32_e32 v4, 0xd0, v4
	s_wait_loadcnt 0x15
	v_pk_fma_f32 v[0:1], v[12:13], v[24:25], v[0:1] op_sel_hi:[1,0,1]
	s_wait_loadcnt 0x14
	s_delay_alu instid0(VALU_DEP_1) | instskip(SKIP_1) | instid1(VALU_DEP_1)
	v_pk_fma_f32 v[0:1], v[18:19], v[26:27], v[0:1] op_sel_hi:[1,0,1]
	s_wait_loadcnt 0x12
	v_pk_fma_f32 v[0:1], v[20:21], v[30:31], v[0:1] op_sel_hi:[1,0,1]
	s_wait_loadcnt 0x11
	s_delay_alu instid0(VALU_DEP_1) | instskip(SKIP_1) | instid1(VALU_DEP_1)
	v_pk_fma_f32 v[0:1], v[14:15], v[32:33], v[0:1] op_sel_hi:[1,0,1]
	;; [unrolled: 5-line block ×6, first 2 shown]
	s_wait_loadcnt 0x0
	v_pk_fma_f32 v[0:1], v[60:61], v[62:63], v[0:1] op_sel_hi:[1,0,1]
	s_and_not1_b32 exec_lo, exec_lo, s4
	s_cbranch_execnz .LBB56_9
; %bb.10:
	s_or_b32 exec_lo, exec_lo, s4
.LBB56_11:
	s_delay_alu instid0(SALU_CYCLE_1)
	s_or_b32 exec_lo, exec_lo, s3
	s_cbranch_execz .LBB56_13
	s_branch .LBB56_18
.LBB56_12:
                                        ; implicit-def: $vgpr1
.LBB56_13:
	v_mov_b32_e32 v1, 0
	s_delay_alu instid0(VALU_DEP_1)
	v_mov_b32_e32 v0, v1
	s_and_saveexec_b32 s3, s2
	s_cbranch_execz .LBB56_17
; %bb.14:
	v_mad_u32 v6, v9, 26, 25
	v_mov_b32_e32 v5, 0
	s_mov_b32 s2, 0
	s_delay_alu instid0(VALU_DEP_1)
	v_dual_mov_b32 v0, v5 :: v_dual_mov_b32 v1, v5
.LBB56_15:                              ; =>This Inner Loop Header: Depth=1
	global_load_b32 v7, v9, s[6:7] scale_offset
	v_subrev_nc_u32_e32 v4, 25, v6
	v_dual_add_nc_u32 v12, -12, v6 :: v_dual_add_nc_u32 v14, -11, v6
	v_subrev_nc_u32_e32 v17, 23, v6
	v_dual_add_nc_u32 v20, -10, v6 :: v_dual_add_nc_u32 v24, -9, v6
	s_delay_alu instid0(VALU_DEP_4)
	v_lshl_add_u64 v[10:11], v[4:5], 2, s[8:9]
	v_subrev_nc_u32_e32 v21, 22, v6
	v_subrev_nc_u32_e32 v25, 21, v6
	v_dual_add_nc_u32 v28, -8, v6 :: v_dual_add_nc_u32 v32, -7, v6
	global_load_b64 v[10:11], v[10:11], off
	v_subrev_nc_u32_e32 v29, 20, v6
	v_subrev_nc_u32_e32 v33, 19, v6
	v_subrev_nc_u32_e32 v37, 18, v6
	s_wait_xcnt 0x1
	v_dual_add_nc_u32 v9, 8, v9 :: v_dual_add_nc_u32 v36, -6, v6
	s_delay_alu instid0(VALU_DEP_1) | instskip(SKIP_3) | instid1(VALU_DEP_1)
	v_cmp_ge_i32_e32 vcc_lo, v9, v8
	s_or_b32 s2, vcc_lo, s2
	s_wait_loadcnt 0x1
	v_subrev_nc_u32_e32 v4, s16, v7
	v_mul_lo_u32 v7, v4, 13
	global_load_b32 v13, v12, s[8:9] scale_offset
	global_load_b32 v4, v7, s[10:11] scale_offset
	s_wait_xcnt 0x1
	v_add_nc_u32_e32 v12, 1, v7
	global_load_b32 v15, v14, s[8:9] scale_offset
	s_wait_xcnt 0x0
	v_add_nc_u32_e32 v14, 2, v7
	global_load_b32 v16, v12, s[10:11] scale_offset
	s_wait_xcnt 0x0
	v_add_nc_u32_e32 v12, -5, v6
	s_clause 0x1
	global_load_b32 v18, v17, s[8:9] scale_offset
	global_load_b32 v19, v20, s[8:9] scale_offset
	s_wait_xcnt 0x1
	v_add_nc_u32_e32 v17, 3, v7
	global_load_b32 v20, v14, s[10:11] scale_offset
	s_clause 0x1
	global_load_b32 v22, v21, s[8:9] scale_offset
	global_load_b32 v23, v24, s[8:9] scale_offset
	s_wait_xcnt 0x1
	v_add_nc_u32_e32 v21, 4, v7
	v_subrev_nc_u32_e32 v14, 17, v6
	global_load_b32 v24, v17, s[10:11] scale_offset
	s_wait_xcnt 0x0
	v_add_nc_u32_e32 v17, -4, v6
	s_clause 0x1
	global_load_b32 v26, v25, s[8:9] scale_offset
	global_load_b32 v27, v28, s[8:9] scale_offset
	s_wait_xcnt 0x1
	v_add_nc_u32_e32 v25, 5, v7
	global_load_b32 v28, v21, s[10:11] scale_offset
	s_wait_xcnt 0x0
	v_add_nc_u32_e32 v21, -16, v6
	s_clause 0x1
	global_load_b32 v30, v29, s[8:9] scale_offset
	global_load_b32 v31, v32, s[8:9] scale_offset
	s_wait_xcnt 0x1
	v_add_nc_u32_e32 v29, 6, v7
	;; [unrolled: 8-line block ×5, first 2 shown]
	global_load_b32 v44, v12, s[10:11] scale_offset
	s_wait_xcnt 0x0
	v_dual_add_nc_u32 v12, -14, v6 :: v_dual_add_nc_u32 v17, 10, v7
	s_clause 0x1
	global_load_b32 v46, v21, s[8:9] scale_offset
	global_load_b32 v47, v25, s[8:9] scale_offset
	;; [unrolled: 1-line block ×3, first 2 shown]
	s_clause 0x1
	global_load_b32 v50, v29, s[8:9] scale_offset
	global_load_b32 v51, v33, s[8:9] scale_offset
	s_wait_xcnt 0x2
	v_dual_add_nc_u32 v14, -1, v6 :: v_dual_add_nc_u32 v21, 11, v7
	global_load_b32 v52, v17, s[10:11] scale_offset
	s_wait_xcnt 0x0
	v_dual_add_nc_u32 v17, -13, v6 :: v_dual_add_nc_u32 v7, 12, v7
	s_clause 0x1
	global_load_b32 v54, v12, s[8:9] scale_offset
	global_load_b32 v55, v14, s[8:9] scale_offset
	;; [unrolled: 1-line block ×3, first 2 shown]
	s_clause 0x1
	global_load_b32 v58, v17, s[8:9] scale_offset
	global_load_b32 v59, v6, s[8:9] scale_offset
	s_wait_loadcnt 0x24
	s_wait_xcnt 0x3
	v_dual_mov_b32 v12, v10 :: v_dual_mov_b32 v14, v11
	global_load_b32 v10, v7, s[10:11] scale_offset
	s_wait_xcnt 0x1
	v_add_nc_u32_e32 v6, 0xd0, v6
	s_wait_loadcnt 0x23
	v_pk_fma_f32 v[0:1], v[12:13], v[4:5], v[0:1] op_sel_hi:[1,0,1]
	s_wait_loadcnt 0x21
	s_delay_alu instid0(VALU_DEP_1) | instskip(SKIP_1) | instid1(VALU_DEP_1)
	v_pk_fma_f32 v[0:1], v[14:15], v[16:17], v[0:1] op_sel_hi:[1,0,1]
	s_wait_loadcnt 0x1e
	v_pk_fma_f32 v[0:1], v[18:19], v[20:21], v[0:1] op_sel_hi:[1,0,1]
	s_wait_loadcnt 0x1b
	s_delay_alu instid0(VALU_DEP_1) | instskip(SKIP_1) | instid1(VALU_DEP_1)
	v_pk_fma_f32 v[0:1], v[22:23], v[24:25], v[0:1] op_sel_hi:[1,0,1]
	;; [unrolled: 5-line block ×6, first 2 shown]
	s_wait_loadcnt 0x0
	v_pk_fma_f32 v[0:1], v[58:59], v[10:11], v[0:1] op_sel_hi:[1,0,1]
	s_and_not1_b32 exec_lo, exec_lo, s2
	s_cbranch_execnz .LBB56_15
; %bb.16:
	s_or_b32 exec_lo, exec_lo, s2
.LBB56_17:
	s_delay_alu instid0(SALU_CYCLE_1)
	s_or_b32 exec_lo, exec_lo, s3
.LBB56_18:
	v_mbcnt_lo_u32_b32 v6, -1, 0
	s_mov_b32 s2, -1
	s_delay_alu instid0(VALU_DEP_1) | instskip(SKIP_1) | instid1(VALU_DEP_1)
	v_xor_b32_e32 v7, 2, v6
	v_xor_b32_e32 v4, 4, v6
	v_cmp_gt_i32_e32 vcc_lo, 32, v4
	v_cndmask_b32_e32 v4, v6, v4, vcc_lo
	s_delay_alu instid0(VALU_DEP_4) | instskip(SKIP_1) | instid1(VALU_DEP_1)
	v_cmp_gt_i32_e32 vcc_lo, 32, v7
	v_cndmask_b32_e32 v7, v6, v7, vcc_lo
	v_dual_lshlrev_b32 v7, 2, v7 :: v_dual_lshlrev_b32 v5, 2, v4
	ds_bpermute_b32 v4, v5, v0
	ds_bpermute_b32 v5, v5, v1
	s_wait_dscnt 0x0
	v_pk_add_f32 v[0:1], v[0:1], v[4:5]
	ds_bpermute_b32 v4, v7, v0
	ds_bpermute_b32 v5, v7, v1
	v_xor_b32_e32 v7, 1, v6
	s_delay_alu instid0(VALU_DEP_1) | instskip(SKIP_2) | instid1(VALU_DEP_2)
	v_cmp_gt_i32_e32 vcc_lo, 32, v7
	v_cndmask_b32_e32 v6, v6, v7, vcc_lo
	v_cmp_eq_u32_e32 vcc_lo, 7, v3
	v_lshlrev_b32_e32 v6, 2, v6
	s_wait_dscnt 0x0
	v_pk_add_f32 v[0:1], v[0:1], v[4:5]
	ds_bpermute_b32 v4, v6, v0
	ds_bpermute_b32 v5, v6, v1
	s_and_b32 exec_lo, exec_lo, vcc_lo
	s_cbranch_execz .LBB56_23
; %bb.19:
	s_load_b64 s[0:1], s[0:1], 0x38
	s_wait_dscnt 0x0
	v_pk_add_f32 v[0:1], v[0:1], v[4:5]
	v_lshlrev_b32_e32 v2, 1, v2
	s_cmp_eq_f32 s12, 0
	s_cbranch_scc0 .LBB56_21
; %bb.20:
	s_delay_alu instid0(VALU_DEP_1) | instskip(SKIP_3) | instid1(VALU_DEP_2)
	v_ashrrev_i32_e32 v3, 31, v2
	v_pk_mul_f32 v[6:7], s[14:15], v[0:1] op_sel_hi:[0,1]
	s_mov_b32 s2, 0
	s_wait_kmcnt 0x0
	v_lshl_add_u64 v[4:5], v[2:3], 2, s[0:1]
	global_store_b64 v[4:5], v[6:7], off
.LBB56_21:
	s_and_not1_b32 vcc_lo, exec_lo, s2
	s_cbranch_vccnz .LBB56_23
; %bb.22:
	v_ashrrev_i32_e32 v3, 31, v2
	v_pk_mul_f32 v[0:1], s[14:15], v[0:1] op_sel_hi:[0,1]
	s_wait_kmcnt 0x0
	s_delay_alu instid0(VALU_DEP_2)
	v_lshl_add_u64 v[2:3], v[2:3], 2, s[0:1]
	global_load_b64 v[4:5], v[2:3], off
	s_wait_loadcnt 0x0
	v_pk_fma_f32 v[0:1], s[12:13], v[4:5], v[0:1] op_sel_hi:[0,1,1]
	global_store_b64 v[2:3], v[0:1], off
.LBB56_23:
	s_endpgm
	.section	.rodata,"a",@progbits
	.p2align	6, 0x0
	.amdhsa_kernel _ZN9rocsparseL19gebsrmvn_2xn_kernelILj128ELj13ELj8EfEEvi20rocsparse_direction_NS_24const_host_device_scalarIT2_EEPKiS6_PKS3_S8_S4_PS3_21rocsparse_index_base_b
		.amdhsa_group_segment_fixed_size 0
		.amdhsa_private_segment_fixed_size 0
		.amdhsa_kernarg_size 72
		.amdhsa_user_sgpr_count 2
		.amdhsa_user_sgpr_dispatch_ptr 0
		.amdhsa_user_sgpr_queue_ptr 0
		.amdhsa_user_sgpr_kernarg_segment_ptr 1
		.amdhsa_user_sgpr_dispatch_id 0
		.amdhsa_user_sgpr_kernarg_preload_length 0
		.amdhsa_user_sgpr_kernarg_preload_offset 0
		.amdhsa_user_sgpr_private_segment_size 0
		.amdhsa_wavefront_size32 1
		.amdhsa_uses_dynamic_stack 0
		.amdhsa_enable_private_segment 0
		.amdhsa_system_sgpr_workgroup_id_x 1
		.amdhsa_system_sgpr_workgroup_id_y 0
		.amdhsa_system_sgpr_workgroup_id_z 0
		.amdhsa_system_sgpr_workgroup_info 0
		.amdhsa_system_vgpr_workitem_id 0
		.amdhsa_next_free_vgpr 64
		.amdhsa_next_free_sgpr 18
		.amdhsa_named_barrier_count 0
		.amdhsa_reserve_vcc 1
		.amdhsa_float_round_mode_32 0
		.amdhsa_float_round_mode_16_64 0
		.amdhsa_float_denorm_mode_32 3
		.amdhsa_float_denorm_mode_16_64 3
		.amdhsa_fp16_overflow 0
		.amdhsa_memory_ordered 1
		.amdhsa_forward_progress 1
		.amdhsa_inst_pref_size 21
		.amdhsa_round_robin_scheduling 0
		.amdhsa_exception_fp_ieee_invalid_op 0
		.amdhsa_exception_fp_denorm_src 0
		.amdhsa_exception_fp_ieee_div_zero 0
		.amdhsa_exception_fp_ieee_overflow 0
		.amdhsa_exception_fp_ieee_underflow 0
		.amdhsa_exception_fp_ieee_inexact 0
		.amdhsa_exception_int_div_zero 0
	.end_amdhsa_kernel
	.section	.text._ZN9rocsparseL19gebsrmvn_2xn_kernelILj128ELj13ELj8EfEEvi20rocsparse_direction_NS_24const_host_device_scalarIT2_EEPKiS6_PKS3_S8_S4_PS3_21rocsparse_index_base_b,"axG",@progbits,_ZN9rocsparseL19gebsrmvn_2xn_kernelILj128ELj13ELj8EfEEvi20rocsparse_direction_NS_24const_host_device_scalarIT2_EEPKiS6_PKS3_S8_S4_PS3_21rocsparse_index_base_b,comdat
.Lfunc_end56:
	.size	_ZN9rocsparseL19gebsrmvn_2xn_kernelILj128ELj13ELj8EfEEvi20rocsparse_direction_NS_24const_host_device_scalarIT2_EEPKiS6_PKS3_S8_S4_PS3_21rocsparse_index_base_b, .Lfunc_end56-_ZN9rocsparseL19gebsrmvn_2xn_kernelILj128ELj13ELj8EfEEvi20rocsparse_direction_NS_24const_host_device_scalarIT2_EEPKiS6_PKS3_S8_S4_PS3_21rocsparse_index_base_b
                                        ; -- End function
	.set _ZN9rocsparseL19gebsrmvn_2xn_kernelILj128ELj13ELj8EfEEvi20rocsparse_direction_NS_24const_host_device_scalarIT2_EEPKiS6_PKS3_S8_S4_PS3_21rocsparse_index_base_b.num_vgpr, 64
	.set _ZN9rocsparseL19gebsrmvn_2xn_kernelILj128ELj13ELj8EfEEvi20rocsparse_direction_NS_24const_host_device_scalarIT2_EEPKiS6_PKS3_S8_S4_PS3_21rocsparse_index_base_b.num_agpr, 0
	.set _ZN9rocsparseL19gebsrmvn_2xn_kernelILj128ELj13ELj8EfEEvi20rocsparse_direction_NS_24const_host_device_scalarIT2_EEPKiS6_PKS3_S8_S4_PS3_21rocsparse_index_base_b.numbered_sgpr, 18
	.set _ZN9rocsparseL19gebsrmvn_2xn_kernelILj128ELj13ELj8EfEEvi20rocsparse_direction_NS_24const_host_device_scalarIT2_EEPKiS6_PKS3_S8_S4_PS3_21rocsparse_index_base_b.num_named_barrier, 0
	.set _ZN9rocsparseL19gebsrmvn_2xn_kernelILj128ELj13ELj8EfEEvi20rocsparse_direction_NS_24const_host_device_scalarIT2_EEPKiS6_PKS3_S8_S4_PS3_21rocsparse_index_base_b.private_seg_size, 0
	.set _ZN9rocsparseL19gebsrmvn_2xn_kernelILj128ELj13ELj8EfEEvi20rocsparse_direction_NS_24const_host_device_scalarIT2_EEPKiS6_PKS3_S8_S4_PS3_21rocsparse_index_base_b.uses_vcc, 1
	.set _ZN9rocsparseL19gebsrmvn_2xn_kernelILj128ELj13ELj8EfEEvi20rocsparse_direction_NS_24const_host_device_scalarIT2_EEPKiS6_PKS3_S8_S4_PS3_21rocsparse_index_base_b.uses_flat_scratch, 0
	.set _ZN9rocsparseL19gebsrmvn_2xn_kernelILj128ELj13ELj8EfEEvi20rocsparse_direction_NS_24const_host_device_scalarIT2_EEPKiS6_PKS3_S8_S4_PS3_21rocsparse_index_base_b.has_dyn_sized_stack, 0
	.set _ZN9rocsparseL19gebsrmvn_2xn_kernelILj128ELj13ELj8EfEEvi20rocsparse_direction_NS_24const_host_device_scalarIT2_EEPKiS6_PKS3_S8_S4_PS3_21rocsparse_index_base_b.has_recursion, 0
	.set _ZN9rocsparseL19gebsrmvn_2xn_kernelILj128ELj13ELj8EfEEvi20rocsparse_direction_NS_24const_host_device_scalarIT2_EEPKiS6_PKS3_S8_S4_PS3_21rocsparse_index_base_b.has_indirect_call, 0
	.section	.AMDGPU.csdata,"",@progbits
; Kernel info:
; codeLenInByte = 2588
; TotalNumSgprs: 20
; NumVgprs: 64
; ScratchSize: 0
; MemoryBound: 0
; FloatMode: 240
; IeeeMode: 1
; LDSByteSize: 0 bytes/workgroup (compile time only)
; SGPRBlocks: 0
; VGPRBlocks: 3
; NumSGPRsForWavesPerEU: 20
; NumVGPRsForWavesPerEU: 64
; NamedBarCnt: 0
; Occupancy: 16
; WaveLimiterHint : 1
; COMPUTE_PGM_RSRC2:SCRATCH_EN: 0
; COMPUTE_PGM_RSRC2:USER_SGPR: 2
; COMPUTE_PGM_RSRC2:TRAP_HANDLER: 0
; COMPUTE_PGM_RSRC2:TGID_X_EN: 1
; COMPUTE_PGM_RSRC2:TGID_Y_EN: 0
; COMPUTE_PGM_RSRC2:TGID_Z_EN: 0
; COMPUTE_PGM_RSRC2:TIDIG_COMP_CNT: 0
	.section	.text._ZN9rocsparseL19gebsrmvn_2xn_kernelILj128ELj13ELj16EfEEvi20rocsparse_direction_NS_24const_host_device_scalarIT2_EEPKiS6_PKS3_S8_S4_PS3_21rocsparse_index_base_b,"axG",@progbits,_ZN9rocsparseL19gebsrmvn_2xn_kernelILj128ELj13ELj16EfEEvi20rocsparse_direction_NS_24const_host_device_scalarIT2_EEPKiS6_PKS3_S8_S4_PS3_21rocsparse_index_base_b,comdat
	.globl	_ZN9rocsparseL19gebsrmvn_2xn_kernelILj128ELj13ELj16EfEEvi20rocsparse_direction_NS_24const_host_device_scalarIT2_EEPKiS6_PKS3_S8_S4_PS3_21rocsparse_index_base_b ; -- Begin function _ZN9rocsparseL19gebsrmvn_2xn_kernelILj128ELj13ELj16EfEEvi20rocsparse_direction_NS_24const_host_device_scalarIT2_EEPKiS6_PKS3_S8_S4_PS3_21rocsparse_index_base_b
	.p2align	8
	.type	_ZN9rocsparseL19gebsrmvn_2xn_kernelILj128ELj13ELj16EfEEvi20rocsparse_direction_NS_24const_host_device_scalarIT2_EEPKiS6_PKS3_S8_S4_PS3_21rocsparse_index_base_b,@function
_ZN9rocsparseL19gebsrmvn_2xn_kernelILj128ELj13ELj16EfEEvi20rocsparse_direction_NS_24const_host_device_scalarIT2_EEPKiS6_PKS3_S8_S4_PS3_21rocsparse_index_base_b: ; @_ZN9rocsparseL19gebsrmvn_2xn_kernelILj128ELj13ELj16EfEEvi20rocsparse_direction_NS_24const_host_device_scalarIT2_EEPKiS6_PKS3_S8_S4_PS3_21rocsparse_index_base_b
; %bb.0:
	s_clause 0x2
	s_load_b64 s[16:17], s[0:1], 0x40
	s_load_b64 s[14:15], s[0:1], 0x8
	;; [unrolled: 1-line block ×3, first 2 shown]
	s_wait_kmcnt 0x0
	s_bitcmp1_b32 s17, 0
	s_cselect_b32 s2, -1, 0
	s_delay_alu instid0(SALU_CYCLE_1)
	s_and_b32 vcc_lo, exec_lo, s2
	s_xor_b32 s2, s2, -1
	s_cbranch_vccnz .LBB57_2
; %bb.1:
	s_load_b32 s14, s[14:15], 0x0
.LBB57_2:
	s_and_not1_b32 vcc_lo, exec_lo, s2
	s_cbranch_vccnz .LBB57_4
; %bb.3:
	s_load_b32 s12, s[12:13], 0x0
.LBB57_4:
	s_wait_kmcnt 0x0
	s_cmp_eq_f32 s14, 0
	s_cselect_b32 s2, -1, 0
	s_cmp_eq_f32 s12, 1.0
	s_cselect_b32 s3, -1, 0
	s_delay_alu instid0(SALU_CYCLE_1) | instskip(NEXT) | instid1(SALU_CYCLE_1)
	s_and_b32 s2, s2, s3
	s_and_b32 vcc_lo, exec_lo, s2
	s_cbranch_vccnz .LBB57_23
; %bb.5:
	s_load_b64 s[2:3], s[0:1], 0x0
	s_bfe_u32 s4, ttmp6, 0x4000c
	s_and_b32 s5, ttmp6, 15
	s_add_co_i32 s4, s4, 1
	s_getreg_b32 s6, hwreg(HW_REG_IB_STS2, 6, 4)
	s_mul_i32 s4, ttmp9, s4
	v_lshrrev_b32_e32 v1, 4, v0
	s_add_co_i32 s5, s5, s4
	s_cmp_eq_u32 s6, 0
	s_cselect_b32 s4, ttmp9, s5
	s_delay_alu instid0(VALU_DEP_1) | instid1(SALU_CYCLE_1)
	v_lshl_or_b32 v2, s4, 3, v1
	s_wait_kmcnt 0x0
	s_delay_alu instid0(VALU_DEP_1)
	v_cmp_gt_i32_e32 vcc_lo, s2, v2
	s_and_saveexec_b32 s2, vcc_lo
	s_cbranch_execz .LBB57_23
; %bb.6:
	s_load_b256 s[4:11], s[0:1], 0x10
	v_ashrrev_i32_e32 v3, 31, v2
	s_cmp_lg_u32 s3, 0
	s_wait_kmcnt 0x0
	s_delay_alu instid0(VALU_DEP_1)
	v_lshl_add_u64 v[4:5], v[2:3], 2, s[4:5]
	v_and_b32_e32 v3, 15, v0
	global_load_b64 v[4:5], v[4:5], off
	s_wait_loadcnt 0x0
	v_subrev_nc_u32_e32 v0, s16, v4
	v_subrev_nc_u32_e32 v8, s16, v5
	s_delay_alu instid0(VALU_DEP_2) | instskip(NEXT) | instid1(VALU_DEP_1)
	v_add_nc_u32_e32 v9, v0, v3
	v_cmp_lt_i32_e64 s2, v9, v8
	s_cbranch_scc0 .LBB57_12
; %bb.7:
	v_mov_b32_e32 v1, 0
	s_delay_alu instid0(VALU_DEP_1)
	v_mov_b32_e32 v0, v1
	s_and_saveexec_b32 s3, s2
	s_cbranch_execz .LBB57_11
; %bb.8:
	v_mad_u32 v4, v9, 26, 24
	v_dual_mov_b32 v7, 0 :: v_dual_mov_b32 v10, v9
	s_mov_b32 s4, 0
	s_delay_alu instid0(VALU_DEP_1)
	v_dual_mov_b32 v0, v7 :: v_dual_mov_b32 v1, v7
.LBB57_9:                               ; =>This Inner Loop Header: Depth=1
	global_load_b32 v5, v10, s[6:7] scale_offset
	v_subrev_nc_u32_e32 v6, 24, v4
	s_wait_xcnt 0x0
	v_add_nc_u32_e32 v10, 16, v10
	s_delay_alu instid0(VALU_DEP_2) | instskip(SKIP_1) | instid1(VALU_DEP_3)
	v_lshl_add_u64 v[12:13], v[6:7], 2, s[8:9]
	v_subrev_nc_u32_e32 v6, 22, v4
	v_cmp_ge_i32_e32 vcc_lo, v10, v8
	global_load_b64 v[12:13], v[12:13], off
	v_lshl_add_u64 v[14:15], v[6:7], 2, s[8:9]
	v_subrev_nc_u32_e32 v6, 20, v4
	s_or_b32 s4, vcc_lo, s4
	s_delay_alu instid0(VALU_DEP_1)
	v_lshl_add_u64 v[16:17], v[6:7], 2, s[8:9]
	v_subrev_nc_u32_e32 v6, 18, v4
	s_clause 0x1
	global_load_b64 v[18:19], v[14:15], off
	global_load_b64 v[20:21], v[16:17], off
	s_wait_xcnt 0x1
	v_lshl_add_u64 v[14:15], v[6:7], 2, s[8:9]
	global_load_b64 v[14:15], v[14:15], off
	s_wait_loadcnt 0x4
	v_subrev_nc_u32_e32 v5, s16, v5
	s_delay_alu instid0(VALU_DEP_1) | instskip(NEXT) | instid1(VALU_DEP_1)
	v_mul_lo_u32 v11, v5, 13
	v_dual_add_nc_u32 v6, -16, v4 :: v_dual_add_nc_u32 v5, 1, v11
	global_load_b32 v24, v11, s[10:11] scale_offset
	s_wait_xcnt 0x2
	v_lshl_add_u64 v[16:17], v[6:7], 2, s[8:9]
	v_dual_add_nc_u32 v6, -14, v4 :: v_dual_add_nc_u32 v25, 2, v11
	global_load_b32 v26, v5, s[10:11] scale_offset
	s_wait_xcnt 0x0
	v_add_nc_u32_e32 v5, 3, v11
	global_load_b64 v[16:17], v[16:17], off
	v_lshl_add_u64 v[22:23], v[6:7], 2, s[8:9]
	v_add_nc_u32_e32 v6, -12, v4
	s_clause 0x1
	global_load_b32 v30, v25, s[10:11] scale_offset
	global_load_b32 v32, v5, s[10:11] scale_offset
	s_wait_xcnt 0x0
	v_dual_add_nc_u32 v25, 4, v11 :: v_dual_add_nc_u32 v5, 5, v11
	v_lshl_add_u64 v[28:29], v[6:7], 2, s[8:9]
	v_add_nc_u32_e32 v6, -10, v4
	global_load_b64 v[22:23], v[22:23], off
	s_clause 0x1
	global_load_b32 v36, v25, s[10:11] scale_offset
	global_load_b32 v38, v5, s[10:11] scale_offset
	s_wait_xcnt 0x1
	v_add_nc_u32_e32 v25, 6, v11
	v_lshl_add_u64 v[34:35], v[6:7], 2, s[8:9]
	s_wait_xcnt 0x0
	v_dual_add_nc_u32 v6, -8, v4 :: v_dual_add_nc_u32 v5, 7, v11
	global_load_b64 v[28:29], v[28:29], off
	global_load_b32 v42, v25, s[10:11] scale_offset
	global_load_b64 v[34:35], v[34:35], off
	v_lshl_add_u64 v[40:41], v[6:7], 2, s[8:9]
	global_load_b32 v44, v5, s[10:11] scale_offset
	s_wait_xcnt 0x2
	v_dual_add_nc_u32 v6, -6, v4 :: v_dual_add_nc_u32 v25, 8, v11
	s_wait_xcnt 0x0
	v_add_nc_u32_e32 v5, 9, v11
	global_load_b64 v[40:41], v[40:41], off
	v_add_nc_u32_e32 v27, 11, v11
	v_lshl_add_u64 v[46:47], v[6:7], 2, s[8:9]
	v_add_nc_u32_e32 v6, -4, v4
	global_load_b32 v48, v25, s[10:11] scale_offset
	global_load_b64 v[50:51], v[46:47], off
	s_wait_xcnt 0x1
	v_add_nc_u32_e32 v25, 10, v11
	s_wait_xcnt 0x0
	v_lshl_add_u64 v[46:47], v[6:7], 2, s[8:9]
	v_add_nc_u32_e32 v6, -2, v4
	global_load_b32 v52, v5, s[10:11] scale_offset
	global_load_b64 v[46:47], v[46:47], off
	v_lshl_add_u64 v[54:55], v[6:7], 2, s[8:9]
	global_load_b32 v6, v25, s[10:11] scale_offset
	s_wait_xcnt 0x2
	v_mov_b32_e32 v5, v7
	global_load_b64 v[54:55], v[54:55], off
	v_lshl_add_u64 v[56:57], v[4:5], 2, s[8:9]
	v_add_nc_u32_e32 v5, 12, v11
	global_load_b32 v58, v27, s[10:11] scale_offset
	global_load_b64 v[60:61], v[56:57], off
	global_load_b32 v62, v5, s[10:11] scale_offset
	v_add_nc_u32_e32 v4, 0x1a0, v4
	s_wait_loadcnt 0x15
	v_pk_fma_f32 v[0:1], v[12:13], v[24:25], v[0:1] op_sel_hi:[1,0,1]
	s_wait_loadcnt 0x14
	s_delay_alu instid0(VALU_DEP_1) | instskip(SKIP_1) | instid1(VALU_DEP_1)
	v_pk_fma_f32 v[0:1], v[18:19], v[26:27], v[0:1] op_sel_hi:[1,0,1]
	s_wait_loadcnt 0x12
	v_pk_fma_f32 v[0:1], v[20:21], v[30:31], v[0:1] op_sel_hi:[1,0,1]
	s_wait_loadcnt 0x11
	s_delay_alu instid0(VALU_DEP_1) | instskip(SKIP_1) | instid1(VALU_DEP_1)
	v_pk_fma_f32 v[0:1], v[14:15], v[32:33], v[0:1] op_sel_hi:[1,0,1]
	;; [unrolled: 5-line block ×6, first 2 shown]
	s_wait_loadcnt 0x0
	v_pk_fma_f32 v[0:1], v[60:61], v[62:63], v[0:1] op_sel_hi:[1,0,1]
	s_and_not1_b32 exec_lo, exec_lo, s4
	s_cbranch_execnz .LBB57_9
; %bb.10:
	s_or_b32 exec_lo, exec_lo, s4
.LBB57_11:
	s_delay_alu instid0(SALU_CYCLE_1)
	s_or_b32 exec_lo, exec_lo, s3
	s_cbranch_execz .LBB57_13
	s_branch .LBB57_18
.LBB57_12:
                                        ; implicit-def: $vgpr1
.LBB57_13:
	v_mov_b32_e32 v1, 0
	s_delay_alu instid0(VALU_DEP_1)
	v_mov_b32_e32 v0, v1
	s_and_saveexec_b32 s3, s2
	s_cbranch_execz .LBB57_17
; %bb.14:
	v_mad_u32 v6, v9, 26, 25
	v_mov_b32_e32 v5, 0
	s_mov_b32 s2, 0
	s_delay_alu instid0(VALU_DEP_1)
	v_dual_mov_b32 v0, v5 :: v_dual_mov_b32 v1, v5
.LBB57_15:                              ; =>This Inner Loop Header: Depth=1
	global_load_b32 v7, v9, s[6:7] scale_offset
	v_subrev_nc_u32_e32 v4, 25, v6
	v_dual_add_nc_u32 v12, -12, v6 :: v_dual_add_nc_u32 v14, -11, v6
	v_subrev_nc_u32_e32 v17, 23, v6
	v_dual_add_nc_u32 v20, -10, v6 :: v_dual_add_nc_u32 v24, -9, v6
	s_delay_alu instid0(VALU_DEP_4)
	v_lshl_add_u64 v[10:11], v[4:5], 2, s[8:9]
	v_subrev_nc_u32_e32 v21, 22, v6
	v_subrev_nc_u32_e32 v25, 21, v6
	v_dual_add_nc_u32 v28, -8, v6 :: v_dual_add_nc_u32 v32, -7, v6
	global_load_b64 v[10:11], v[10:11], off
	v_subrev_nc_u32_e32 v29, 20, v6
	v_subrev_nc_u32_e32 v33, 19, v6
	v_subrev_nc_u32_e32 v37, 18, v6
	s_wait_xcnt 0x1
	v_dual_add_nc_u32 v9, 16, v9 :: v_dual_add_nc_u32 v36, -6, v6
	s_delay_alu instid0(VALU_DEP_1) | instskip(SKIP_3) | instid1(VALU_DEP_1)
	v_cmp_ge_i32_e32 vcc_lo, v9, v8
	s_or_b32 s2, vcc_lo, s2
	s_wait_loadcnt 0x1
	v_subrev_nc_u32_e32 v4, s16, v7
	v_mul_lo_u32 v7, v4, 13
	global_load_b32 v13, v12, s[8:9] scale_offset
	global_load_b32 v4, v7, s[10:11] scale_offset
	s_wait_xcnt 0x1
	v_add_nc_u32_e32 v12, 1, v7
	global_load_b32 v15, v14, s[8:9] scale_offset
	s_wait_xcnt 0x0
	v_add_nc_u32_e32 v14, 2, v7
	global_load_b32 v16, v12, s[10:11] scale_offset
	s_wait_xcnt 0x0
	v_add_nc_u32_e32 v12, -5, v6
	s_clause 0x1
	global_load_b32 v18, v17, s[8:9] scale_offset
	global_load_b32 v19, v20, s[8:9] scale_offset
	s_wait_xcnt 0x1
	v_add_nc_u32_e32 v17, 3, v7
	global_load_b32 v20, v14, s[10:11] scale_offset
	s_clause 0x1
	global_load_b32 v22, v21, s[8:9] scale_offset
	global_load_b32 v23, v24, s[8:9] scale_offset
	s_wait_xcnt 0x1
	v_add_nc_u32_e32 v21, 4, v7
	v_subrev_nc_u32_e32 v14, 17, v6
	global_load_b32 v24, v17, s[10:11] scale_offset
	s_wait_xcnt 0x0
	v_add_nc_u32_e32 v17, -4, v6
	s_clause 0x1
	global_load_b32 v26, v25, s[8:9] scale_offset
	global_load_b32 v27, v28, s[8:9] scale_offset
	s_wait_xcnt 0x1
	v_add_nc_u32_e32 v25, 5, v7
	global_load_b32 v28, v21, s[10:11] scale_offset
	s_wait_xcnt 0x0
	v_add_nc_u32_e32 v21, -16, v6
	s_clause 0x1
	global_load_b32 v30, v29, s[8:9] scale_offset
	global_load_b32 v31, v32, s[8:9] scale_offset
	s_wait_xcnt 0x1
	v_add_nc_u32_e32 v29, 6, v7
	;; [unrolled: 8-line block ×5, first 2 shown]
	global_load_b32 v44, v12, s[10:11] scale_offset
	s_wait_xcnt 0x0
	v_dual_add_nc_u32 v12, -14, v6 :: v_dual_add_nc_u32 v17, 10, v7
	s_clause 0x1
	global_load_b32 v46, v21, s[8:9] scale_offset
	global_load_b32 v47, v25, s[8:9] scale_offset
	;; [unrolled: 1-line block ×3, first 2 shown]
	s_clause 0x1
	global_load_b32 v50, v29, s[8:9] scale_offset
	global_load_b32 v51, v33, s[8:9] scale_offset
	s_wait_xcnt 0x2
	v_dual_add_nc_u32 v14, -1, v6 :: v_dual_add_nc_u32 v21, 11, v7
	global_load_b32 v52, v17, s[10:11] scale_offset
	s_wait_xcnt 0x0
	v_dual_add_nc_u32 v17, -13, v6 :: v_dual_add_nc_u32 v7, 12, v7
	s_clause 0x1
	global_load_b32 v54, v12, s[8:9] scale_offset
	global_load_b32 v55, v14, s[8:9] scale_offset
	;; [unrolled: 1-line block ×3, first 2 shown]
	s_clause 0x1
	global_load_b32 v58, v17, s[8:9] scale_offset
	global_load_b32 v59, v6, s[8:9] scale_offset
	s_wait_loadcnt 0x24
	s_wait_xcnt 0x3
	v_dual_mov_b32 v12, v10 :: v_dual_mov_b32 v14, v11
	global_load_b32 v10, v7, s[10:11] scale_offset
	s_wait_xcnt 0x1
	v_add_nc_u32_e32 v6, 0x1a0, v6
	s_wait_loadcnt 0x23
	v_pk_fma_f32 v[0:1], v[12:13], v[4:5], v[0:1] op_sel_hi:[1,0,1]
	s_wait_loadcnt 0x21
	s_delay_alu instid0(VALU_DEP_1) | instskip(SKIP_1) | instid1(VALU_DEP_1)
	v_pk_fma_f32 v[0:1], v[14:15], v[16:17], v[0:1] op_sel_hi:[1,0,1]
	s_wait_loadcnt 0x1e
	v_pk_fma_f32 v[0:1], v[18:19], v[20:21], v[0:1] op_sel_hi:[1,0,1]
	s_wait_loadcnt 0x1b
	s_delay_alu instid0(VALU_DEP_1) | instskip(SKIP_1) | instid1(VALU_DEP_1)
	v_pk_fma_f32 v[0:1], v[22:23], v[24:25], v[0:1] op_sel_hi:[1,0,1]
	;; [unrolled: 5-line block ×6, first 2 shown]
	s_wait_loadcnt 0x0
	v_pk_fma_f32 v[0:1], v[58:59], v[10:11], v[0:1] op_sel_hi:[1,0,1]
	s_and_not1_b32 exec_lo, exec_lo, s2
	s_cbranch_execnz .LBB57_15
; %bb.16:
	s_or_b32 exec_lo, exec_lo, s2
.LBB57_17:
	s_delay_alu instid0(SALU_CYCLE_1)
	s_or_b32 exec_lo, exec_lo, s3
.LBB57_18:
	v_mbcnt_lo_u32_b32 v6, -1, 0
	s_mov_b32 s2, -1
	s_delay_alu instid0(VALU_DEP_1) | instskip(SKIP_1) | instid1(VALU_DEP_1)
	v_xor_b32_e32 v7, 4, v6
	v_xor_b32_e32 v4, 8, v6
	v_cmp_gt_i32_e32 vcc_lo, 32, v4
	v_cndmask_b32_e32 v4, v6, v4, vcc_lo
	s_delay_alu instid0(VALU_DEP_4) | instskip(SKIP_1) | instid1(VALU_DEP_1)
	v_cmp_gt_i32_e32 vcc_lo, 32, v7
	v_cndmask_b32_e32 v7, v6, v7, vcc_lo
	v_dual_lshlrev_b32 v7, 2, v7 :: v_dual_lshlrev_b32 v5, 2, v4
	ds_bpermute_b32 v4, v5, v0
	ds_bpermute_b32 v5, v5, v1
	s_wait_dscnt 0x0
	v_pk_add_f32 v[0:1], v[0:1], v[4:5]
	ds_bpermute_b32 v4, v7, v0
	ds_bpermute_b32 v5, v7, v1
	v_xor_b32_e32 v7, 2, v6
	s_delay_alu instid0(VALU_DEP_1) | instskip(SKIP_1) | instid1(VALU_DEP_1)
	v_cmp_gt_i32_e32 vcc_lo, 32, v7
	v_cndmask_b32_e32 v7, v6, v7, vcc_lo
	v_lshlrev_b32_e32 v7, 2, v7
	s_wait_dscnt 0x0
	v_pk_add_f32 v[0:1], v[0:1], v[4:5]
	ds_bpermute_b32 v4, v7, v0
	ds_bpermute_b32 v5, v7, v1
	v_xor_b32_e32 v7, 1, v6
	s_delay_alu instid0(VALU_DEP_1) | instskip(SKIP_2) | instid1(VALU_DEP_2)
	v_cmp_gt_i32_e32 vcc_lo, 32, v7
	v_cndmask_b32_e32 v6, v6, v7, vcc_lo
	v_cmp_eq_u32_e32 vcc_lo, 15, v3
	v_lshlrev_b32_e32 v6, 2, v6
	s_wait_dscnt 0x0
	v_pk_add_f32 v[0:1], v[0:1], v[4:5]
	ds_bpermute_b32 v4, v6, v0
	ds_bpermute_b32 v5, v6, v1
	s_and_b32 exec_lo, exec_lo, vcc_lo
	s_cbranch_execz .LBB57_23
; %bb.19:
	s_load_b64 s[0:1], s[0:1], 0x38
	s_wait_dscnt 0x0
	v_pk_add_f32 v[0:1], v[0:1], v[4:5]
	v_lshlrev_b32_e32 v2, 1, v2
	s_cmp_eq_f32 s12, 0
	s_cbranch_scc0 .LBB57_21
; %bb.20:
	s_delay_alu instid0(VALU_DEP_1) | instskip(SKIP_3) | instid1(VALU_DEP_2)
	v_ashrrev_i32_e32 v3, 31, v2
	v_pk_mul_f32 v[6:7], s[14:15], v[0:1] op_sel_hi:[0,1]
	s_mov_b32 s2, 0
	s_wait_kmcnt 0x0
	v_lshl_add_u64 v[4:5], v[2:3], 2, s[0:1]
	global_store_b64 v[4:5], v[6:7], off
.LBB57_21:
	s_and_not1_b32 vcc_lo, exec_lo, s2
	s_cbranch_vccnz .LBB57_23
; %bb.22:
	v_ashrrev_i32_e32 v3, 31, v2
	v_pk_mul_f32 v[0:1], s[14:15], v[0:1] op_sel_hi:[0,1]
	s_wait_kmcnt 0x0
	s_delay_alu instid0(VALU_DEP_2)
	v_lshl_add_u64 v[2:3], v[2:3], 2, s[0:1]
	global_load_b64 v[4:5], v[2:3], off
	s_wait_loadcnt 0x0
	v_pk_fma_f32 v[0:1], s[12:13], v[4:5], v[0:1] op_sel_hi:[0,1,1]
	global_store_b64 v[2:3], v[0:1], off
.LBB57_23:
	s_endpgm
	.section	.rodata,"a",@progbits
	.p2align	6, 0x0
	.amdhsa_kernel _ZN9rocsparseL19gebsrmvn_2xn_kernelILj128ELj13ELj16EfEEvi20rocsparse_direction_NS_24const_host_device_scalarIT2_EEPKiS6_PKS3_S8_S4_PS3_21rocsparse_index_base_b
		.amdhsa_group_segment_fixed_size 0
		.amdhsa_private_segment_fixed_size 0
		.amdhsa_kernarg_size 72
		.amdhsa_user_sgpr_count 2
		.amdhsa_user_sgpr_dispatch_ptr 0
		.amdhsa_user_sgpr_queue_ptr 0
		.amdhsa_user_sgpr_kernarg_segment_ptr 1
		.amdhsa_user_sgpr_dispatch_id 0
		.amdhsa_user_sgpr_kernarg_preload_length 0
		.amdhsa_user_sgpr_kernarg_preload_offset 0
		.amdhsa_user_sgpr_private_segment_size 0
		.amdhsa_wavefront_size32 1
		.amdhsa_uses_dynamic_stack 0
		.amdhsa_enable_private_segment 0
		.amdhsa_system_sgpr_workgroup_id_x 1
		.amdhsa_system_sgpr_workgroup_id_y 0
		.amdhsa_system_sgpr_workgroup_id_z 0
		.amdhsa_system_sgpr_workgroup_info 0
		.amdhsa_system_vgpr_workitem_id 0
		.amdhsa_next_free_vgpr 64
		.amdhsa_next_free_sgpr 18
		.amdhsa_named_barrier_count 0
		.amdhsa_reserve_vcc 1
		.amdhsa_float_round_mode_32 0
		.amdhsa_float_round_mode_16_64 0
		.amdhsa_float_denorm_mode_32 3
		.amdhsa_float_denorm_mode_16_64 3
		.amdhsa_fp16_overflow 0
		.amdhsa_memory_ordered 1
		.amdhsa_forward_progress 1
		.amdhsa_inst_pref_size 21
		.amdhsa_round_robin_scheduling 0
		.amdhsa_exception_fp_ieee_invalid_op 0
		.amdhsa_exception_fp_denorm_src 0
		.amdhsa_exception_fp_ieee_div_zero 0
		.amdhsa_exception_fp_ieee_overflow 0
		.amdhsa_exception_fp_ieee_underflow 0
		.amdhsa_exception_fp_ieee_inexact 0
		.amdhsa_exception_int_div_zero 0
	.end_amdhsa_kernel
	.section	.text._ZN9rocsparseL19gebsrmvn_2xn_kernelILj128ELj13ELj16EfEEvi20rocsparse_direction_NS_24const_host_device_scalarIT2_EEPKiS6_PKS3_S8_S4_PS3_21rocsparse_index_base_b,"axG",@progbits,_ZN9rocsparseL19gebsrmvn_2xn_kernelILj128ELj13ELj16EfEEvi20rocsparse_direction_NS_24const_host_device_scalarIT2_EEPKiS6_PKS3_S8_S4_PS3_21rocsparse_index_base_b,comdat
.Lfunc_end57:
	.size	_ZN9rocsparseL19gebsrmvn_2xn_kernelILj128ELj13ELj16EfEEvi20rocsparse_direction_NS_24const_host_device_scalarIT2_EEPKiS6_PKS3_S8_S4_PS3_21rocsparse_index_base_b, .Lfunc_end57-_ZN9rocsparseL19gebsrmvn_2xn_kernelILj128ELj13ELj16EfEEvi20rocsparse_direction_NS_24const_host_device_scalarIT2_EEPKiS6_PKS3_S8_S4_PS3_21rocsparse_index_base_b
                                        ; -- End function
	.set _ZN9rocsparseL19gebsrmvn_2xn_kernelILj128ELj13ELj16EfEEvi20rocsparse_direction_NS_24const_host_device_scalarIT2_EEPKiS6_PKS3_S8_S4_PS3_21rocsparse_index_base_b.num_vgpr, 64
	.set _ZN9rocsparseL19gebsrmvn_2xn_kernelILj128ELj13ELj16EfEEvi20rocsparse_direction_NS_24const_host_device_scalarIT2_EEPKiS6_PKS3_S8_S4_PS3_21rocsparse_index_base_b.num_agpr, 0
	.set _ZN9rocsparseL19gebsrmvn_2xn_kernelILj128ELj13ELj16EfEEvi20rocsparse_direction_NS_24const_host_device_scalarIT2_EEPKiS6_PKS3_S8_S4_PS3_21rocsparse_index_base_b.numbered_sgpr, 18
	.set _ZN9rocsparseL19gebsrmvn_2xn_kernelILj128ELj13ELj16EfEEvi20rocsparse_direction_NS_24const_host_device_scalarIT2_EEPKiS6_PKS3_S8_S4_PS3_21rocsparse_index_base_b.num_named_barrier, 0
	.set _ZN9rocsparseL19gebsrmvn_2xn_kernelILj128ELj13ELj16EfEEvi20rocsparse_direction_NS_24const_host_device_scalarIT2_EEPKiS6_PKS3_S8_S4_PS3_21rocsparse_index_base_b.private_seg_size, 0
	.set _ZN9rocsparseL19gebsrmvn_2xn_kernelILj128ELj13ELj16EfEEvi20rocsparse_direction_NS_24const_host_device_scalarIT2_EEPKiS6_PKS3_S8_S4_PS3_21rocsparse_index_base_b.uses_vcc, 1
	.set _ZN9rocsparseL19gebsrmvn_2xn_kernelILj128ELj13ELj16EfEEvi20rocsparse_direction_NS_24const_host_device_scalarIT2_EEPKiS6_PKS3_S8_S4_PS3_21rocsparse_index_base_b.uses_flat_scratch, 0
	.set _ZN9rocsparseL19gebsrmvn_2xn_kernelILj128ELj13ELj16EfEEvi20rocsparse_direction_NS_24const_host_device_scalarIT2_EEPKiS6_PKS3_S8_S4_PS3_21rocsparse_index_base_b.has_dyn_sized_stack, 0
	.set _ZN9rocsparseL19gebsrmvn_2xn_kernelILj128ELj13ELj16EfEEvi20rocsparse_direction_NS_24const_host_device_scalarIT2_EEPKiS6_PKS3_S8_S4_PS3_21rocsparse_index_base_b.has_recursion, 0
	.set _ZN9rocsparseL19gebsrmvn_2xn_kernelILj128ELj13ELj16EfEEvi20rocsparse_direction_NS_24const_host_device_scalarIT2_EEPKiS6_PKS3_S8_S4_PS3_21rocsparse_index_base_b.has_indirect_call, 0
	.section	.AMDGPU.csdata,"",@progbits
; Kernel info:
; codeLenInByte = 2636
; TotalNumSgprs: 20
; NumVgprs: 64
; ScratchSize: 0
; MemoryBound: 0
; FloatMode: 240
; IeeeMode: 1
; LDSByteSize: 0 bytes/workgroup (compile time only)
; SGPRBlocks: 0
; VGPRBlocks: 3
; NumSGPRsForWavesPerEU: 20
; NumVGPRsForWavesPerEU: 64
; NamedBarCnt: 0
; Occupancy: 16
; WaveLimiterHint : 1
; COMPUTE_PGM_RSRC2:SCRATCH_EN: 0
; COMPUTE_PGM_RSRC2:USER_SGPR: 2
; COMPUTE_PGM_RSRC2:TRAP_HANDLER: 0
; COMPUTE_PGM_RSRC2:TGID_X_EN: 1
; COMPUTE_PGM_RSRC2:TGID_Y_EN: 0
; COMPUTE_PGM_RSRC2:TGID_Z_EN: 0
; COMPUTE_PGM_RSRC2:TIDIG_COMP_CNT: 0
	.section	.text._ZN9rocsparseL19gebsrmvn_2xn_kernelILj128ELj13ELj32EfEEvi20rocsparse_direction_NS_24const_host_device_scalarIT2_EEPKiS6_PKS3_S8_S4_PS3_21rocsparse_index_base_b,"axG",@progbits,_ZN9rocsparseL19gebsrmvn_2xn_kernelILj128ELj13ELj32EfEEvi20rocsparse_direction_NS_24const_host_device_scalarIT2_EEPKiS6_PKS3_S8_S4_PS3_21rocsparse_index_base_b,comdat
	.globl	_ZN9rocsparseL19gebsrmvn_2xn_kernelILj128ELj13ELj32EfEEvi20rocsparse_direction_NS_24const_host_device_scalarIT2_EEPKiS6_PKS3_S8_S4_PS3_21rocsparse_index_base_b ; -- Begin function _ZN9rocsparseL19gebsrmvn_2xn_kernelILj128ELj13ELj32EfEEvi20rocsparse_direction_NS_24const_host_device_scalarIT2_EEPKiS6_PKS3_S8_S4_PS3_21rocsparse_index_base_b
	.p2align	8
	.type	_ZN9rocsparseL19gebsrmvn_2xn_kernelILj128ELj13ELj32EfEEvi20rocsparse_direction_NS_24const_host_device_scalarIT2_EEPKiS6_PKS3_S8_S4_PS3_21rocsparse_index_base_b,@function
_ZN9rocsparseL19gebsrmvn_2xn_kernelILj128ELj13ELj32EfEEvi20rocsparse_direction_NS_24const_host_device_scalarIT2_EEPKiS6_PKS3_S8_S4_PS3_21rocsparse_index_base_b: ; @_ZN9rocsparseL19gebsrmvn_2xn_kernelILj128ELj13ELj32EfEEvi20rocsparse_direction_NS_24const_host_device_scalarIT2_EEPKiS6_PKS3_S8_S4_PS3_21rocsparse_index_base_b
; %bb.0:
	s_clause 0x2
	s_load_b64 s[16:17], s[0:1], 0x40
	s_load_b64 s[14:15], s[0:1], 0x8
	;; [unrolled: 1-line block ×3, first 2 shown]
	s_wait_kmcnt 0x0
	s_bitcmp1_b32 s17, 0
	s_cselect_b32 s2, -1, 0
	s_delay_alu instid0(SALU_CYCLE_1)
	s_and_b32 vcc_lo, exec_lo, s2
	s_xor_b32 s2, s2, -1
	s_cbranch_vccnz .LBB58_2
; %bb.1:
	s_load_b32 s14, s[14:15], 0x0
.LBB58_2:
	s_and_not1_b32 vcc_lo, exec_lo, s2
	s_cbranch_vccnz .LBB58_4
; %bb.3:
	s_load_b32 s12, s[12:13], 0x0
.LBB58_4:
	s_wait_kmcnt 0x0
	s_cmp_eq_f32 s14, 0
	s_cselect_b32 s2, -1, 0
	s_cmp_eq_f32 s12, 1.0
	s_cselect_b32 s3, -1, 0
	s_delay_alu instid0(SALU_CYCLE_1) | instskip(NEXT) | instid1(SALU_CYCLE_1)
	s_and_b32 s2, s2, s3
	s_and_b32 vcc_lo, exec_lo, s2
	s_cbranch_vccnz .LBB58_23
; %bb.5:
	s_load_b64 s[2:3], s[0:1], 0x0
	s_bfe_u32 s4, ttmp6, 0x4000c
	s_and_b32 s5, ttmp6, 15
	s_add_co_i32 s4, s4, 1
	s_getreg_b32 s6, hwreg(HW_REG_IB_STS2, 6, 4)
	s_mul_i32 s4, ttmp9, s4
	v_lshrrev_b32_e32 v1, 5, v0
	s_add_co_i32 s5, s5, s4
	s_cmp_eq_u32 s6, 0
	s_cselect_b32 s4, ttmp9, s5
	s_delay_alu instid0(VALU_DEP_1) | instid1(SALU_CYCLE_1)
	v_lshl_or_b32 v2, s4, 2, v1
	s_wait_kmcnt 0x0
	s_delay_alu instid0(VALU_DEP_1)
	v_cmp_gt_i32_e32 vcc_lo, s2, v2
	s_and_saveexec_b32 s2, vcc_lo
	s_cbranch_execz .LBB58_23
; %bb.6:
	s_load_b256 s[4:11], s[0:1], 0x10
	v_ashrrev_i32_e32 v3, 31, v2
	s_cmp_lg_u32 s3, 0
	s_wait_kmcnt 0x0
	s_delay_alu instid0(VALU_DEP_1)
	v_lshl_add_u64 v[4:5], v[2:3], 2, s[4:5]
	v_and_b32_e32 v3, 31, v0
	global_load_b64 v[4:5], v[4:5], off
	s_wait_loadcnt 0x0
	v_subrev_nc_u32_e32 v0, s16, v4
	v_subrev_nc_u32_e32 v8, s16, v5
	s_delay_alu instid0(VALU_DEP_2) | instskip(NEXT) | instid1(VALU_DEP_1)
	v_add_nc_u32_e32 v9, v0, v3
	v_cmp_lt_i32_e64 s2, v9, v8
	s_cbranch_scc0 .LBB58_12
; %bb.7:
	v_mov_b32_e32 v1, 0
	s_delay_alu instid0(VALU_DEP_1)
	v_mov_b32_e32 v0, v1
	s_and_saveexec_b32 s3, s2
	s_cbranch_execz .LBB58_11
; %bb.8:
	v_mad_u32 v4, v9, 26, 24
	v_dual_mov_b32 v7, 0 :: v_dual_mov_b32 v10, v9
	s_mov_b32 s4, 0
	s_delay_alu instid0(VALU_DEP_1)
	v_dual_mov_b32 v0, v7 :: v_dual_mov_b32 v1, v7
.LBB58_9:                               ; =>This Inner Loop Header: Depth=1
	global_load_b32 v5, v10, s[6:7] scale_offset
	v_subrev_nc_u32_e32 v6, 24, v4
	s_wait_xcnt 0x0
	v_add_nc_u32_e32 v10, 32, v10
	s_delay_alu instid0(VALU_DEP_2) | instskip(SKIP_1) | instid1(VALU_DEP_3)
	v_lshl_add_u64 v[12:13], v[6:7], 2, s[8:9]
	v_subrev_nc_u32_e32 v6, 22, v4
	v_cmp_ge_i32_e32 vcc_lo, v10, v8
	global_load_b64 v[12:13], v[12:13], off
	v_lshl_add_u64 v[14:15], v[6:7], 2, s[8:9]
	v_subrev_nc_u32_e32 v6, 20, v4
	s_or_b32 s4, vcc_lo, s4
	s_delay_alu instid0(VALU_DEP_1)
	v_lshl_add_u64 v[16:17], v[6:7], 2, s[8:9]
	v_subrev_nc_u32_e32 v6, 18, v4
	s_clause 0x1
	global_load_b64 v[18:19], v[14:15], off
	global_load_b64 v[20:21], v[16:17], off
	s_wait_xcnt 0x1
	v_lshl_add_u64 v[14:15], v[6:7], 2, s[8:9]
	global_load_b64 v[14:15], v[14:15], off
	s_wait_loadcnt 0x4
	v_subrev_nc_u32_e32 v5, s16, v5
	s_delay_alu instid0(VALU_DEP_1) | instskip(NEXT) | instid1(VALU_DEP_1)
	v_mul_lo_u32 v11, v5, 13
	v_dual_add_nc_u32 v6, -16, v4 :: v_dual_add_nc_u32 v5, 1, v11
	global_load_b32 v24, v11, s[10:11] scale_offset
	s_wait_xcnt 0x2
	v_lshl_add_u64 v[16:17], v[6:7], 2, s[8:9]
	v_dual_add_nc_u32 v6, -14, v4 :: v_dual_add_nc_u32 v25, 2, v11
	global_load_b32 v26, v5, s[10:11] scale_offset
	s_wait_xcnt 0x0
	v_add_nc_u32_e32 v5, 3, v11
	global_load_b64 v[16:17], v[16:17], off
	v_lshl_add_u64 v[22:23], v[6:7], 2, s[8:9]
	v_add_nc_u32_e32 v6, -12, v4
	s_clause 0x1
	global_load_b32 v30, v25, s[10:11] scale_offset
	global_load_b32 v32, v5, s[10:11] scale_offset
	s_wait_xcnt 0x0
	v_dual_add_nc_u32 v25, 4, v11 :: v_dual_add_nc_u32 v5, 5, v11
	v_lshl_add_u64 v[28:29], v[6:7], 2, s[8:9]
	v_add_nc_u32_e32 v6, -10, v4
	global_load_b64 v[22:23], v[22:23], off
	s_clause 0x1
	global_load_b32 v36, v25, s[10:11] scale_offset
	global_load_b32 v38, v5, s[10:11] scale_offset
	s_wait_xcnt 0x1
	v_add_nc_u32_e32 v25, 6, v11
	v_lshl_add_u64 v[34:35], v[6:7], 2, s[8:9]
	s_wait_xcnt 0x0
	v_dual_add_nc_u32 v6, -8, v4 :: v_dual_add_nc_u32 v5, 7, v11
	global_load_b64 v[28:29], v[28:29], off
	global_load_b32 v42, v25, s[10:11] scale_offset
	global_load_b64 v[34:35], v[34:35], off
	v_lshl_add_u64 v[40:41], v[6:7], 2, s[8:9]
	global_load_b32 v44, v5, s[10:11] scale_offset
	s_wait_xcnt 0x2
	v_dual_add_nc_u32 v6, -6, v4 :: v_dual_add_nc_u32 v25, 8, v11
	s_wait_xcnt 0x0
	v_add_nc_u32_e32 v5, 9, v11
	global_load_b64 v[40:41], v[40:41], off
	v_add_nc_u32_e32 v27, 11, v11
	v_lshl_add_u64 v[46:47], v[6:7], 2, s[8:9]
	v_add_nc_u32_e32 v6, -4, v4
	global_load_b32 v48, v25, s[10:11] scale_offset
	global_load_b64 v[50:51], v[46:47], off
	s_wait_xcnt 0x1
	v_add_nc_u32_e32 v25, 10, v11
	s_wait_xcnt 0x0
	v_lshl_add_u64 v[46:47], v[6:7], 2, s[8:9]
	v_add_nc_u32_e32 v6, -2, v4
	global_load_b32 v52, v5, s[10:11] scale_offset
	global_load_b64 v[46:47], v[46:47], off
	v_lshl_add_u64 v[54:55], v[6:7], 2, s[8:9]
	global_load_b32 v6, v25, s[10:11] scale_offset
	s_wait_xcnt 0x2
	v_mov_b32_e32 v5, v7
	global_load_b64 v[54:55], v[54:55], off
	v_lshl_add_u64 v[56:57], v[4:5], 2, s[8:9]
	v_add_nc_u32_e32 v5, 12, v11
	global_load_b32 v58, v27, s[10:11] scale_offset
	global_load_b64 v[60:61], v[56:57], off
	global_load_b32 v62, v5, s[10:11] scale_offset
	v_add_nc_u32_e32 v4, 0x340, v4
	s_wait_loadcnt 0x15
	v_pk_fma_f32 v[0:1], v[12:13], v[24:25], v[0:1] op_sel_hi:[1,0,1]
	s_wait_loadcnt 0x14
	s_delay_alu instid0(VALU_DEP_1) | instskip(SKIP_1) | instid1(VALU_DEP_1)
	v_pk_fma_f32 v[0:1], v[18:19], v[26:27], v[0:1] op_sel_hi:[1,0,1]
	s_wait_loadcnt 0x12
	v_pk_fma_f32 v[0:1], v[20:21], v[30:31], v[0:1] op_sel_hi:[1,0,1]
	s_wait_loadcnt 0x11
	s_delay_alu instid0(VALU_DEP_1) | instskip(SKIP_1) | instid1(VALU_DEP_1)
	v_pk_fma_f32 v[0:1], v[14:15], v[32:33], v[0:1] op_sel_hi:[1,0,1]
	;; [unrolled: 5-line block ×6, first 2 shown]
	s_wait_loadcnt 0x0
	v_pk_fma_f32 v[0:1], v[60:61], v[62:63], v[0:1] op_sel_hi:[1,0,1]
	s_and_not1_b32 exec_lo, exec_lo, s4
	s_cbranch_execnz .LBB58_9
; %bb.10:
	s_or_b32 exec_lo, exec_lo, s4
.LBB58_11:
	s_delay_alu instid0(SALU_CYCLE_1)
	s_or_b32 exec_lo, exec_lo, s3
	s_cbranch_execz .LBB58_13
	s_branch .LBB58_18
.LBB58_12:
                                        ; implicit-def: $vgpr1
.LBB58_13:
	v_mov_b32_e32 v1, 0
	s_delay_alu instid0(VALU_DEP_1)
	v_mov_b32_e32 v0, v1
	s_and_saveexec_b32 s3, s2
	s_cbranch_execz .LBB58_17
; %bb.14:
	v_mad_u32 v6, v9, 26, 25
	v_mov_b32_e32 v5, 0
	s_mov_b32 s2, 0
	s_delay_alu instid0(VALU_DEP_1)
	v_dual_mov_b32 v0, v5 :: v_dual_mov_b32 v1, v5
.LBB58_15:                              ; =>This Inner Loop Header: Depth=1
	global_load_b32 v7, v9, s[6:7] scale_offset
	v_subrev_nc_u32_e32 v4, 25, v6
	v_dual_add_nc_u32 v12, -12, v6 :: v_dual_add_nc_u32 v14, -11, v6
	v_subrev_nc_u32_e32 v17, 23, v6
	v_dual_add_nc_u32 v20, -10, v6 :: v_dual_add_nc_u32 v24, -9, v6
	s_delay_alu instid0(VALU_DEP_4)
	v_lshl_add_u64 v[10:11], v[4:5], 2, s[8:9]
	v_subrev_nc_u32_e32 v21, 22, v6
	v_subrev_nc_u32_e32 v25, 21, v6
	v_dual_add_nc_u32 v28, -8, v6 :: v_dual_add_nc_u32 v32, -7, v6
	global_load_b64 v[10:11], v[10:11], off
	v_subrev_nc_u32_e32 v29, 20, v6
	v_subrev_nc_u32_e32 v33, 19, v6
	v_subrev_nc_u32_e32 v37, 18, v6
	s_wait_xcnt 0x1
	v_dual_add_nc_u32 v9, 32, v9 :: v_dual_add_nc_u32 v36, -6, v6
	s_delay_alu instid0(VALU_DEP_1) | instskip(SKIP_3) | instid1(VALU_DEP_1)
	v_cmp_ge_i32_e32 vcc_lo, v9, v8
	s_or_b32 s2, vcc_lo, s2
	s_wait_loadcnt 0x1
	v_subrev_nc_u32_e32 v4, s16, v7
	v_mul_lo_u32 v7, v4, 13
	global_load_b32 v13, v12, s[8:9] scale_offset
	global_load_b32 v4, v7, s[10:11] scale_offset
	s_wait_xcnt 0x1
	v_add_nc_u32_e32 v12, 1, v7
	global_load_b32 v15, v14, s[8:9] scale_offset
	s_wait_xcnt 0x0
	v_add_nc_u32_e32 v14, 2, v7
	global_load_b32 v16, v12, s[10:11] scale_offset
	s_wait_xcnt 0x0
	v_add_nc_u32_e32 v12, -5, v6
	s_clause 0x1
	global_load_b32 v18, v17, s[8:9] scale_offset
	global_load_b32 v19, v20, s[8:9] scale_offset
	s_wait_xcnt 0x1
	v_add_nc_u32_e32 v17, 3, v7
	global_load_b32 v20, v14, s[10:11] scale_offset
	s_clause 0x1
	global_load_b32 v22, v21, s[8:9] scale_offset
	global_load_b32 v23, v24, s[8:9] scale_offset
	s_wait_xcnt 0x1
	v_add_nc_u32_e32 v21, 4, v7
	v_subrev_nc_u32_e32 v14, 17, v6
	global_load_b32 v24, v17, s[10:11] scale_offset
	s_wait_xcnt 0x0
	v_add_nc_u32_e32 v17, -4, v6
	s_clause 0x1
	global_load_b32 v26, v25, s[8:9] scale_offset
	global_load_b32 v27, v28, s[8:9] scale_offset
	s_wait_xcnt 0x1
	v_add_nc_u32_e32 v25, 5, v7
	global_load_b32 v28, v21, s[10:11] scale_offset
	s_wait_xcnt 0x0
	v_add_nc_u32_e32 v21, -16, v6
	s_clause 0x1
	global_load_b32 v30, v29, s[8:9] scale_offset
	global_load_b32 v31, v32, s[8:9] scale_offset
	s_wait_xcnt 0x1
	v_add_nc_u32_e32 v29, 6, v7
	;; [unrolled: 8-line block ×5, first 2 shown]
	global_load_b32 v44, v12, s[10:11] scale_offset
	s_wait_xcnt 0x0
	v_dual_add_nc_u32 v12, -14, v6 :: v_dual_add_nc_u32 v17, 10, v7
	s_clause 0x1
	global_load_b32 v46, v21, s[8:9] scale_offset
	global_load_b32 v47, v25, s[8:9] scale_offset
	;; [unrolled: 1-line block ×3, first 2 shown]
	s_clause 0x1
	global_load_b32 v50, v29, s[8:9] scale_offset
	global_load_b32 v51, v33, s[8:9] scale_offset
	s_wait_xcnt 0x2
	v_dual_add_nc_u32 v14, -1, v6 :: v_dual_add_nc_u32 v21, 11, v7
	global_load_b32 v52, v17, s[10:11] scale_offset
	s_wait_xcnt 0x0
	v_dual_add_nc_u32 v17, -13, v6 :: v_dual_add_nc_u32 v7, 12, v7
	s_clause 0x1
	global_load_b32 v54, v12, s[8:9] scale_offset
	global_load_b32 v55, v14, s[8:9] scale_offset
	;; [unrolled: 1-line block ×3, first 2 shown]
	s_clause 0x1
	global_load_b32 v58, v17, s[8:9] scale_offset
	global_load_b32 v59, v6, s[8:9] scale_offset
	s_wait_loadcnt 0x24
	s_wait_xcnt 0x3
	v_dual_mov_b32 v12, v10 :: v_dual_mov_b32 v14, v11
	global_load_b32 v10, v7, s[10:11] scale_offset
	s_wait_xcnt 0x1
	v_add_nc_u32_e32 v6, 0x340, v6
	s_wait_loadcnt 0x23
	v_pk_fma_f32 v[0:1], v[12:13], v[4:5], v[0:1] op_sel_hi:[1,0,1]
	s_wait_loadcnt 0x21
	s_delay_alu instid0(VALU_DEP_1) | instskip(SKIP_1) | instid1(VALU_DEP_1)
	v_pk_fma_f32 v[0:1], v[14:15], v[16:17], v[0:1] op_sel_hi:[1,0,1]
	s_wait_loadcnt 0x1e
	v_pk_fma_f32 v[0:1], v[18:19], v[20:21], v[0:1] op_sel_hi:[1,0,1]
	s_wait_loadcnt 0x1b
	s_delay_alu instid0(VALU_DEP_1) | instskip(SKIP_1) | instid1(VALU_DEP_1)
	v_pk_fma_f32 v[0:1], v[22:23], v[24:25], v[0:1] op_sel_hi:[1,0,1]
	;; [unrolled: 5-line block ×6, first 2 shown]
	s_wait_loadcnt 0x0
	v_pk_fma_f32 v[0:1], v[58:59], v[10:11], v[0:1] op_sel_hi:[1,0,1]
	s_and_not1_b32 exec_lo, exec_lo, s2
	s_cbranch_execnz .LBB58_15
; %bb.16:
	s_or_b32 exec_lo, exec_lo, s2
.LBB58_17:
	s_delay_alu instid0(SALU_CYCLE_1)
	s_or_b32 exec_lo, exec_lo, s3
.LBB58_18:
	v_mbcnt_lo_u32_b32 v6, -1, 0
	s_mov_b32 s2, -1
	s_delay_alu instid0(VALU_DEP_1) | instskip(SKIP_1) | instid1(VALU_DEP_1)
	v_xor_b32_e32 v7, 8, v6
	v_xor_b32_e32 v4, 16, v6
	v_cmp_gt_i32_e32 vcc_lo, 32, v4
	v_cndmask_b32_e32 v4, v6, v4, vcc_lo
	s_delay_alu instid0(VALU_DEP_4) | instskip(SKIP_1) | instid1(VALU_DEP_1)
	v_cmp_gt_i32_e32 vcc_lo, 32, v7
	v_cndmask_b32_e32 v7, v6, v7, vcc_lo
	v_dual_lshlrev_b32 v7, 2, v7 :: v_dual_lshlrev_b32 v5, 2, v4
	ds_bpermute_b32 v4, v5, v0
	ds_bpermute_b32 v5, v5, v1
	s_wait_dscnt 0x0
	v_pk_add_f32 v[0:1], v[0:1], v[4:5]
	ds_bpermute_b32 v4, v7, v0
	ds_bpermute_b32 v5, v7, v1
	v_xor_b32_e32 v7, 4, v6
	s_delay_alu instid0(VALU_DEP_1) | instskip(SKIP_1) | instid1(VALU_DEP_1)
	v_cmp_gt_i32_e32 vcc_lo, 32, v7
	v_cndmask_b32_e32 v7, v6, v7, vcc_lo
	v_lshlrev_b32_e32 v7, 2, v7
	s_wait_dscnt 0x0
	v_pk_add_f32 v[0:1], v[0:1], v[4:5]
	ds_bpermute_b32 v4, v7, v0
	ds_bpermute_b32 v5, v7, v1
	v_xor_b32_e32 v7, 2, v6
	s_delay_alu instid0(VALU_DEP_1) | instskip(SKIP_1) | instid1(VALU_DEP_1)
	v_cmp_gt_i32_e32 vcc_lo, 32, v7
	v_cndmask_b32_e32 v7, v6, v7, vcc_lo
	v_lshlrev_b32_e32 v7, 2, v7
	s_wait_dscnt 0x0
	v_pk_add_f32 v[0:1], v[0:1], v[4:5]
	ds_bpermute_b32 v4, v7, v0
	ds_bpermute_b32 v5, v7, v1
	v_xor_b32_e32 v7, 1, v6
	s_delay_alu instid0(VALU_DEP_1) | instskip(SKIP_2) | instid1(VALU_DEP_2)
	v_cmp_gt_i32_e32 vcc_lo, 32, v7
	v_cndmask_b32_e32 v6, v6, v7, vcc_lo
	v_cmp_eq_u32_e32 vcc_lo, 31, v3
	v_lshlrev_b32_e32 v6, 2, v6
	s_wait_dscnt 0x0
	v_pk_add_f32 v[0:1], v[0:1], v[4:5]
	ds_bpermute_b32 v4, v6, v0
	ds_bpermute_b32 v5, v6, v1
	s_and_b32 exec_lo, exec_lo, vcc_lo
	s_cbranch_execz .LBB58_23
; %bb.19:
	s_load_b64 s[0:1], s[0:1], 0x38
	s_wait_dscnt 0x0
	v_pk_add_f32 v[0:1], v[0:1], v[4:5]
	v_lshlrev_b32_e32 v2, 1, v2
	s_cmp_eq_f32 s12, 0
	s_cbranch_scc0 .LBB58_21
; %bb.20:
	s_delay_alu instid0(VALU_DEP_1) | instskip(SKIP_3) | instid1(VALU_DEP_2)
	v_ashrrev_i32_e32 v3, 31, v2
	v_pk_mul_f32 v[6:7], s[14:15], v[0:1] op_sel_hi:[0,1]
	s_mov_b32 s2, 0
	s_wait_kmcnt 0x0
	v_lshl_add_u64 v[4:5], v[2:3], 2, s[0:1]
	global_store_b64 v[4:5], v[6:7], off
.LBB58_21:
	s_and_not1_b32 vcc_lo, exec_lo, s2
	s_cbranch_vccnz .LBB58_23
; %bb.22:
	v_ashrrev_i32_e32 v3, 31, v2
	v_pk_mul_f32 v[0:1], s[14:15], v[0:1] op_sel_hi:[0,1]
	s_wait_kmcnt 0x0
	s_delay_alu instid0(VALU_DEP_2)
	v_lshl_add_u64 v[2:3], v[2:3], 2, s[0:1]
	global_load_b64 v[4:5], v[2:3], off
	s_wait_loadcnt 0x0
	v_pk_fma_f32 v[0:1], s[12:13], v[4:5], v[0:1] op_sel_hi:[0,1,1]
	global_store_b64 v[2:3], v[0:1], off
.LBB58_23:
	s_endpgm
	.section	.rodata,"a",@progbits
	.p2align	6, 0x0
	.amdhsa_kernel _ZN9rocsparseL19gebsrmvn_2xn_kernelILj128ELj13ELj32EfEEvi20rocsparse_direction_NS_24const_host_device_scalarIT2_EEPKiS6_PKS3_S8_S4_PS3_21rocsparse_index_base_b
		.amdhsa_group_segment_fixed_size 0
		.amdhsa_private_segment_fixed_size 0
		.amdhsa_kernarg_size 72
		.amdhsa_user_sgpr_count 2
		.amdhsa_user_sgpr_dispatch_ptr 0
		.amdhsa_user_sgpr_queue_ptr 0
		.amdhsa_user_sgpr_kernarg_segment_ptr 1
		.amdhsa_user_sgpr_dispatch_id 0
		.amdhsa_user_sgpr_kernarg_preload_length 0
		.amdhsa_user_sgpr_kernarg_preload_offset 0
		.amdhsa_user_sgpr_private_segment_size 0
		.amdhsa_wavefront_size32 1
		.amdhsa_uses_dynamic_stack 0
		.amdhsa_enable_private_segment 0
		.amdhsa_system_sgpr_workgroup_id_x 1
		.amdhsa_system_sgpr_workgroup_id_y 0
		.amdhsa_system_sgpr_workgroup_id_z 0
		.amdhsa_system_sgpr_workgroup_info 0
		.amdhsa_system_vgpr_workitem_id 0
		.amdhsa_next_free_vgpr 64
		.amdhsa_next_free_sgpr 18
		.amdhsa_named_barrier_count 0
		.amdhsa_reserve_vcc 1
		.amdhsa_float_round_mode_32 0
		.amdhsa_float_round_mode_16_64 0
		.amdhsa_float_denorm_mode_32 3
		.amdhsa_float_denorm_mode_16_64 3
		.amdhsa_fp16_overflow 0
		.amdhsa_memory_ordered 1
		.amdhsa_forward_progress 1
		.amdhsa_inst_pref_size 21
		.amdhsa_round_robin_scheduling 0
		.amdhsa_exception_fp_ieee_invalid_op 0
		.amdhsa_exception_fp_denorm_src 0
		.amdhsa_exception_fp_ieee_div_zero 0
		.amdhsa_exception_fp_ieee_overflow 0
		.amdhsa_exception_fp_ieee_underflow 0
		.amdhsa_exception_fp_ieee_inexact 0
		.amdhsa_exception_int_div_zero 0
	.end_amdhsa_kernel
	.section	.text._ZN9rocsparseL19gebsrmvn_2xn_kernelILj128ELj13ELj32EfEEvi20rocsparse_direction_NS_24const_host_device_scalarIT2_EEPKiS6_PKS3_S8_S4_PS3_21rocsparse_index_base_b,"axG",@progbits,_ZN9rocsparseL19gebsrmvn_2xn_kernelILj128ELj13ELj32EfEEvi20rocsparse_direction_NS_24const_host_device_scalarIT2_EEPKiS6_PKS3_S8_S4_PS3_21rocsparse_index_base_b,comdat
.Lfunc_end58:
	.size	_ZN9rocsparseL19gebsrmvn_2xn_kernelILj128ELj13ELj32EfEEvi20rocsparse_direction_NS_24const_host_device_scalarIT2_EEPKiS6_PKS3_S8_S4_PS3_21rocsparse_index_base_b, .Lfunc_end58-_ZN9rocsparseL19gebsrmvn_2xn_kernelILj128ELj13ELj32EfEEvi20rocsparse_direction_NS_24const_host_device_scalarIT2_EEPKiS6_PKS3_S8_S4_PS3_21rocsparse_index_base_b
                                        ; -- End function
	.set _ZN9rocsparseL19gebsrmvn_2xn_kernelILj128ELj13ELj32EfEEvi20rocsparse_direction_NS_24const_host_device_scalarIT2_EEPKiS6_PKS3_S8_S4_PS3_21rocsparse_index_base_b.num_vgpr, 64
	.set _ZN9rocsparseL19gebsrmvn_2xn_kernelILj128ELj13ELj32EfEEvi20rocsparse_direction_NS_24const_host_device_scalarIT2_EEPKiS6_PKS3_S8_S4_PS3_21rocsparse_index_base_b.num_agpr, 0
	.set _ZN9rocsparseL19gebsrmvn_2xn_kernelILj128ELj13ELj32EfEEvi20rocsparse_direction_NS_24const_host_device_scalarIT2_EEPKiS6_PKS3_S8_S4_PS3_21rocsparse_index_base_b.numbered_sgpr, 18
	.set _ZN9rocsparseL19gebsrmvn_2xn_kernelILj128ELj13ELj32EfEEvi20rocsparse_direction_NS_24const_host_device_scalarIT2_EEPKiS6_PKS3_S8_S4_PS3_21rocsparse_index_base_b.num_named_barrier, 0
	.set _ZN9rocsparseL19gebsrmvn_2xn_kernelILj128ELj13ELj32EfEEvi20rocsparse_direction_NS_24const_host_device_scalarIT2_EEPKiS6_PKS3_S8_S4_PS3_21rocsparse_index_base_b.private_seg_size, 0
	.set _ZN9rocsparseL19gebsrmvn_2xn_kernelILj128ELj13ELj32EfEEvi20rocsparse_direction_NS_24const_host_device_scalarIT2_EEPKiS6_PKS3_S8_S4_PS3_21rocsparse_index_base_b.uses_vcc, 1
	.set _ZN9rocsparseL19gebsrmvn_2xn_kernelILj128ELj13ELj32EfEEvi20rocsparse_direction_NS_24const_host_device_scalarIT2_EEPKiS6_PKS3_S8_S4_PS3_21rocsparse_index_base_b.uses_flat_scratch, 0
	.set _ZN9rocsparseL19gebsrmvn_2xn_kernelILj128ELj13ELj32EfEEvi20rocsparse_direction_NS_24const_host_device_scalarIT2_EEPKiS6_PKS3_S8_S4_PS3_21rocsparse_index_base_b.has_dyn_sized_stack, 0
	.set _ZN9rocsparseL19gebsrmvn_2xn_kernelILj128ELj13ELj32EfEEvi20rocsparse_direction_NS_24const_host_device_scalarIT2_EEPKiS6_PKS3_S8_S4_PS3_21rocsparse_index_base_b.has_recursion, 0
	.set _ZN9rocsparseL19gebsrmvn_2xn_kernelILj128ELj13ELj32EfEEvi20rocsparse_direction_NS_24const_host_device_scalarIT2_EEPKiS6_PKS3_S8_S4_PS3_21rocsparse_index_base_b.has_indirect_call, 0
	.section	.AMDGPU.csdata,"",@progbits
; Kernel info:
; codeLenInByte = 2684
; TotalNumSgprs: 20
; NumVgprs: 64
; ScratchSize: 0
; MemoryBound: 0
; FloatMode: 240
; IeeeMode: 1
; LDSByteSize: 0 bytes/workgroup (compile time only)
; SGPRBlocks: 0
; VGPRBlocks: 3
; NumSGPRsForWavesPerEU: 20
; NumVGPRsForWavesPerEU: 64
; NamedBarCnt: 0
; Occupancy: 16
; WaveLimiterHint : 1
; COMPUTE_PGM_RSRC2:SCRATCH_EN: 0
; COMPUTE_PGM_RSRC2:USER_SGPR: 2
; COMPUTE_PGM_RSRC2:TRAP_HANDLER: 0
; COMPUTE_PGM_RSRC2:TGID_X_EN: 1
; COMPUTE_PGM_RSRC2:TGID_Y_EN: 0
; COMPUTE_PGM_RSRC2:TGID_Z_EN: 0
; COMPUTE_PGM_RSRC2:TIDIG_COMP_CNT: 0
	.section	.text._ZN9rocsparseL19gebsrmvn_2xn_kernelILj128ELj13ELj64EfEEvi20rocsparse_direction_NS_24const_host_device_scalarIT2_EEPKiS6_PKS3_S8_S4_PS3_21rocsparse_index_base_b,"axG",@progbits,_ZN9rocsparseL19gebsrmvn_2xn_kernelILj128ELj13ELj64EfEEvi20rocsparse_direction_NS_24const_host_device_scalarIT2_EEPKiS6_PKS3_S8_S4_PS3_21rocsparse_index_base_b,comdat
	.globl	_ZN9rocsparseL19gebsrmvn_2xn_kernelILj128ELj13ELj64EfEEvi20rocsparse_direction_NS_24const_host_device_scalarIT2_EEPKiS6_PKS3_S8_S4_PS3_21rocsparse_index_base_b ; -- Begin function _ZN9rocsparseL19gebsrmvn_2xn_kernelILj128ELj13ELj64EfEEvi20rocsparse_direction_NS_24const_host_device_scalarIT2_EEPKiS6_PKS3_S8_S4_PS3_21rocsparse_index_base_b
	.p2align	8
	.type	_ZN9rocsparseL19gebsrmvn_2xn_kernelILj128ELj13ELj64EfEEvi20rocsparse_direction_NS_24const_host_device_scalarIT2_EEPKiS6_PKS3_S8_S4_PS3_21rocsparse_index_base_b,@function
_ZN9rocsparseL19gebsrmvn_2xn_kernelILj128ELj13ELj64EfEEvi20rocsparse_direction_NS_24const_host_device_scalarIT2_EEPKiS6_PKS3_S8_S4_PS3_21rocsparse_index_base_b: ; @_ZN9rocsparseL19gebsrmvn_2xn_kernelILj128ELj13ELj64EfEEvi20rocsparse_direction_NS_24const_host_device_scalarIT2_EEPKiS6_PKS3_S8_S4_PS3_21rocsparse_index_base_b
; %bb.0:
	s_clause 0x2
	s_load_b64 s[16:17], s[0:1], 0x40
	s_load_b64 s[14:15], s[0:1], 0x8
	;; [unrolled: 1-line block ×3, first 2 shown]
	s_wait_kmcnt 0x0
	s_bitcmp1_b32 s17, 0
	s_cselect_b32 s2, -1, 0
	s_delay_alu instid0(SALU_CYCLE_1)
	s_and_b32 vcc_lo, exec_lo, s2
	s_xor_b32 s2, s2, -1
	s_cbranch_vccnz .LBB59_2
; %bb.1:
	s_load_b32 s14, s[14:15], 0x0
.LBB59_2:
	s_and_not1_b32 vcc_lo, exec_lo, s2
	s_cbranch_vccnz .LBB59_4
; %bb.3:
	s_load_b32 s12, s[12:13], 0x0
.LBB59_4:
	s_wait_kmcnt 0x0
	s_cmp_eq_f32 s14, 0
	s_cselect_b32 s2, -1, 0
	s_cmp_eq_f32 s12, 1.0
	s_cselect_b32 s3, -1, 0
	s_delay_alu instid0(SALU_CYCLE_1) | instskip(NEXT) | instid1(SALU_CYCLE_1)
	s_and_b32 s2, s2, s3
	s_and_b32 vcc_lo, exec_lo, s2
	s_cbranch_vccnz .LBB59_23
; %bb.5:
	s_load_b64 s[2:3], s[0:1], 0x0
	s_bfe_u32 s4, ttmp6, 0x4000c
	s_and_b32 s5, ttmp6, 15
	s_add_co_i32 s4, s4, 1
	s_getreg_b32 s6, hwreg(HW_REG_IB_STS2, 6, 4)
	s_mul_i32 s4, ttmp9, s4
	v_lshrrev_b32_e32 v1, 6, v0
	s_add_co_i32 s5, s5, s4
	s_cmp_eq_u32 s6, 0
	s_cselect_b32 s4, ttmp9, s5
	s_delay_alu instid0(VALU_DEP_1) | instid1(SALU_CYCLE_1)
	v_lshl_or_b32 v2, s4, 1, v1
	s_wait_kmcnt 0x0
	s_delay_alu instid0(VALU_DEP_1)
	v_cmp_gt_i32_e32 vcc_lo, s2, v2
	s_and_saveexec_b32 s2, vcc_lo
	s_cbranch_execz .LBB59_23
; %bb.6:
	s_load_b256 s[4:11], s[0:1], 0x10
	v_ashrrev_i32_e32 v3, 31, v2
	s_cmp_lg_u32 s3, 0
	s_wait_kmcnt 0x0
	s_delay_alu instid0(VALU_DEP_1)
	v_lshl_add_u64 v[4:5], v[2:3], 2, s[4:5]
	v_and_b32_e32 v3, 63, v0
	global_load_b64 v[4:5], v[4:5], off
	s_wait_loadcnt 0x0
	v_subrev_nc_u32_e32 v0, s16, v4
	v_subrev_nc_u32_e32 v8, s16, v5
	s_delay_alu instid0(VALU_DEP_2) | instskip(NEXT) | instid1(VALU_DEP_1)
	v_add_nc_u32_e32 v9, v0, v3
	v_cmp_lt_i32_e64 s2, v9, v8
	s_cbranch_scc0 .LBB59_12
; %bb.7:
	v_mov_b32_e32 v1, 0
	s_delay_alu instid0(VALU_DEP_1)
	v_mov_b32_e32 v0, v1
	s_and_saveexec_b32 s3, s2
	s_cbranch_execz .LBB59_11
; %bb.8:
	v_mad_u32 v4, v9, 26, 24
	v_dual_mov_b32 v7, 0 :: v_dual_mov_b32 v10, v9
	s_mov_b32 s4, 0
	s_delay_alu instid0(VALU_DEP_1)
	v_dual_mov_b32 v0, v7 :: v_dual_mov_b32 v1, v7
.LBB59_9:                               ; =>This Inner Loop Header: Depth=1
	global_load_b32 v5, v10, s[6:7] scale_offset
	v_subrev_nc_u32_e32 v6, 24, v4
	s_wait_xcnt 0x0
	v_add_nc_u32_e32 v10, 64, v10
	s_delay_alu instid0(VALU_DEP_2) | instskip(SKIP_1) | instid1(VALU_DEP_3)
	v_lshl_add_u64 v[12:13], v[6:7], 2, s[8:9]
	v_subrev_nc_u32_e32 v6, 22, v4
	v_cmp_ge_i32_e32 vcc_lo, v10, v8
	global_load_b64 v[12:13], v[12:13], off
	v_lshl_add_u64 v[14:15], v[6:7], 2, s[8:9]
	v_subrev_nc_u32_e32 v6, 20, v4
	s_or_b32 s4, vcc_lo, s4
	s_delay_alu instid0(VALU_DEP_1)
	v_lshl_add_u64 v[16:17], v[6:7], 2, s[8:9]
	v_subrev_nc_u32_e32 v6, 18, v4
	s_clause 0x1
	global_load_b64 v[18:19], v[14:15], off
	global_load_b64 v[20:21], v[16:17], off
	s_wait_xcnt 0x1
	v_lshl_add_u64 v[14:15], v[6:7], 2, s[8:9]
	global_load_b64 v[14:15], v[14:15], off
	s_wait_loadcnt 0x4
	v_subrev_nc_u32_e32 v5, s16, v5
	s_delay_alu instid0(VALU_DEP_1) | instskip(NEXT) | instid1(VALU_DEP_1)
	v_mul_lo_u32 v11, v5, 13
	v_dual_add_nc_u32 v6, -16, v4 :: v_dual_add_nc_u32 v5, 1, v11
	global_load_b32 v24, v11, s[10:11] scale_offset
	s_wait_xcnt 0x2
	v_lshl_add_u64 v[16:17], v[6:7], 2, s[8:9]
	v_dual_add_nc_u32 v6, -14, v4 :: v_dual_add_nc_u32 v25, 2, v11
	global_load_b32 v26, v5, s[10:11] scale_offset
	s_wait_xcnt 0x0
	v_add_nc_u32_e32 v5, 3, v11
	global_load_b64 v[16:17], v[16:17], off
	v_lshl_add_u64 v[22:23], v[6:7], 2, s[8:9]
	v_add_nc_u32_e32 v6, -12, v4
	s_clause 0x1
	global_load_b32 v30, v25, s[10:11] scale_offset
	global_load_b32 v32, v5, s[10:11] scale_offset
	s_wait_xcnt 0x0
	v_dual_add_nc_u32 v25, 4, v11 :: v_dual_add_nc_u32 v5, 5, v11
	v_lshl_add_u64 v[28:29], v[6:7], 2, s[8:9]
	v_add_nc_u32_e32 v6, -10, v4
	global_load_b64 v[22:23], v[22:23], off
	s_clause 0x1
	global_load_b32 v36, v25, s[10:11] scale_offset
	global_load_b32 v38, v5, s[10:11] scale_offset
	s_wait_xcnt 0x1
	v_add_nc_u32_e32 v25, 6, v11
	v_lshl_add_u64 v[34:35], v[6:7], 2, s[8:9]
	s_wait_xcnt 0x0
	v_dual_add_nc_u32 v6, -8, v4 :: v_dual_add_nc_u32 v5, 7, v11
	global_load_b64 v[28:29], v[28:29], off
	global_load_b32 v42, v25, s[10:11] scale_offset
	global_load_b64 v[34:35], v[34:35], off
	v_lshl_add_u64 v[40:41], v[6:7], 2, s[8:9]
	global_load_b32 v44, v5, s[10:11] scale_offset
	s_wait_xcnt 0x2
	v_dual_add_nc_u32 v6, -6, v4 :: v_dual_add_nc_u32 v25, 8, v11
	s_wait_xcnt 0x0
	v_add_nc_u32_e32 v5, 9, v11
	global_load_b64 v[40:41], v[40:41], off
	v_add_nc_u32_e32 v27, 11, v11
	v_lshl_add_u64 v[46:47], v[6:7], 2, s[8:9]
	v_add_nc_u32_e32 v6, -4, v4
	global_load_b32 v48, v25, s[10:11] scale_offset
	global_load_b64 v[50:51], v[46:47], off
	s_wait_xcnt 0x1
	v_add_nc_u32_e32 v25, 10, v11
	s_wait_xcnt 0x0
	v_lshl_add_u64 v[46:47], v[6:7], 2, s[8:9]
	v_add_nc_u32_e32 v6, -2, v4
	global_load_b32 v52, v5, s[10:11] scale_offset
	global_load_b64 v[46:47], v[46:47], off
	v_lshl_add_u64 v[54:55], v[6:7], 2, s[8:9]
	global_load_b32 v6, v25, s[10:11] scale_offset
	s_wait_xcnt 0x2
	v_mov_b32_e32 v5, v7
	global_load_b64 v[54:55], v[54:55], off
	v_lshl_add_u64 v[56:57], v[4:5], 2, s[8:9]
	v_add_nc_u32_e32 v5, 12, v11
	global_load_b32 v58, v27, s[10:11] scale_offset
	global_load_b64 v[60:61], v[56:57], off
	global_load_b32 v62, v5, s[10:11] scale_offset
	v_add_nc_u32_e32 v4, 0x680, v4
	s_wait_loadcnt 0x15
	v_pk_fma_f32 v[0:1], v[12:13], v[24:25], v[0:1] op_sel_hi:[1,0,1]
	s_wait_loadcnt 0x14
	s_delay_alu instid0(VALU_DEP_1) | instskip(SKIP_1) | instid1(VALU_DEP_1)
	v_pk_fma_f32 v[0:1], v[18:19], v[26:27], v[0:1] op_sel_hi:[1,0,1]
	s_wait_loadcnt 0x12
	v_pk_fma_f32 v[0:1], v[20:21], v[30:31], v[0:1] op_sel_hi:[1,0,1]
	s_wait_loadcnt 0x11
	s_delay_alu instid0(VALU_DEP_1) | instskip(SKIP_1) | instid1(VALU_DEP_1)
	v_pk_fma_f32 v[0:1], v[14:15], v[32:33], v[0:1] op_sel_hi:[1,0,1]
	;; [unrolled: 5-line block ×6, first 2 shown]
	s_wait_loadcnt 0x0
	v_pk_fma_f32 v[0:1], v[60:61], v[62:63], v[0:1] op_sel_hi:[1,0,1]
	s_and_not1_b32 exec_lo, exec_lo, s4
	s_cbranch_execnz .LBB59_9
; %bb.10:
	s_or_b32 exec_lo, exec_lo, s4
.LBB59_11:
	s_delay_alu instid0(SALU_CYCLE_1)
	s_or_b32 exec_lo, exec_lo, s3
	s_cbranch_execz .LBB59_13
	s_branch .LBB59_18
.LBB59_12:
                                        ; implicit-def: $vgpr1
.LBB59_13:
	v_mov_b32_e32 v1, 0
	s_delay_alu instid0(VALU_DEP_1)
	v_mov_b32_e32 v0, v1
	s_and_saveexec_b32 s3, s2
	s_cbranch_execz .LBB59_17
; %bb.14:
	v_mad_u32 v6, v9, 26, 25
	v_mov_b32_e32 v5, 0
	s_mov_b32 s2, 0
	s_delay_alu instid0(VALU_DEP_1)
	v_dual_mov_b32 v0, v5 :: v_dual_mov_b32 v1, v5
.LBB59_15:                              ; =>This Inner Loop Header: Depth=1
	global_load_b32 v7, v9, s[6:7] scale_offset
	v_subrev_nc_u32_e32 v4, 25, v6
	v_dual_add_nc_u32 v12, -12, v6 :: v_dual_add_nc_u32 v14, -11, v6
	v_subrev_nc_u32_e32 v17, 23, v6
	v_dual_add_nc_u32 v20, -10, v6 :: v_dual_add_nc_u32 v24, -9, v6
	s_delay_alu instid0(VALU_DEP_4)
	v_lshl_add_u64 v[10:11], v[4:5], 2, s[8:9]
	v_subrev_nc_u32_e32 v21, 22, v6
	v_subrev_nc_u32_e32 v25, 21, v6
	v_dual_add_nc_u32 v28, -8, v6 :: v_dual_add_nc_u32 v32, -7, v6
	global_load_b64 v[10:11], v[10:11], off
	v_subrev_nc_u32_e32 v29, 20, v6
	v_subrev_nc_u32_e32 v33, 19, v6
	;; [unrolled: 1-line block ×3, first 2 shown]
	s_wait_xcnt 0x1
	v_dual_add_nc_u32 v9, 64, v9 :: v_dual_add_nc_u32 v36, -6, v6
	s_delay_alu instid0(VALU_DEP_1) | instskip(SKIP_3) | instid1(VALU_DEP_1)
	v_cmp_ge_i32_e32 vcc_lo, v9, v8
	s_or_b32 s2, vcc_lo, s2
	s_wait_loadcnt 0x1
	v_subrev_nc_u32_e32 v4, s16, v7
	v_mul_lo_u32 v7, v4, 13
	global_load_b32 v13, v12, s[8:9] scale_offset
	global_load_b32 v4, v7, s[10:11] scale_offset
	s_wait_xcnt 0x1
	v_add_nc_u32_e32 v12, 1, v7
	global_load_b32 v15, v14, s[8:9] scale_offset
	s_wait_xcnt 0x0
	v_add_nc_u32_e32 v14, 2, v7
	global_load_b32 v16, v12, s[10:11] scale_offset
	s_wait_xcnt 0x0
	v_add_nc_u32_e32 v12, -5, v6
	s_clause 0x1
	global_load_b32 v18, v17, s[8:9] scale_offset
	global_load_b32 v19, v20, s[8:9] scale_offset
	s_wait_xcnt 0x1
	v_add_nc_u32_e32 v17, 3, v7
	global_load_b32 v20, v14, s[10:11] scale_offset
	s_clause 0x1
	global_load_b32 v22, v21, s[8:9] scale_offset
	global_load_b32 v23, v24, s[8:9] scale_offset
	s_wait_xcnt 0x1
	v_add_nc_u32_e32 v21, 4, v7
	v_subrev_nc_u32_e32 v14, 17, v6
	global_load_b32 v24, v17, s[10:11] scale_offset
	s_wait_xcnt 0x0
	v_add_nc_u32_e32 v17, -4, v6
	s_clause 0x1
	global_load_b32 v26, v25, s[8:9] scale_offset
	global_load_b32 v27, v28, s[8:9] scale_offset
	s_wait_xcnt 0x1
	v_add_nc_u32_e32 v25, 5, v7
	global_load_b32 v28, v21, s[10:11] scale_offset
	s_wait_xcnt 0x0
	v_add_nc_u32_e32 v21, -16, v6
	s_clause 0x1
	global_load_b32 v30, v29, s[8:9] scale_offset
	global_load_b32 v31, v32, s[8:9] scale_offset
	s_wait_xcnt 0x1
	v_add_nc_u32_e32 v29, 6, v7
	;; [unrolled: 8-line block ×5, first 2 shown]
	global_load_b32 v44, v12, s[10:11] scale_offset
	s_wait_xcnt 0x0
	v_dual_add_nc_u32 v12, -14, v6 :: v_dual_add_nc_u32 v17, 10, v7
	s_clause 0x1
	global_load_b32 v46, v21, s[8:9] scale_offset
	global_load_b32 v47, v25, s[8:9] scale_offset
	;; [unrolled: 1-line block ×3, first 2 shown]
	s_clause 0x1
	global_load_b32 v50, v29, s[8:9] scale_offset
	global_load_b32 v51, v33, s[8:9] scale_offset
	s_wait_xcnt 0x2
	v_dual_add_nc_u32 v14, -1, v6 :: v_dual_add_nc_u32 v21, 11, v7
	global_load_b32 v52, v17, s[10:11] scale_offset
	s_wait_xcnt 0x0
	v_dual_add_nc_u32 v17, -13, v6 :: v_dual_add_nc_u32 v7, 12, v7
	s_clause 0x1
	global_load_b32 v54, v12, s[8:9] scale_offset
	global_load_b32 v55, v14, s[8:9] scale_offset
	;; [unrolled: 1-line block ×3, first 2 shown]
	s_clause 0x1
	global_load_b32 v58, v17, s[8:9] scale_offset
	global_load_b32 v59, v6, s[8:9] scale_offset
	s_wait_loadcnt 0x24
	s_wait_xcnt 0x3
	v_dual_mov_b32 v12, v10 :: v_dual_mov_b32 v14, v11
	global_load_b32 v10, v7, s[10:11] scale_offset
	s_wait_xcnt 0x1
	v_add_nc_u32_e32 v6, 0x680, v6
	s_wait_loadcnt 0x23
	v_pk_fma_f32 v[0:1], v[12:13], v[4:5], v[0:1] op_sel_hi:[1,0,1]
	s_wait_loadcnt 0x21
	s_delay_alu instid0(VALU_DEP_1) | instskip(SKIP_1) | instid1(VALU_DEP_1)
	v_pk_fma_f32 v[0:1], v[14:15], v[16:17], v[0:1] op_sel_hi:[1,0,1]
	s_wait_loadcnt 0x1e
	v_pk_fma_f32 v[0:1], v[18:19], v[20:21], v[0:1] op_sel_hi:[1,0,1]
	s_wait_loadcnt 0x1b
	s_delay_alu instid0(VALU_DEP_1) | instskip(SKIP_1) | instid1(VALU_DEP_1)
	v_pk_fma_f32 v[0:1], v[22:23], v[24:25], v[0:1] op_sel_hi:[1,0,1]
	;; [unrolled: 5-line block ×6, first 2 shown]
	s_wait_loadcnt 0x0
	v_pk_fma_f32 v[0:1], v[58:59], v[10:11], v[0:1] op_sel_hi:[1,0,1]
	s_and_not1_b32 exec_lo, exec_lo, s2
	s_cbranch_execnz .LBB59_15
; %bb.16:
	s_or_b32 exec_lo, exec_lo, s2
.LBB59_17:
	s_delay_alu instid0(SALU_CYCLE_1)
	s_or_b32 exec_lo, exec_lo, s3
.LBB59_18:
	v_mbcnt_lo_u32_b32 v6, -1, 0
	s_mov_b32 s2, -1
	s_delay_alu instid0(VALU_DEP_1) | instskip(SKIP_1) | instid1(VALU_DEP_1)
	v_xor_b32_e32 v7, 16, v6
	v_or_b32_e32 v4, 32, v6
	v_cmp_gt_i32_e32 vcc_lo, 32, v4
	v_cndmask_b32_e32 v4, v6, v4, vcc_lo
	s_delay_alu instid0(VALU_DEP_4) | instskip(SKIP_1) | instid1(VALU_DEP_1)
	v_cmp_gt_i32_e32 vcc_lo, 32, v7
	v_cndmask_b32_e32 v7, v6, v7, vcc_lo
	v_dual_lshlrev_b32 v7, 2, v7 :: v_dual_lshlrev_b32 v5, 2, v4
	ds_bpermute_b32 v4, v5, v0
	ds_bpermute_b32 v5, v5, v1
	s_wait_dscnt 0x0
	v_pk_add_f32 v[0:1], v[0:1], v[4:5]
	ds_bpermute_b32 v4, v7, v0
	ds_bpermute_b32 v5, v7, v1
	v_xor_b32_e32 v7, 8, v6
	s_delay_alu instid0(VALU_DEP_1) | instskip(SKIP_1) | instid1(VALU_DEP_1)
	v_cmp_gt_i32_e32 vcc_lo, 32, v7
	v_cndmask_b32_e32 v7, v6, v7, vcc_lo
	v_lshlrev_b32_e32 v7, 2, v7
	s_wait_dscnt 0x0
	v_pk_add_f32 v[0:1], v[0:1], v[4:5]
	ds_bpermute_b32 v4, v7, v0
	ds_bpermute_b32 v5, v7, v1
	v_xor_b32_e32 v7, 4, v6
	s_delay_alu instid0(VALU_DEP_1) | instskip(SKIP_1) | instid1(VALU_DEP_1)
	v_cmp_gt_i32_e32 vcc_lo, 32, v7
	v_cndmask_b32_e32 v7, v6, v7, vcc_lo
	v_lshlrev_b32_e32 v7, 2, v7
	;; [unrolled: 9-line block ×3, first 2 shown]
	s_wait_dscnt 0x0
	v_pk_add_f32 v[0:1], v[0:1], v[4:5]
	ds_bpermute_b32 v4, v7, v0
	ds_bpermute_b32 v5, v7, v1
	v_xor_b32_e32 v7, 1, v6
	s_delay_alu instid0(VALU_DEP_1) | instskip(SKIP_2) | instid1(VALU_DEP_2)
	v_cmp_gt_i32_e32 vcc_lo, 32, v7
	v_cndmask_b32_e32 v6, v6, v7, vcc_lo
	v_cmp_eq_u32_e32 vcc_lo, 63, v3
	v_lshlrev_b32_e32 v6, 2, v6
	s_wait_dscnt 0x0
	v_pk_add_f32 v[0:1], v[0:1], v[4:5]
	ds_bpermute_b32 v4, v6, v0
	ds_bpermute_b32 v5, v6, v1
	s_and_b32 exec_lo, exec_lo, vcc_lo
	s_cbranch_execz .LBB59_23
; %bb.19:
	s_load_b64 s[0:1], s[0:1], 0x38
	s_wait_dscnt 0x0
	v_pk_add_f32 v[0:1], v[0:1], v[4:5]
	v_lshlrev_b32_e32 v2, 1, v2
	s_cmp_eq_f32 s12, 0
	s_cbranch_scc0 .LBB59_21
; %bb.20:
	s_delay_alu instid0(VALU_DEP_1) | instskip(SKIP_3) | instid1(VALU_DEP_2)
	v_ashrrev_i32_e32 v3, 31, v2
	v_pk_mul_f32 v[6:7], s[14:15], v[0:1] op_sel_hi:[0,1]
	s_mov_b32 s2, 0
	s_wait_kmcnt 0x0
	v_lshl_add_u64 v[4:5], v[2:3], 2, s[0:1]
	global_store_b64 v[4:5], v[6:7], off
.LBB59_21:
	s_and_not1_b32 vcc_lo, exec_lo, s2
	s_cbranch_vccnz .LBB59_23
; %bb.22:
	v_ashrrev_i32_e32 v3, 31, v2
	v_pk_mul_f32 v[0:1], s[14:15], v[0:1] op_sel_hi:[0,1]
	s_wait_kmcnt 0x0
	s_delay_alu instid0(VALU_DEP_2)
	v_lshl_add_u64 v[2:3], v[2:3], 2, s[0:1]
	global_load_b64 v[4:5], v[2:3], off
	s_wait_loadcnt 0x0
	v_pk_fma_f32 v[0:1], s[12:13], v[4:5], v[0:1] op_sel_hi:[0,1,1]
	global_store_b64 v[2:3], v[0:1], off
.LBB59_23:
	s_endpgm
	.section	.rodata,"a",@progbits
	.p2align	6, 0x0
	.amdhsa_kernel _ZN9rocsparseL19gebsrmvn_2xn_kernelILj128ELj13ELj64EfEEvi20rocsparse_direction_NS_24const_host_device_scalarIT2_EEPKiS6_PKS3_S8_S4_PS3_21rocsparse_index_base_b
		.amdhsa_group_segment_fixed_size 0
		.amdhsa_private_segment_fixed_size 0
		.amdhsa_kernarg_size 72
		.amdhsa_user_sgpr_count 2
		.amdhsa_user_sgpr_dispatch_ptr 0
		.amdhsa_user_sgpr_queue_ptr 0
		.amdhsa_user_sgpr_kernarg_segment_ptr 1
		.amdhsa_user_sgpr_dispatch_id 0
		.amdhsa_user_sgpr_kernarg_preload_length 0
		.amdhsa_user_sgpr_kernarg_preload_offset 0
		.amdhsa_user_sgpr_private_segment_size 0
		.amdhsa_wavefront_size32 1
		.amdhsa_uses_dynamic_stack 0
		.amdhsa_enable_private_segment 0
		.amdhsa_system_sgpr_workgroup_id_x 1
		.amdhsa_system_sgpr_workgroup_id_y 0
		.amdhsa_system_sgpr_workgroup_id_z 0
		.amdhsa_system_sgpr_workgroup_info 0
		.amdhsa_system_vgpr_workitem_id 0
		.amdhsa_next_free_vgpr 64
		.amdhsa_next_free_sgpr 18
		.amdhsa_named_barrier_count 0
		.amdhsa_reserve_vcc 1
		.amdhsa_float_round_mode_32 0
		.amdhsa_float_round_mode_16_64 0
		.amdhsa_float_denorm_mode_32 3
		.amdhsa_float_denorm_mode_16_64 3
		.amdhsa_fp16_overflow 0
		.amdhsa_memory_ordered 1
		.amdhsa_forward_progress 1
		.amdhsa_inst_pref_size 22
		.amdhsa_round_robin_scheduling 0
		.amdhsa_exception_fp_ieee_invalid_op 0
		.amdhsa_exception_fp_denorm_src 0
		.amdhsa_exception_fp_ieee_div_zero 0
		.amdhsa_exception_fp_ieee_overflow 0
		.amdhsa_exception_fp_ieee_underflow 0
		.amdhsa_exception_fp_ieee_inexact 0
		.amdhsa_exception_int_div_zero 0
	.end_amdhsa_kernel
	.section	.text._ZN9rocsparseL19gebsrmvn_2xn_kernelILj128ELj13ELj64EfEEvi20rocsparse_direction_NS_24const_host_device_scalarIT2_EEPKiS6_PKS3_S8_S4_PS3_21rocsparse_index_base_b,"axG",@progbits,_ZN9rocsparseL19gebsrmvn_2xn_kernelILj128ELj13ELj64EfEEvi20rocsparse_direction_NS_24const_host_device_scalarIT2_EEPKiS6_PKS3_S8_S4_PS3_21rocsparse_index_base_b,comdat
.Lfunc_end59:
	.size	_ZN9rocsparseL19gebsrmvn_2xn_kernelILj128ELj13ELj64EfEEvi20rocsparse_direction_NS_24const_host_device_scalarIT2_EEPKiS6_PKS3_S8_S4_PS3_21rocsparse_index_base_b, .Lfunc_end59-_ZN9rocsparseL19gebsrmvn_2xn_kernelILj128ELj13ELj64EfEEvi20rocsparse_direction_NS_24const_host_device_scalarIT2_EEPKiS6_PKS3_S8_S4_PS3_21rocsparse_index_base_b
                                        ; -- End function
	.set _ZN9rocsparseL19gebsrmvn_2xn_kernelILj128ELj13ELj64EfEEvi20rocsparse_direction_NS_24const_host_device_scalarIT2_EEPKiS6_PKS3_S8_S4_PS3_21rocsparse_index_base_b.num_vgpr, 64
	.set _ZN9rocsparseL19gebsrmvn_2xn_kernelILj128ELj13ELj64EfEEvi20rocsparse_direction_NS_24const_host_device_scalarIT2_EEPKiS6_PKS3_S8_S4_PS3_21rocsparse_index_base_b.num_agpr, 0
	.set _ZN9rocsparseL19gebsrmvn_2xn_kernelILj128ELj13ELj64EfEEvi20rocsparse_direction_NS_24const_host_device_scalarIT2_EEPKiS6_PKS3_S8_S4_PS3_21rocsparse_index_base_b.numbered_sgpr, 18
	.set _ZN9rocsparseL19gebsrmvn_2xn_kernelILj128ELj13ELj64EfEEvi20rocsparse_direction_NS_24const_host_device_scalarIT2_EEPKiS6_PKS3_S8_S4_PS3_21rocsparse_index_base_b.num_named_barrier, 0
	.set _ZN9rocsparseL19gebsrmvn_2xn_kernelILj128ELj13ELj64EfEEvi20rocsparse_direction_NS_24const_host_device_scalarIT2_EEPKiS6_PKS3_S8_S4_PS3_21rocsparse_index_base_b.private_seg_size, 0
	.set _ZN9rocsparseL19gebsrmvn_2xn_kernelILj128ELj13ELj64EfEEvi20rocsparse_direction_NS_24const_host_device_scalarIT2_EEPKiS6_PKS3_S8_S4_PS3_21rocsparse_index_base_b.uses_vcc, 1
	.set _ZN9rocsparseL19gebsrmvn_2xn_kernelILj128ELj13ELj64EfEEvi20rocsparse_direction_NS_24const_host_device_scalarIT2_EEPKiS6_PKS3_S8_S4_PS3_21rocsparse_index_base_b.uses_flat_scratch, 0
	.set _ZN9rocsparseL19gebsrmvn_2xn_kernelILj128ELj13ELj64EfEEvi20rocsparse_direction_NS_24const_host_device_scalarIT2_EEPKiS6_PKS3_S8_S4_PS3_21rocsparse_index_base_b.has_dyn_sized_stack, 0
	.set _ZN9rocsparseL19gebsrmvn_2xn_kernelILj128ELj13ELj64EfEEvi20rocsparse_direction_NS_24const_host_device_scalarIT2_EEPKiS6_PKS3_S8_S4_PS3_21rocsparse_index_base_b.has_recursion, 0
	.set _ZN9rocsparseL19gebsrmvn_2xn_kernelILj128ELj13ELj64EfEEvi20rocsparse_direction_NS_24const_host_device_scalarIT2_EEPKiS6_PKS3_S8_S4_PS3_21rocsparse_index_base_b.has_indirect_call, 0
	.section	.AMDGPU.csdata,"",@progbits
; Kernel info:
; codeLenInByte = 2732
; TotalNumSgprs: 20
; NumVgprs: 64
; ScratchSize: 0
; MemoryBound: 0
; FloatMode: 240
; IeeeMode: 1
; LDSByteSize: 0 bytes/workgroup (compile time only)
; SGPRBlocks: 0
; VGPRBlocks: 3
; NumSGPRsForWavesPerEU: 20
; NumVGPRsForWavesPerEU: 64
; NamedBarCnt: 0
; Occupancy: 16
; WaveLimiterHint : 1
; COMPUTE_PGM_RSRC2:SCRATCH_EN: 0
; COMPUTE_PGM_RSRC2:USER_SGPR: 2
; COMPUTE_PGM_RSRC2:TRAP_HANDLER: 0
; COMPUTE_PGM_RSRC2:TGID_X_EN: 1
; COMPUTE_PGM_RSRC2:TGID_Y_EN: 0
; COMPUTE_PGM_RSRC2:TGID_Z_EN: 0
; COMPUTE_PGM_RSRC2:TIDIG_COMP_CNT: 0
	.section	.text._ZN9rocsparseL19gebsrmvn_2xn_kernelILj128ELj14ELj4EfEEvi20rocsparse_direction_NS_24const_host_device_scalarIT2_EEPKiS6_PKS3_S8_S4_PS3_21rocsparse_index_base_b,"axG",@progbits,_ZN9rocsparseL19gebsrmvn_2xn_kernelILj128ELj14ELj4EfEEvi20rocsparse_direction_NS_24const_host_device_scalarIT2_EEPKiS6_PKS3_S8_S4_PS3_21rocsparse_index_base_b,comdat
	.globl	_ZN9rocsparseL19gebsrmvn_2xn_kernelILj128ELj14ELj4EfEEvi20rocsparse_direction_NS_24const_host_device_scalarIT2_EEPKiS6_PKS3_S8_S4_PS3_21rocsparse_index_base_b ; -- Begin function _ZN9rocsparseL19gebsrmvn_2xn_kernelILj128ELj14ELj4EfEEvi20rocsparse_direction_NS_24const_host_device_scalarIT2_EEPKiS6_PKS3_S8_S4_PS3_21rocsparse_index_base_b
	.p2align	8
	.type	_ZN9rocsparseL19gebsrmvn_2xn_kernelILj128ELj14ELj4EfEEvi20rocsparse_direction_NS_24const_host_device_scalarIT2_EEPKiS6_PKS3_S8_S4_PS3_21rocsparse_index_base_b,@function
_ZN9rocsparseL19gebsrmvn_2xn_kernelILj128ELj14ELj4EfEEvi20rocsparse_direction_NS_24const_host_device_scalarIT2_EEPKiS6_PKS3_S8_S4_PS3_21rocsparse_index_base_b: ; @_ZN9rocsparseL19gebsrmvn_2xn_kernelILj128ELj14ELj4EfEEvi20rocsparse_direction_NS_24const_host_device_scalarIT2_EEPKiS6_PKS3_S8_S4_PS3_21rocsparse_index_base_b
; %bb.0:
	s_clause 0x2
	s_load_b64 s[16:17], s[0:1], 0x40
	s_load_b64 s[14:15], s[0:1], 0x8
	;; [unrolled: 1-line block ×3, first 2 shown]
	s_wait_kmcnt 0x0
	s_bitcmp1_b32 s17, 0
	s_cselect_b32 s2, -1, 0
	s_delay_alu instid0(SALU_CYCLE_1)
	s_and_b32 vcc_lo, exec_lo, s2
	s_xor_b32 s2, s2, -1
	s_cbranch_vccnz .LBB60_2
; %bb.1:
	s_load_b32 s14, s[14:15], 0x0
.LBB60_2:
	s_and_not1_b32 vcc_lo, exec_lo, s2
	s_cbranch_vccnz .LBB60_4
; %bb.3:
	s_load_b32 s12, s[12:13], 0x0
.LBB60_4:
	s_wait_kmcnt 0x0
	s_cmp_eq_f32 s14, 0
	s_cselect_b32 s2, -1, 0
	s_cmp_eq_f32 s12, 1.0
	s_cselect_b32 s3, -1, 0
	s_delay_alu instid0(SALU_CYCLE_1) | instskip(NEXT) | instid1(SALU_CYCLE_1)
	s_and_b32 s2, s2, s3
	s_and_b32 vcc_lo, exec_lo, s2
	s_cbranch_vccnz .LBB60_23
; %bb.5:
	s_load_b64 s[2:3], s[0:1], 0x0
	s_bfe_u32 s4, ttmp6, 0x4000c
	s_and_b32 s5, ttmp6, 15
	s_add_co_i32 s4, s4, 1
	s_getreg_b32 s6, hwreg(HW_REG_IB_STS2, 6, 4)
	s_mul_i32 s4, ttmp9, s4
	v_lshrrev_b32_e32 v1, 2, v0
	s_add_co_i32 s5, s5, s4
	s_cmp_eq_u32 s6, 0
	s_cselect_b32 s4, ttmp9, s5
	s_delay_alu instid0(VALU_DEP_1) | instid1(SALU_CYCLE_1)
	v_lshl_or_b32 v2, s4, 5, v1
	s_wait_kmcnt 0x0
	s_delay_alu instid0(VALU_DEP_1)
	v_cmp_gt_i32_e32 vcc_lo, s2, v2
	s_and_saveexec_b32 s2, vcc_lo
	s_cbranch_execz .LBB60_23
; %bb.6:
	s_load_b256 s[4:11], s[0:1], 0x10
	v_ashrrev_i32_e32 v3, 31, v2
	s_cmp_lg_u32 s3, 0
	s_wait_kmcnt 0x0
	s_delay_alu instid0(VALU_DEP_1)
	v_lshl_add_u64 v[4:5], v[2:3], 2, s[4:5]
	v_and_b32_e32 v3, 3, v0
	global_load_b64 v[4:5], v[4:5], off
	s_wait_loadcnt 0x0
	v_subrev_nc_u32_e32 v0, s16, v4
	v_subrev_nc_u32_e32 v8, s16, v5
	s_delay_alu instid0(VALU_DEP_2) | instskip(NEXT) | instid1(VALU_DEP_1)
	v_add_nc_u32_e32 v9, v0, v3
	v_cmp_lt_i32_e64 s2, v9, v8
	s_cbranch_scc0 .LBB60_12
; %bb.7:
	v_mov_b32_e32 v1, 0
	s_delay_alu instid0(VALU_DEP_1)
	v_mov_b32_e32 v0, v1
	s_and_saveexec_b32 s3, s2
	s_cbranch_execz .LBB60_11
; %bb.8:
	v_mad_u32 v4, v9, 28, 26
	v_dual_mov_b32 v7, 0 :: v_dual_mov_b32 v10, v9
	s_mov_b32 s4, 0
	s_delay_alu instid0(VALU_DEP_1)
	v_dual_mov_b32 v0, v7 :: v_dual_mov_b32 v1, v7
.LBB60_9:                               ; =>This Inner Loop Header: Depth=1
	global_load_b32 v5, v10, s[6:7] scale_offset
	v_subrev_nc_u32_e32 v6, 26, v4
	s_wait_xcnt 0x0
	v_add_nc_u32_e32 v10, 4, v10
	s_delay_alu instid0(VALU_DEP_2) | instskip(SKIP_1) | instid1(VALU_DEP_3)
	v_lshl_add_u64 v[18:19], v[6:7], 2, s[8:9]
	v_subrev_nc_u32_e32 v6, 22, v4
	v_cmp_ge_i32_e32 vcc_lo, v10, v8
	s_delay_alu instid0(VALU_DEP_2)
	v_lshl_add_u64 v[20:21], v[6:7], 2, s[8:9]
	s_clause 0x1
	global_load_b128 v[12:15], v[18:19], off
	global_load_b64 v[22:23], v[20:21], off
	s_or_b32 s4, vcc_lo, s4
	s_wait_loadcnt 0x2
	v_subrev_nc_u32_e32 v5, s16, v5
	s_delay_alu instid0(VALU_DEP_1) | instskip(SKIP_1) | instid1(VALU_DEP_2)
	v_mul_lo_u32 v16, v5, 14
	v_dual_mov_b32 v17, v7 :: v_dual_mov_b32 v5, v7
	v_add_nc_u32_e32 v6, 2, v16
	s_wait_xcnt 0x1
	s_delay_alu instid0(VALU_DEP_2) | instskip(SKIP_1) | instid1(VALU_DEP_2)
	v_lshl_add_u64 v[18:19], v[16:17], 2, s[10:11]
	s_wait_xcnt 0x0
	v_lshl_add_u64 v[20:21], v[6:7], 2, s[10:11]
	v_subrev_nc_u32_e32 v6, 20, v4
	s_clause 0x1
	global_load_b64 v[18:19], v[18:19], off
	global_load_b64 v[20:21], v[20:21], off
	v_lshl_add_u64 v[24:25], v[6:7], 2, s[8:9]
	v_subrev_nc_u32_e32 v6, 18, v4
	global_load_b64 v[24:25], v[24:25], off
	v_lshl_add_u64 v[26:27], v[6:7], 2, s[8:9]
	v_add_nc_u32_e32 v6, 4, v16
	global_load_b64 v[26:27], v[26:27], off
	v_lshl_add_u64 v[28:29], v[6:7], 2, s[10:11]
	v_add_nc_u32_e32 v6, -16, v4
	global_load_b64 v[28:29], v[28:29], off
	v_lshl_add_u64 v[30:31], v[6:7], 2, s[8:9]
	v_add_nc_u32_e32 v6, -14, v4
	global_load_b64 v[30:31], v[30:31], off
	v_lshl_add_u64 v[32:33], v[6:7], 2, s[8:9]
	v_add_nc_u32_e32 v6, 6, v16
	global_load_b64 v[32:33], v[32:33], off
	v_lshl_add_u64 v[34:35], v[6:7], 2, s[10:11]
	v_add_nc_u32_e32 v6, -12, v4
	global_load_b64 v[34:35], v[34:35], off
	v_lshl_add_u64 v[36:37], v[6:7], 2, s[8:9]
	v_add_nc_u32_e32 v6, -10, v4
	;; [unrolled: 9-line block ×3, first 2 shown]
	global_load_b64 v[42:43], v[42:43], off
	v_lshl_add_u64 v[44:45], v[6:7], 2, s[8:9]
	v_add_nc_u32_e32 v6, 10, v16
	s_delay_alu instid0(VALU_DEP_1)
	v_lshl_add_u64 v[46:47], v[6:7], 2, s[10:11]
	v_add_nc_u32_e32 v6, -4, v4
	global_load_b64 v[50:51], v[44:45], off
	global_load_b64 v[52:53], v[46:47], off
	v_lshl_add_u64 v[48:49], v[6:7], 2, s[8:9]
	v_add_nc_u32_e32 v6, -2, v4
	s_wait_xcnt 0x1
	s_delay_alu instid0(VALU_DEP_1)
	v_lshl_add_u64 v[44:45], v[6:7], 2, s[8:9]
	v_add_nc_u32_e32 v6, 12, v16
	global_load_b64 v[16:17], v[48:49], off
	s_wait_xcnt 0x0
	v_lshl_add_u64 v[48:49], v[4:5], 2, s[8:9]
	v_add_nc_u32_e32 v4, 0x70, v4
	v_lshl_add_u64 v[46:47], v[6:7], 2, s[10:11]
	global_load_b64 v[54:55], v[44:45], off
	global_load_b64 v[56:57], v[46:47], off
	;; [unrolled: 1-line block ×3, first 2 shown]
	s_wait_loadcnt 0x11
	v_pk_fma_f32 v[0:1], v[12:13], v[18:19], v[0:1] op_sel_hi:[1,0,1]
	s_delay_alu instid0(VALU_DEP_1) | instskip(SKIP_1) | instid1(VALU_DEP_1)
	v_pk_fma_f32 v[0:1], v[14:15], v[18:19], v[0:1] op_sel:[0,1,0]
	s_wait_loadcnt 0x10
	v_pk_fma_f32 v[0:1], v[22:23], v[20:21], v[0:1] op_sel_hi:[1,0,1]
	s_wait_loadcnt 0xf
	s_delay_alu instid0(VALU_DEP_1) | instskip(SKIP_1) | instid1(VALU_DEP_1)
	v_pk_fma_f32 v[0:1], v[24:25], v[20:21], v[0:1] op_sel:[0,1,0]
	s_wait_loadcnt 0xd
	v_pk_fma_f32 v[0:1], v[26:27], v[28:29], v[0:1] op_sel_hi:[1,0,1]
	s_wait_loadcnt 0xc
	;; [unrolled: 5-line block ×6, first 2 shown]
	s_delay_alu instid0(VALU_DEP_1)
	v_pk_fma_f32 v[0:1], v[58:59], v[56:57], v[0:1] op_sel:[0,1,0]
	s_and_not1_b32 exec_lo, exec_lo, s4
	s_cbranch_execnz .LBB60_9
; %bb.10:
	s_or_b32 exec_lo, exec_lo, s4
.LBB60_11:
	s_delay_alu instid0(SALU_CYCLE_1)
	s_or_b32 exec_lo, exec_lo, s3
	s_cbranch_execz .LBB60_13
	s_branch .LBB60_18
.LBB60_12:
                                        ; implicit-def: $vgpr1
.LBB60_13:
	v_mov_b32_e32 v1, 0
	s_delay_alu instid0(VALU_DEP_1)
	v_mov_b32_e32 v0, v1
	s_and_saveexec_b32 s3, s2
	s_cbranch_execz .LBB60_17
; %bb.14:
	v_mad_u32 v6, v9, 28, 27
	v_mov_b32_e32 v5, 0
	s_mov_b32 s2, 0
	s_delay_alu instid0(VALU_DEP_1)
	v_dual_mov_b32 v0, v5 :: v_dual_mov_b32 v1, v5
.LBB60_15:                              ; =>This Inner Loop Header: Depth=1
	global_load_b32 v4, v9, s[6:7] scale_offset
	v_dual_mov_b32 v15, v5 :: v_dual_add_nc_u32 v7, -12, v6
	v_add_nc_u32_e32 v18, -11, v6
	v_subrev_nc_u32_e32 v24, 23, v6
	v_subrev_nc_u32_e32 v32, 22, v6
	;; [unrolled: 1-line block ×4, first 2 shown]
	v_add_nc_u32_e32 v45, -4, v6
	s_clause 0x1
	global_load_b32 v19, v7, s[8:9] scale_offset
	global_load_b32 v23, v18, s[8:9] scale_offset
	v_dual_add_nc_u32 v22, -10, v6 :: v_dual_add_nc_u32 v37, -7, v6
	s_wait_xcnt 0x2
	v_add_nc_u32_e32 v9, 4, v9
	global_load_b32 v25, v22, s[8:9] scale_offset
	s_wait_xcnt 0x1
	v_dual_add_nc_u32 v7, -9, v6 :: v_dual_add_nc_u32 v18, -8, v6
	s_wait_xcnt 0x0
	v_subrev_nc_u32_e32 v22, 20, v6
	v_cmp_ge_i32_e32 vcc_lo, v9, v8
	s_or_b32 s2, vcc_lo, s2
	s_wait_loadcnt 0x3
	v_subrev_nc_u32_e32 v4, s16, v4
	s_delay_alu instid0(VALU_DEP_1) | instskip(SKIP_1) | instid1(VALU_DEP_1)
	v_mul_lo_u32 v14, v4, 14
	v_subrev_nc_u32_e32 v4, 27, v6
	v_lshl_add_u64 v[10:11], v[4:5], 2, s[8:9]
	v_add_nc_u32_e32 v4, -13, v6
	global_load_b128 v[10:13], v[10:11], off
	v_lshl_add_u64 v[16:17], v[14:15], 2, s[10:11]
	global_load_b32 v15, v4, s[8:9] scale_offset
	s_wait_xcnt 0x0
	v_add_nc_u32_e32 v4, 2, v14
	global_load_b64 v[16:17], v[16:17], off
	v_lshl_add_u64 v[20:21], v[4:5], 2, s[10:11]
	v_add_nc_u32_e32 v4, 4, v14
	global_load_b64 v[20:21], v[20:21], off
	v_lshl_add_u64 v[26:27], v[4:5], 2, s[10:11]
	s_clause 0x1
	global_load_b32 v28, v24, s[8:9] scale_offset
	global_load_b32 v29, v7, s[8:9] scale_offset
	v_add_nc_u32_e32 v4, 6, v14
	s_wait_xcnt 0x0
	v_add_nc_u32_e32 v7, -6, v6
	v_subrev_nc_u32_e32 v24, 19, v6
	global_load_b64 v[26:27], v[26:27], off
	s_clause 0x1
	global_load_b32 v30, v32, s[8:9] scale_offset
	global_load_b32 v31, v18, s[8:9] scale_offset
	s_wait_xcnt 0x1
	v_lshl_add_u64 v[32:33], v[4:5], 2, s[10:11]
	s_clause 0x1
	global_load_b32 v34, v36, s[8:9] scale_offset
	global_load_b32 v35, v37, s[8:9] scale_offset
	v_add_nc_u32_e32 v4, 8, v14
	s_wait_xcnt 0x2
	v_add_nc_u32_e32 v18, -5, v6
	global_load_b64 v[32:33], v[32:33], off
	s_clause 0x1
	global_load_b32 v36, v22, s[8:9] scale_offset
	global_load_b32 v37, v7, s[8:9] scale_offset
	v_lshl_add_u64 v[38:39], v[4:5], 2, s[10:11]
	s_clause 0x1
	global_load_b32 v40, v24, s[8:9] scale_offset
	global_load_b32 v41, v18, s[8:9] scale_offset
	v_add_nc_u32_e32 v4, 10, v14
	s_wait_xcnt 0x2
	v_subrev_nc_u32_e32 v7, 17, v6
	s_wait_xcnt 0x0
	v_add_nc_u32_e32 v18, -3, v6
	global_load_b64 v[38:39], v[38:39], off
	s_clause 0x1
	global_load_b32 v42, v44, s[8:9] scale_offset
	global_load_b32 v43, v45, s[8:9] scale_offset
	s_wait_xcnt 0x0
	v_lshl_add_u64 v[44:45], v[4:5], 2, s[10:11]
	v_dual_add_nc_u32 v22, -16, v6 :: v_dual_add_nc_u32 v24, -2, v6
	s_clause 0x1
	global_load_b32 v46, v7, s[8:9] scale_offset
	global_load_b32 v47, v18, s[8:9] scale_offset
	v_add_nc_u32_e32 v4, 12, v14
	global_load_b64 v[44:45], v[44:45], off
	s_clause 0x1
	global_load_b32 v48, v22, s[8:9] scale_offset
	global_load_b32 v49, v24, s[8:9] scale_offset
	s_wait_xcnt 0x4
	v_dual_add_nc_u32 v7, -15, v6 :: v_dual_add_nc_u32 v14, -1, v6
	v_lshl_add_u64 v[50:51], v[4:5], 2, s[10:11]
	v_add_nc_u32_e32 v4, -14, v6
	s_clause 0x1
	global_load_b32 v52, v7, s[8:9] scale_offset
	global_load_b32 v53, v14, s[8:9] scale_offset
	global_load_b64 v[54:55], v[50:51], off
	s_clause 0x1
	global_load_b32 v56, v4, s[8:9] scale_offset
	global_load_b32 v57, v6, s[8:9] scale_offset
	s_wait_xcnt 0x0
	v_add_nc_u32_e32 v6, 0x70, v6
	s_wait_loadcnt 0x1c
	v_dual_mov_b32 v14, v10 :: v_dual_mov_b32 v18, v11
	v_dual_mov_b32 v22, v12 :: v_dual_mov_b32 v24, v13
	s_wait_loadcnt 0x1a
	s_delay_alu instid0(VALU_DEP_2) | instskip(NEXT) | instid1(VALU_DEP_1)
	v_pk_fma_f32 v[0:1], v[14:15], v[16:17], v[0:1] op_sel_hi:[1,0,1]
	v_pk_fma_f32 v[0:1], v[18:19], v[16:17], v[0:1] op_sel:[0,1,0]
	s_wait_loadcnt 0x19
	s_delay_alu instid0(VALU_DEP_1) | instskip(NEXT) | instid1(VALU_DEP_1)
	v_pk_fma_f32 v[0:1], v[22:23], v[20:21], v[0:1] op_sel_hi:[1,0,1]
	v_pk_fma_f32 v[0:1], v[24:25], v[20:21], v[0:1] op_sel:[0,1,0]
	s_wait_loadcnt 0x16
	s_delay_alu instid0(VALU_DEP_1) | instskip(SKIP_1) | instid1(VALU_DEP_1)
	v_pk_fma_f32 v[0:1], v[28:29], v[26:27], v[0:1] op_sel_hi:[1,0,1]
	s_wait_loadcnt 0x14
	v_pk_fma_f32 v[0:1], v[30:31], v[26:27], v[0:1] op_sel:[0,1,0]
	s_wait_loadcnt 0x11
	s_delay_alu instid0(VALU_DEP_1) | instskip(SKIP_1) | instid1(VALU_DEP_1)
	v_pk_fma_f32 v[0:1], v[34:35], v[32:33], v[0:1] op_sel_hi:[1,0,1]
	s_wait_loadcnt 0xf
	;; [unrolled: 5-line block ×5, first 2 shown]
	v_pk_fma_f32 v[0:1], v[56:57], v[54:55], v[0:1] op_sel:[0,1,0]
	s_and_not1_b32 exec_lo, exec_lo, s2
	s_cbranch_execnz .LBB60_15
; %bb.16:
	s_or_b32 exec_lo, exec_lo, s2
.LBB60_17:
	s_delay_alu instid0(SALU_CYCLE_1)
	s_or_b32 exec_lo, exec_lo, s3
.LBB60_18:
	v_mbcnt_lo_u32_b32 v6, -1, 0
	s_mov_b32 s2, -1
	s_delay_alu instid0(VALU_DEP_1) | instskip(SKIP_1) | instid1(VALU_DEP_1)
	v_xor_b32_e32 v7, 1, v6
	v_xor_b32_e32 v4, 2, v6
	v_cmp_gt_i32_e32 vcc_lo, 32, v4
	v_cndmask_b32_e32 v4, v6, v4, vcc_lo
	s_delay_alu instid0(VALU_DEP_4) | instskip(SKIP_2) | instid1(VALU_DEP_2)
	v_cmp_gt_i32_e32 vcc_lo, 32, v7
	v_cndmask_b32_e32 v6, v6, v7, vcc_lo
	v_cmp_eq_u32_e32 vcc_lo, 3, v3
	v_dual_lshlrev_b32 v6, 2, v6 :: v_dual_lshlrev_b32 v5, 2, v4
	ds_bpermute_b32 v4, v5, v0
	ds_bpermute_b32 v5, v5, v1
	s_wait_dscnt 0x0
	v_pk_add_f32 v[0:1], v[0:1], v[4:5]
	ds_bpermute_b32 v4, v6, v0
	ds_bpermute_b32 v5, v6, v1
	s_and_b32 exec_lo, exec_lo, vcc_lo
	s_cbranch_execz .LBB60_23
; %bb.19:
	s_load_b64 s[0:1], s[0:1], 0x38
	s_wait_dscnt 0x0
	v_pk_add_f32 v[0:1], v[0:1], v[4:5]
	v_lshlrev_b32_e32 v2, 1, v2
	s_cmp_eq_f32 s12, 0
	s_cbranch_scc0 .LBB60_21
; %bb.20:
	s_delay_alu instid0(VALU_DEP_1) | instskip(SKIP_3) | instid1(VALU_DEP_2)
	v_ashrrev_i32_e32 v3, 31, v2
	v_pk_mul_f32 v[6:7], s[14:15], v[0:1] op_sel_hi:[0,1]
	s_mov_b32 s2, 0
	s_wait_kmcnt 0x0
	v_lshl_add_u64 v[4:5], v[2:3], 2, s[0:1]
	global_store_b64 v[4:5], v[6:7], off
.LBB60_21:
	s_and_not1_b32 vcc_lo, exec_lo, s2
	s_cbranch_vccnz .LBB60_23
; %bb.22:
	v_ashrrev_i32_e32 v3, 31, v2
	v_pk_mul_f32 v[0:1], s[14:15], v[0:1] op_sel_hi:[0,1]
	s_wait_kmcnt 0x0
	s_delay_alu instid0(VALU_DEP_2)
	v_lshl_add_u64 v[2:3], v[2:3], 2, s[0:1]
	global_load_b64 v[4:5], v[2:3], off
	s_wait_loadcnt 0x0
	v_pk_fma_f32 v[0:1], s[12:13], v[4:5], v[0:1] op_sel_hi:[0,1,1]
	global_store_b64 v[2:3], v[0:1], off
.LBB60_23:
	s_endpgm
	.section	.rodata,"a",@progbits
	.p2align	6, 0x0
	.amdhsa_kernel _ZN9rocsparseL19gebsrmvn_2xn_kernelILj128ELj14ELj4EfEEvi20rocsparse_direction_NS_24const_host_device_scalarIT2_EEPKiS6_PKS3_S8_S4_PS3_21rocsparse_index_base_b
		.amdhsa_group_segment_fixed_size 0
		.amdhsa_private_segment_fixed_size 0
		.amdhsa_kernarg_size 72
		.amdhsa_user_sgpr_count 2
		.amdhsa_user_sgpr_dispatch_ptr 0
		.amdhsa_user_sgpr_queue_ptr 0
		.amdhsa_user_sgpr_kernarg_segment_ptr 1
		.amdhsa_user_sgpr_dispatch_id 0
		.amdhsa_user_sgpr_kernarg_preload_length 0
		.amdhsa_user_sgpr_kernarg_preload_offset 0
		.amdhsa_user_sgpr_private_segment_size 0
		.amdhsa_wavefront_size32 1
		.amdhsa_uses_dynamic_stack 0
		.amdhsa_enable_private_segment 0
		.amdhsa_system_sgpr_workgroup_id_x 1
		.amdhsa_system_sgpr_workgroup_id_y 0
		.amdhsa_system_sgpr_workgroup_id_z 0
		.amdhsa_system_sgpr_workgroup_info 0
		.amdhsa_system_vgpr_workitem_id 0
		.amdhsa_next_free_vgpr 60
		.amdhsa_next_free_sgpr 18
		.amdhsa_named_barrier_count 0
		.amdhsa_reserve_vcc 1
		.amdhsa_float_round_mode_32 0
		.amdhsa_float_round_mode_16_64 0
		.amdhsa_float_denorm_mode_32 3
		.amdhsa_float_denorm_mode_16_64 3
		.amdhsa_fp16_overflow 0
		.amdhsa_memory_ordered 1
		.amdhsa_forward_progress 1
		.amdhsa_inst_pref_size 19
		.amdhsa_round_robin_scheduling 0
		.amdhsa_exception_fp_ieee_invalid_op 0
		.amdhsa_exception_fp_denorm_src 0
		.amdhsa_exception_fp_ieee_div_zero 0
		.amdhsa_exception_fp_ieee_overflow 0
		.amdhsa_exception_fp_ieee_underflow 0
		.amdhsa_exception_fp_ieee_inexact 0
		.amdhsa_exception_int_div_zero 0
	.end_amdhsa_kernel
	.section	.text._ZN9rocsparseL19gebsrmvn_2xn_kernelILj128ELj14ELj4EfEEvi20rocsparse_direction_NS_24const_host_device_scalarIT2_EEPKiS6_PKS3_S8_S4_PS3_21rocsparse_index_base_b,"axG",@progbits,_ZN9rocsparseL19gebsrmvn_2xn_kernelILj128ELj14ELj4EfEEvi20rocsparse_direction_NS_24const_host_device_scalarIT2_EEPKiS6_PKS3_S8_S4_PS3_21rocsparse_index_base_b,comdat
.Lfunc_end60:
	.size	_ZN9rocsparseL19gebsrmvn_2xn_kernelILj128ELj14ELj4EfEEvi20rocsparse_direction_NS_24const_host_device_scalarIT2_EEPKiS6_PKS3_S8_S4_PS3_21rocsparse_index_base_b, .Lfunc_end60-_ZN9rocsparseL19gebsrmvn_2xn_kernelILj128ELj14ELj4EfEEvi20rocsparse_direction_NS_24const_host_device_scalarIT2_EEPKiS6_PKS3_S8_S4_PS3_21rocsparse_index_base_b
                                        ; -- End function
	.set _ZN9rocsparseL19gebsrmvn_2xn_kernelILj128ELj14ELj4EfEEvi20rocsparse_direction_NS_24const_host_device_scalarIT2_EEPKiS6_PKS3_S8_S4_PS3_21rocsparse_index_base_b.num_vgpr, 60
	.set _ZN9rocsparseL19gebsrmvn_2xn_kernelILj128ELj14ELj4EfEEvi20rocsparse_direction_NS_24const_host_device_scalarIT2_EEPKiS6_PKS3_S8_S4_PS3_21rocsparse_index_base_b.num_agpr, 0
	.set _ZN9rocsparseL19gebsrmvn_2xn_kernelILj128ELj14ELj4EfEEvi20rocsparse_direction_NS_24const_host_device_scalarIT2_EEPKiS6_PKS3_S8_S4_PS3_21rocsparse_index_base_b.numbered_sgpr, 18
	.set _ZN9rocsparseL19gebsrmvn_2xn_kernelILj128ELj14ELj4EfEEvi20rocsparse_direction_NS_24const_host_device_scalarIT2_EEPKiS6_PKS3_S8_S4_PS3_21rocsparse_index_base_b.num_named_barrier, 0
	.set _ZN9rocsparseL19gebsrmvn_2xn_kernelILj128ELj14ELj4EfEEvi20rocsparse_direction_NS_24const_host_device_scalarIT2_EEPKiS6_PKS3_S8_S4_PS3_21rocsparse_index_base_b.private_seg_size, 0
	.set _ZN9rocsparseL19gebsrmvn_2xn_kernelILj128ELj14ELj4EfEEvi20rocsparse_direction_NS_24const_host_device_scalarIT2_EEPKiS6_PKS3_S8_S4_PS3_21rocsparse_index_base_b.uses_vcc, 1
	.set _ZN9rocsparseL19gebsrmvn_2xn_kernelILj128ELj14ELj4EfEEvi20rocsparse_direction_NS_24const_host_device_scalarIT2_EEPKiS6_PKS3_S8_S4_PS3_21rocsparse_index_base_b.uses_flat_scratch, 0
	.set _ZN9rocsparseL19gebsrmvn_2xn_kernelILj128ELj14ELj4EfEEvi20rocsparse_direction_NS_24const_host_device_scalarIT2_EEPKiS6_PKS3_S8_S4_PS3_21rocsparse_index_base_b.has_dyn_sized_stack, 0
	.set _ZN9rocsparseL19gebsrmvn_2xn_kernelILj128ELj14ELj4EfEEvi20rocsparse_direction_NS_24const_host_device_scalarIT2_EEPKiS6_PKS3_S8_S4_PS3_21rocsparse_index_base_b.has_recursion, 0
	.set _ZN9rocsparseL19gebsrmvn_2xn_kernelILj128ELj14ELj4EfEEvi20rocsparse_direction_NS_24const_host_device_scalarIT2_EEPKiS6_PKS3_S8_S4_PS3_21rocsparse_index_base_b.has_indirect_call, 0
	.section	.AMDGPU.csdata,"",@progbits
; Kernel info:
; codeLenInByte = 2416
; TotalNumSgprs: 20
; NumVgprs: 60
; ScratchSize: 0
; MemoryBound: 0
; FloatMode: 240
; IeeeMode: 1
; LDSByteSize: 0 bytes/workgroup (compile time only)
; SGPRBlocks: 0
; VGPRBlocks: 3
; NumSGPRsForWavesPerEU: 20
; NumVGPRsForWavesPerEU: 60
; NamedBarCnt: 0
; Occupancy: 16
; WaveLimiterHint : 1
; COMPUTE_PGM_RSRC2:SCRATCH_EN: 0
; COMPUTE_PGM_RSRC2:USER_SGPR: 2
; COMPUTE_PGM_RSRC2:TRAP_HANDLER: 0
; COMPUTE_PGM_RSRC2:TGID_X_EN: 1
; COMPUTE_PGM_RSRC2:TGID_Y_EN: 0
; COMPUTE_PGM_RSRC2:TGID_Z_EN: 0
; COMPUTE_PGM_RSRC2:TIDIG_COMP_CNT: 0
	.section	.text._ZN9rocsparseL19gebsrmvn_2xn_kernelILj128ELj14ELj8EfEEvi20rocsparse_direction_NS_24const_host_device_scalarIT2_EEPKiS6_PKS3_S8_S4_PS3_21rocsparse_index_base_b,"axG",@progbits,_ZN9rocsparseL19gebsrmvn_2xn_kernelILj128ELj14ELj8EfEEvi20rocsparse_direction_NS_24const_host_device_scalarIT2_EEPKiS6_PKS3_S8_S4_PS3_21rocsparse_index_base_b,comdat
	.globl	_ZN9rocsparseL19gebsrmvn_2xn_kernelILj128ELj14ELj8EfEEvi20rocsparse_direction_NS_24const_host_device_scalarIT2_EEPKiS6_PKS3_S8_S4_PS3_21rocsparse_index_base_b ; -- Begin function _ZN9rocsparseL19gebsrmvn_2xn_kernelILj128ELj14ELj8EfEEvi20rocsparse_direction_NS_24const_host_device_scalarIT2_EEPKiS6_PKS3_S8_S4_PS3_21rocsparse_index_base_b
	.p2align	8
	.type	_ZN9rocsparseL19gebsrmvn_2xn_kernelILj128ELj14ELj8EfEEvi20rocsparse_direction_NS_24const_host_device_scalarIT2_EEPKiS6_PKS3_S8_S4_PS3_21rocsparse_index_base_b,@function
_ZN9rocsparseL19gebsrmvn_2xn_kernelILj128ELj14ELj8EfEEvi20rocsparse_direction_NS_24const_host_device_scalarIT2_EEPKiS6_PKS3_S8_S4_PS3_21rocsparse_index_base_b: ; @_ZN9rocsparseL19gebsrmvn_2xn_kernelILj128ELj14ELj8EfEEvi20rocsparse_direction_NS_24const_host_device_scalarIT2_EEPKiS6_PKS3_S8_S4_PS3_21rocsparse_index_base_b
; %bb.0:
	s_clause 0x2
	s_load_b64 s[16:17], s[0:1], 0x40
	s_load_b64 s[14:15], s[0:1], 0x8
	;; [unrolled: 1-line block ×3, first 2 shown]
	s_wait_kmcnt 0x0
	s_bitcmp1_b32 s17, 0
	s_cselect_b32 s2, -1, 0
	s_delay_alu instid0(SALU_CYCLE_1)
	s_and_b32 vcc_lo, exec_lo, s2
	s_xor_b32 s2, s2, -1
	s_cbranch_vccnz .LBB61_2
; %bb.1:
	s_load_b32 s14, s[14:15], 0x0
.LBB61_2:
	s_and_not1_b32 vcc_lo, exec_lo, s2
	s_cbranch_vccnz .LBB61_4
; %bb.3:
	s_load_b32 s12, s[12:13], 0x0
.LBB61_4:
	s_wait_kmcnt 0x0
	s_cmp_eq_f32 s14, 0
	s_cselect_b32 s2, -1, 0
	s_cmp_eq_f32 s12, 1.0
	s_cselect_b32 s3, -1, 0
	s_delay_alu instid0(SALU_CYCLE_1) | instskip(NEXT) | instid1(SALU_CYCLE_1)
	s_and_b32 s2, s2, s3
	s_and_b32 vcc_lo, exec_lo, s2
	s_cbranch_vccnz .LBB61_23
; %bb.5:
	s_load_b64 s[2:3], s[0:1], 0x0
	s_bfe_u32 s4, ttmp6, 0x4000c
	s_and_b32 s5, ttmp6, 15
	s_add_co_i32 s4, s4, 1
	s_getreg_b32 s6, hwreg(HW_REG_IB_STS2, 6, 4)
	s_mul_i32 s4, ttmp9, s4
	v_lshrrev_b32_e32 v1, 3, v0
	s_add_co_i32 s5, s5, s4
	s_cmp_eq_u32 s6, 0
	s_cselect_b32 s4, ttmp9, s5
	s_delay_alu instid0(VALU_DEP_1) | instid1(SALU_CYCLE_1)
	v_lshl_or_b32 v2, s4, 4, v1
	s_wait_kmcnt 0x0
	s_delay_alu instid0(VALU_DEP_1)
	v_cmp_gt_i32_e32 vcc_lo, s2, v2
	s_and_saveexec_b32 s2, vcc_lo
	s_cbranch_execz .LBB61_23
; %bb.6:
	s_load_b256 s[4:11], s[0:1], 0x10
	v_ashrrev_i32_e32 v3, 31, v2
	s_cmp_lg_u32 s3, 0
	s_wait_kmcnt 0x0
	s_delay_alu instid0(VALU_DEP_1)
	v_lshl_add_u64 v[4:5], v[2:3], 2, s[4:5]
	v_and_b32_e32 v3, 7, v0
	global_load_b64 v[4:5], v[4:5], off
	s_wait_loadcnt 0x0
	v_subrev_nc_u32_e32 v0, s16, v4
	v_subrev_nc_u32_e32 v8, s16, v5
	s_delay_alu instid0(VALU_DEP_2) | instskip(NEXT) | instid1(VALU_DEP_1)
	v_add_nc_u32_e32 v9, v0, v3
	v_cmp_lt_i32_e64 s2, v9, v8
	s_cbranch_scc0 .LBB61_12
; %bb.7:
	v_mov_b32_e32 v1, 0
	s_delay_alu instid0(VALU_DEP_1)
	v_mov_b32_e32 v0, v1
	s_and_saveexec_b32 s3, s2
	s_cbranch_execz .LBB61_11
; %bb.8:
	v_mad_u32 v4, v9, 28, 26
	v_dual_mov_b32 v7, 0 :: v_dual_mov_b32 v10, v9
	s_mov_b32 s4, 0
	s_delay_alu instid0(VALU_DEP_1)
	v_dual_mov_b32 v0, v7 :: v_dual_mov_b32 v1, v7
.LBB61_9:                               ; =>This Inner Loop Header: Depth=1
	global_load_b32 v5, v10, s[6:7] scale_offset
	v_subrev_nc_u32_e32 v6, 26, v4
	s_wait_xcnt 0x0
	v_add_nc_u32_e32 v10, 8, v10
	s_delay_alu instid0(VALU_DEP_2) | instskip(SKIP_1) | instid1(VALU_DEP_3)
	v_lshl_add_u64 v[18:19], v[6:7], 2, s[8:9]
	v_subrev_nc_u32_e32 v6, 22, v4
	v_cmp_ge_i32_e32 vcc_lo, v10, v8
	s_delay_alu instid0(VALU_DEP_2)
	v_lshl_add_u64 v[20:21], v[6:7], 2, s[8:9]
	s_clause 0x1
	global_load_b128 v[12:15], v[18:19], off
	global_load_b64 v[22:23], v[20:21], off
	s_or_b32 s4, vcc_lo, s4
	s_wait_loadcnt 0x2
	v_subrev_nc_u32_e32 v5, s16, v5
	s_delay_alu instid0(VALU_DEP_1) | instskip(SKIP_1) | instid1(VALU_DEP_2)
	v_mul_lo_u32 v16, v5, 14
	v_dual_mov_b32 v17, v7 :: v_dual_mov_b32 v5, v7
	v_add_nc_u32_e32 v6, 2, v16
	s_wait_xcnt 0x1
	s_delay_alu instid0(VALU_DEP_2) | instskip(SKIP_1) | instid1(VALU_DEP_2)
	v_lshl_add_u64 v[18:19], v[16:17], 2, s[10:11]
	s_wait_xcnt 0x0
	v_lshl_add_u64 v[20:21], v[6:7], 2, s[10:11]
	v_subrev_nc_u32_e32 v6, 20, v4
	s_clause 0x1
	global_load_b64 v[18:19], v[18:19], off
	global_load_b64 v[20:21], v[20:21], off
	v_lshl_add_u64 v[24:25], v[6:7], 2, s[8:9]
	v_subrev_nc_u32_e32 v6, 18, v4
	global_load_b64 v[24:25], v[24:25], off
	v_lshl_add_u64 v[26:27], v[6:7], 2, s[8:9]
	v_add_nc_u32_e32 v6, 4, v16
	global_load_b64 v[26:27], v[26:27], off
	v_lshl_add_u64 v[28:29], v[6:7], 2, s[10:11]
	v_add_nc_u32_e32 v6, -16, v4
	global_load_b64 v[28:29], v[28:29], off
	v_lshl_add_u64 v[30:31], v[6:7], 2, s[8:9]
	v_add_nc_u32_e32 v6, -14, v4
	global_load_b64 v[30:31], v[30:31], off
	v_lshl_add_u64 v[32:33], v[6:7], 2, s[8:9]
	v_add_nc_u32_e32 v6, 6, v16
	global_load_b64 v[32:33], v[32:33], off
	v_lshl_add_u64 v[34:35], v[6:7], 2, s[10:11]
	v_add_nc_u32_e32 v6, -12, v4
	global_load_b64 v[34:35], v[34:35], off
	v_lshl_add_u64 v[36:37], v[6:7], 2, s[8:9]
	v_add_nc_u32_e32 v6, -10, v4
	;; [unrolled: 9-line block ×3, first 2 shown]
	global_load_b64 v[42:43], v[42:43], off
	v_lshl_add_u64 v[44:45], v[6:7], 2, s[8:9]
	v_add_nc_u32_e32 v6, 10, v16
	s_delay_alu instid0(VALU_DEP_1)
	v_lshl_add_u64 v[46:47], v[6:7], 2, s[10:11]
	v_add_nc_u32_e32 v6, -4, v4
	global_load_b64 v[50:51], v[44:45], off
	global_load_b64 v[52:53], v[46:47], off
	v_lshl_add_u64 v[48:49], v[6:7], 2, s[8:9]
	v_add_nc_u32_e32 v6, -2, v4
	s_wait_xcnt 0x1
	s_delay_alu instid0(VALU_DEP_1)
	v_lshl_add_u64 v[44:45], v[6:7], 2, s[8:9]
	v_add_nc_u32_e32 v6, 12, v16
	global_load_b64 v[16:17], v[48:49], off
	s_wait_xcnt 0x0
	v_lshl_add_u64 v[48:49], v[4:5], 2, s[8:9]
	v_add_nc_u32_e32 v4, 0xe0, v4
	v_lshl_add_u64 v[46:47], v[6:7], 2, s[10:11]
	global_load_b64 v[54:55], v[44:45], off
	global_load_b64 v[56:57], v[46:47], off
	;; [unrolled: 1-line block ×3, first 2 shown]
	s_wait_loadcnt 0x11
	v_pk_fma_f32 v[0:1], v[12:13], v[18:19], v[0:1] op_sel_hi:[1,0,1]
	s_delay_alu instid0(VALU_DEP_1) | instskip(SKIP_1) | instid1(VALU_DEP_1)
	v_pk_fma_f32 v[0:1], v[14:15], v[18:19], v[0:1] op_sel:[0,1,0]
	s_wait_loadcnt 0x10
	v_pk_fma_f32 v[0:1], v[22:23], v[20:21], v[0:1] op_sel_hi:[1,0,1]
	s_wait_loadcnt 0xf
	s_delay_alu instid0(VALU_DEP_1) | instskip(SKIP_1) | instid1(VALU_DEP_1)
	v_pk_fma_f32 v[0:1], v[24:25], v[20:21], v[0:1] op_sel:[0,1,0]
	s_wait_loadcnt 0xd
	v_pk_fma_f32 v[0:1], v[26:27], v[28:29], v[0:1] op_sel_hi:[1,0,1]
	s_wait_loadcnt 0xc
	;; [unrolled: 5-line block ×6, first 2 shown]
	s_delay_alu instid0(VALU_DEP_1)
	v_pk_fma_f32 v[0:1], v[58:59], v[56:57], v[0:1] op_sel:[0,1,0]
	s_and_not1_b32 exec_lo, exec_lo, s4
	s_cbranch_execnz .LBB61_9
; %bb.10:
	s_or_b32 exec_lo, exec_lo, s4
.LBB61_11:
	s_delay_alu instid0(SALU_CYCLE_1)
	s_or_b32 exec_lo, exec_lo, s3
	s_cbranch_execz .LBB61_13
	s_branch .LBB61_18
.LBB61_12:
                                        ; implicit-def: $vgpr1
.LBB61_13:
	v_mov_b32_e32 v1, 0
	s_delay_alu instid0(VALU_DEP_1)
	v_mov_b32_e32 v0, v1
	s_and_saveexec_b32 s3, s2
	s_cbranch_execz .LBB61_17
; %bb.14:
	v_mad_u32 v6, v9, 28, 27
	v_mov_b32_e32 v5, 0
	s_mov_b32 s2, 0
	s_delay_alu instid0(VALU_DEP_1)
	v_dual_mov_b32 v0, v5 :: v_dual_mov_b32 v1, v5
.LBB61_15:                              ; =>This Inner Loop Header: Depth=1
	global_load_b32 v4, v9, s[6:7] scale_offset
	v_dual_mov_b32 v15, v5 :: v_dual_add_nc_u32 v7, -12, v6
	v_add_nc_u32_e32 v18, -11, v6
	v_subrev_nc_u32_e32 v24, 23, v6
	v_subrev_nc_u32_e32 v32, 22, v6
	;; [unrolled: 1-line block ×4, first 2 shown]
	v_add_nc_u32_e32 v45, -4, v6
	s_clause 0x1
	global_load_b32 v19, v7, s[8:9] scale_offset
	global_load_b32 v23, v18, s[8:9] scale_offset
	v_dual_add_nc_u32 v22, -10, v6 :: v_dual_add_nc_u32 v37, -7, v6
	s_wait_xcnt 0x2
	v_add_nc_u32_e32 v9, 8, v9
	global_load_b32 v25, v22, s[8:9] scale_offset
	s_wait_xcnt 0x1
	v_dual_add_nc_u32 v7, -9, v6 :: v_dual_add_nc_u32 v18, -8, v6
	s_wait_xcnt 0x0
	v_subrev_nc_u32_e32 v22, 20, v6
	v_cmp_ge_i32_e32 vcc_lo, v9, v8
	s_or_b32 s2, vcc_lo, s2
	s_wait_loadcnt 0x3
	v_subrev_nc_u32_e32 v4, s16, v4
	s_delay_alu instid0(VALU_DEP_1) | instskip(SKIP_1) | instid1(VALU_DEP_1)
	v_mul_lo_u32 v14, v4, 14
	v_subrev_nc_u32_e32 v4, 27, v6
	v_lshl_add_u64 v[10:11], v[4:5], 2, s[8:9]
	v_add_nc_u32_e32 v4, -13, v6
	global_load_b128 v[10:13], v[10:11], off
	v_lshl_add_u64 v[16:17], v[14:15], 2, s[10:11]
	global_load_b32 v15, v4, s[8:9] scale_offset
	s_wait_xcnt 0x0
	v_add_nc_u32_e32 v4, 2, v14
	global_load_b64 v[16:17], v[16:17], off
	v_lshl_add_u64 v[20:21], v[4:5], 2, s[10:11]
	v_add_nc_u32_e32 v4, 4, v14
	global_load_b64 v[20:21], v[20:21], off
	v_lshl_add_u64 v[26:27], v[4:5], 2, s[10:11]
	s_clause 0x1
	global_load_b32 v28, v24, s[8:9] scale_offset
	global_load_b32 v29, v7, s[8:9] scale_offset
	v_add_nc_u32_e32 v4, 6, v14
	s_wait_xcnt 0x0
	v_add_nc_u32_e32 v7, -6, v6
	v_subrev_nc_u32_e32 v24, 19, v6
	global_load_b64 v[26:27], v[26:27], off
	s_clause 0x1
	global_load_b32 v30, v32, s[8:9] scale_offset
	global_load_b32 v31, v18, s[8:9] scale_offset
	s_wait_xcnt 0x1
	v_lshl_add_u64 v[32:33], v[4:5], 2, s[10:11]
	s_clause 0x1
	global_load_b32 v34, v36, s[8:9] scale_offset
	global_load_b32 v35, v37, s[8:9] scale_offset
	v_add_nc_u32_e32 v4, 8, v14
	s_wait_xcnt 0x2
	v_add_nc_u32_e32 v18, -5, v6
	global_load_b64 v[32:33], v[32:33], off
	s_clause 0x1
	global_load_b32 v36, v22, s[8:9] scale_offset
	global_load_b32 v37, v7, s[8:9] scale_offset
	v_lshl_add_u64 v[38:39], v[4:5], 2, s[10:11]
	s_clause 0x1
	global_load_b32 v40, v24, s[8:9] scale_offset
	global_load_b32 v41, v18, s[8:9] scale_offset
	v_add_nc_u32_e32 v4, 10, v14
	s_wait_xcnt 0x2
	v_subrev_nc_u32_e32 v7, 17, v6
	s_wait_xcnt 0x0
	v_add_nc_u32_e32 v18, -3, v6
	global_load_b64 v[38:39], v[38:39], off
	s_clause 0x1
	global_load_b32 v42, v44, s[8:9] scale_offset
	global_load_b32 v43, v45, s[8:9] scale_offset
	s_wait_xcnt 0x0
	v_lshl_add_u64 v[44:45], v[4:5], 2, s[10:11]
	v_dual_add_nc_u32 v22, -16, v6 :: v_dual_add_nc_u32 v24, -2, v6
	s_clause 0x1
	global_load_b32 v46, v7, s[8:9] scale_offset
	global_load_b32 v47, v18, s[8:9] scale_offset
	v_add_nc_u32_e32 v4, 12, v14
	global_load_b64 v[44:45], v[44:45], off
	s_clause 0x1
	global_load_b32 v48, v22, s[8:9] scale_offset
	global_load_b32 v49, v24, s[8:9] scale_offset
	s_wait_xcnt 0x4
	v_dual_add_nc_u32 v7, -15, v6 :: v_dual_add_nc_u32 v14, -1, v6
	v_lshl_add_u64 v[50:51], v[4:5], 2, s[10:11]
	v_add_nc_u32_e32 v4, -14, v6
	s_clause 0x1
	global_load_b32 v52, v7, s[8:9] scale_offset
	global_load_b32 v53, v14, s[8:9] scale_offset
	global_load_b64 v[54:55], v[50:51], off
	s_clause 0x1
	global_load_b32 v56, v4, s[8:9] scale_offset
	global_load_b32 v57, v6, s[8:9] scale_offset
	s_wait_xcnt 0x0
	v_add_nc_u32_e32 v6, 0xe0, v6
	s_wait_loadcnt 0x1c
	v_dual_mov_b32 v14, v10 :: v_dual_mov_b32 v18, v11
	v_dual_mov_b32 v22, v12 :: v_dual_mov_b32 v24, v13
	s_wait_loadcnt 0x1a
	s_delay_alu instid0(VALU_DEP_2) | instskip(NEXT) | instid1(VALU_DEP_1)
	v_pk_fma_f32 v[0:1], v[14:15], v[16:17], v[0:1] op_sel_hi:[1,0,1]
	v_pk_fma_f32 v[0:1], v[18:19], v[16:17], v[0:1] op_sel:[0,1,0]
	s_wait_loadcnt 0x19
	s_delay_alu instid0(VALU_DEP_1) | instskip(NEXT) | instid1(VALU_DEP_1)
	v_pk_fma_f32 v[0:1], v[22:23], v[20:21], v[0:1] op_sel_hi:[1,0,1]
	v_pk_fma_f32 v[0:1], v[24:25], v[20:21], v[0:1] op_sel:[0,1,0]
	s_wait_loadcnt 0x16
	s_delay_alu instid0(VALU_DEP_1) | instskip(SKIP_1) | instid1(VALU_DEP_1)
	v_pk_fma_f32 v[0:1], v[28:29], v[26:27], v[0:1] op_sel_hi:[1,0,1]
	s_wait_loadcnt 0x14
	v_pk_fma_f32 v[0:1], v[30:31], v[26:27], v[0:1] op_sel:[0,1,0]
	s_wait_loadcnt 0x11
	s_delay_alu instid0(VALU_DEP_1) | instskip(SKIP_1) | instid1(VALU_DEP_1)
	v_pk_fma_f32 v[0:1], v[34:35], v[32:33], v[0:1] op_sel_hi:[1,0,1]
	s_wait_loadcnt 0xf
	;; [unrolled: 5-line block ×5, first 2 shown]
	v_pk_fma_f32 v[0:1], v[56:57], v[54:55], v[0:1] op_sel:[0,1,0]
	s_and_not1_b32 exec_lo, exec_lo, s2
	s_cbranch_execnz .LBB61_15
; %bb.16:
	s_or_b32 exec_lo, exec_lo, s2
.LBB61_17:
	s_delay_alu instid0(SALU_CYCLE_1)
	s_or_b32 exec_lo, exec_lo, s3
.LBB61_18:
	v_mbcnt_lo_u32_b32 v6, -1, 0
	s_mov_b32 s2, -1
	s_delay_alu instid0(VALU_DEP_1) | instskip(SKIP_1) | instid1(VALU_DEP_1)
	v_xor_b32_e32 v7, 2, v6
	v_xor_b32_e32 v4, 4, v6
	v_cmp_gt_i32_e32 vcc_lo, 32, v4
	v_cndmask_b32_e32 v4, v6, v4, vcc_lo
	s_delay_alu instid0(VALU_DEP_4) | instskip(SKIP_1) | instid1(VALU_DEP_1)
	v_cmp_gt_i32_e32 vcc_lo, 32, v7
	v_cndmask_b32_e32 v7, v6, v7, vcc_lo
	v_dual_lshlrev_b32 v7, 2, v7 :: v_dual_lshlrev_b32 v5, 2, v4
	ds_bpermute_b32 v4, v5, v0
	ds_bpermute_b32 v5, v5, v1
	s_wait_dscnt 0x0
	v_pk_add_f32 v[0:1], v[0:1], v[4:5]
	ds_bpermute_b32 v4, v7, v0
	ds_bpermute_b32 v5, v7, v1
	v_xor_b32_e32 v7, 1, v6
	s_delay_alu instid0(VALU_DEP_1) | instskip(SKIP_2) | instid1(VALU_DEP_2)
	v_cmp_gt_i32_e32 vcc_lo, 32, v7
	v_cndmask_b32_e32 v6, v6, v7, vcc_lo
	v_cmp_eq_u32_e32 vcc_lo, 7, v3
	v_lshlrev_b32_e32 v6, 2, v6
	s_wait_dscnt 0x0
	v_pk_add_f32 v[0:1], v[0:1], v[4:5]
	ds_bpermute_b32 v4, v6, v0
	ds_bpermute_b32 v5, v6, v1
	s_and_b32 exec_lo, exec_lo, vcc_lo
	s_cbranch_execz .LBB61_23
; %bb.19:
	s_load_b64 s[0:1], s[0:1], 0x38
	s_wait_dscnt 0x0
	v_pk_add_f32 v[0:1], v[0:1], v[4:5]
	v_lshlrev_b32_e32 v2, 1, v2
	s_cmp_eq_f32 s12, 0
	s_cbranch_scc0 .LBB61_21
; %bb.20:
	s_delay_alu instid0(VALU_DEP_1) | instskip(SKIP_3) | instid1(VALU_DEP_2)
	v_ashrrev_i32_e32 v3, 31, v2
	v_pk_mul_f32 v[6:7], s[14:15], v[0:1] op_sel_hi:[0,1]
	s_mov_b32 s2, 0
	s_wait_kmcnt 0x0
	v_lshl_add_u64 v[4:5], v[2:3], 2, s[0:1]
	global_store_b64 v[4:5], v[6:7], off
.LBB61_21:
	s_and_not1_b32 vcc_lo, exec_lo, s2
	s_cbranch_vccnz .LBB61_23
; %bb.22:
	v_ashrrev_i32_e32 v3, 31, v2
	v_pk_mul_f32 v[0:1], s[14:15], v[0:1] op_sel_hi:[0,1]
	s_wait_kmcnt 0x0
	s_delay_alu instid0(VALU_DEP_2)
	v_lshl_add_u64 v[2:3], v[2:3], 2, s[0:1]
	global_load_b64 v[4:5], v[2:3], off
	s_wait_loadcnt 0x0
	v_pk_fma_f32 v[0:1], s[12:13], v[4:5], v[0:1] op_sel_hi:[0,1,1]
	global_store_b64 v[2:3], v[0:1], off
.LBB61_23:
	s_endpgm
	.section	.rodata,"a",@progbits
	.p2align	6, 0x0
	.amdhsa_kernel _ZN9rocsparseL19gebsrmvn_2xn_kernelILj128ELj14ELj8EfEEvi20rocsparse_direction_NS_24const_host_device_scalarIT2_EEPKiS6_PKS3_S8_S4_PS3_21rocsparse_index_base_b
		.amdhsa_group_segment_fixed_size 0
		.amdhsa_private_segment_fixed_size 0
		.amdhsa_kernarg_size 72
		.amdhsa_user_sgpr_count 2
		.amdhsa_user_sgpr_dispatch_ptr 0
		.amdhsa_user_sgpr_queue_ptr 0
		.amdhsa_user_sgpr_kernarg_segment_ptr 1
		.amdhsa_user_sgpr_dispatch_id 0
		.amdhsa_user_sgpr_kernarg_preload_length 0
		.amdhsa_user_sgpr_kernarg_preload_offset 0
		.amdhsa_user_sgpr_private_segment_size 0
		.amdhsa_wavefront_size32 1
		.amdhsa_uses_dynamic_stack 0
		.amdhsa_enable_private_segment 0
		.amdhsa_system_sgpr_workgroup_id_x 1
		.amdhsa_system_sgpr_workgroup_id_y 0
		.amdhsa_system_sgpr_workgroup_id_z 0
		.amdhsa_system_sgpr_workgroup_info 0
		.amdhsa_system_vgpr_workitem_id 0
		.amdhsa_next_free_vgpr 60
		.amdhsa_next_free_sgpr 18
		.amdhsa_named_barrier_count 0
		.amdhsa_reserve_vcc 1
		.amdhsa_float_round_mode_32 0
		.amdhsa_float_round_mode_16_64 0
		.amdhsa_float_denorm_mode_32 3
		.amdhsa_float_denorm_mode_16_64 3
		.amdhsa_fp16_overflow 0
		.amdhsa_memory_ordered 1
		.amdhsa_forward_progress 1
		.amdhsa_inst_pref_size 20
		.amdhsa_round_robin_scheduling 0
		.amdhsa_exception_fp_ieee_invalid_op 0
		.amdhsa_exception_fp_denorm_src 0
		.amdhsa_exception_fp_ieee_div_zero 0
		.amdhsa_exception_fp_ieee_overflow 0
		.amdhsa_exception_fp_ieee_underflow 0
		.amdhsa_exception_fp_ieee_inexact 0
		.amdhsa_exception_int_div_zero 0
	.end_amdhsa_kernel
	.section	.text._ZN9rocsparseL19gebsrmvn_2xn_kernelILj128ELj14ELj8EfEEvi20rocsparse_direction_NS_24const_host_device_scalarIT2_EEPKiS6_PKS3_S8_S4_PS3_21rocsparse_index_base_b,"axG",@progbits,_ZN9rocsparseL19gebsrmvn_2xn_kernelILj128ELj14ELj8EfEEvi20rocsparse_direction_NS_24const_host_device_scalarIT2_EEPKiS6_PKS3_S8_S4_PS3_21rocsparse_index_base_b,comdat
.Lfunc_end61:
	.size	_ZN9rocsparseL19gebsrmvn_2xn_kernelILj128ELj14ELj8EfEEvi20rocsparse_direction_NS_24const_host_device_scalarIT2_EEPKiS6_PKS3_S8_S4_PS3_21rocsparse_index_base_b, .Lfunc_end61-_ZN9rocsparseL19gebsrmvn_2xn_kernelILj128ELj14ELj8EfEEvi20rocsparse_direction_NS_24const_host_device_scalarIT2_EEPKiS6_PKS3_S8_S4_PS3_21rocsparse_index_base_b
                                        ; -- End function
	.set _ZN9rocsparseL19gebsrmvn_2xn_kernelILj128ELj14ELj8EfEEvi20rocsparse_direction_NS_24const_host_device_scalarIT2_EEPKiS6_PKS3_S8_S4_PS3_21rocsparse_index_base_b.num_vgpr, 60
	.set _ZN9rocsparseL19gebsrmvn_2xn_kernelILj128ELj14ELj8EfEEvi20rocsparse_direction_NS_24const_host_device_scalarIT2_EEPKiS6_PKS3_S8_S4_PS3_21rocsparse_index_base_b.num_agpr, 0
	.set _ZN9rocsparseL19gebsrmvn_2xn_kernelILj128ELj14ELj8EfEEvi20rocsparse_direction_NS_24const_host_device_scalarIT2_EEPKiS6_PKS3_S8_S4_PS3_21rocsparse_index_base_b.numbered_sgpr, 18
	.set _ZN9rocsparseL19gebsrmvn_2xn_kernelILj128ELj14ELj8EfEEvi20rocsparse_direction_NS_24const_host_device_scalarIT2_EEPKiS6_PKS3_S8_S4_PS3_21rocsparse_index_base_b.num_named_barrier, 0
	.set _ZN9rocsparseL19gebsrmvn_2xn_kernelILj128ELj14ELj8EfEEvi20rocsparse_direction_NS_24const_host_device_scalarIT2_EEPKiS6_PKS3_S8_S4_PS3_21rocsparse_index_base_b.private_seg_size, 0
	.set _ZN9rocsparseL19gebsrmvn_2xn_kernelILj128ELj14ELj8EfEEvi20rocsparse_direction_NS_24const_host_device_scalarIT2_EEPKiS6_PKS3_S8_S4_PS3_21rocsparse_index_base_b.uses_vcc, 1
	.set _ZN9rocsparseL19gebsrmvn_2xn_kernelILj128ELj14ELj8EfEEvi20rocsparse_direction_NS_24const_host_device_scalarIT2_EEPKiS6_PKS3_S8_S4_PS3_21rocsparse_index_base_b.uses_flat_scratch, 0
	.set _ZN9rocsparseL19gebsrmvn_2xn_kernelILj128ELj14ELj8EfEEvi20rocsparse_direction_NS_24const_host_device_scalarIT2_EEPKiS6_PKS3_S8_S4_PS3_21rocsparse_index_base_b.has_dyn_sized_stack, 0
	.set _ZN9rocsparseL19gebsrmvn_2xn_kernelILj128ELj14ELj8EfEEvi20rocsparse_direction_NS_24const_host_device_scalarIT2_EEPKiS6_PKS3_S8_S4_PS3_21rocsparse_index_base_b.has_recursion, 0
	.set _ZN9rocsparseL19gebsrmvn_2xn_kernelILj128ELj14ELj8EfEEvi20rocsparse_direction_NS_24const_host_device_scalarIT2_EEPKiS6_PKS3_S8_S4_PS3_21rocsparse_index_base_b.has_indirect_call, 0
	.section	.AMDGPU.csdata,"",@progbits
; Kernel info:
; codeLenInByte = 2464
; TotalNumSgprs: 20
; NumVgprs: 60
; ScratchSize: 0
; MemoryBound: 0
; FloatMode: 240
; IeeeMode: 1
; LDSByteSize: 0 bytes/workgroup (compile time only)
; SGPRBlocks: 0
; VGPRBlocks: 3
; NumSGPRsForWavesPerEU: 20
; NumVGPRsForWavesPerEU: 60
; NamedBarCnt: 0
; Occupancy: 16
; WaveLimiterHint : 1
; COMPUTE_PGM_RSRC2:SCRATCH_EN: 0
; COMPUTE_PGM_RSRC2:USER_SGPR: 2
; COMPUTE_PGM_RSRC2:TRAP_HANDLER: 0
; COMPUTE_PGM_RSRC2:TGID_X_EN: 1
; COMPUTE_PGM_RSRC2:TGID_Y_EN: 0
; COMPUTE_PGM_RSRC2:TGID_Z_EN: 0
; COMPUTE_PGM_RSRC2:TIDIG_COMP_CNT: 0
	.section	.text._ZN9rocsparseL19gebsrmvn_2xn_kernelILj128ELj14ELj16EfEEvi20rocsparse_direction_NS_24const_host_device_scalarIT2_EEPKiS6_PKS3_S8_S4_PS3_21rocsparse_index_base_b,"axG",@progbits,_ZN9rocsparseL19gebsrmvn_2xn_kernelILj128ELj14ELj16EfEEvi20rocsparse_direction_NS_24const_host_device_scalarIT2_EEPKiS6_PKS3_S8_S4_PS3_21rocsparse_index_base_b,comdat
	.globl	_ZN9rocsparseL19gebsrmvn_2xn_kernelILj128ELj14ELj16EfEEvi20rocsparse_direction_NS_24const_host_device_scalarIT2_EEPKiS6_PKS3_S8_S4_PS3_21rocsparse_index_base_b ; -- Begin function _ZN9rocsparseL19gebsrmvn_2xn_kernelILj128ELj14ELj16EfEEvi20rocsparse_direction_NS_24const_host_device_scalarIT2_EEPKiS6_PKS3_S8_S4_PS3_21rocsparse_index_base_b
	.p2align	8
	.type	_ZN9rocsparseL19gebsrmvn_2xn_kernelILj128ELj14ELj16EfEEvi20rocsparse_direction_NS_24const_host_device_scalarIT2_EEPKiS6_PKS3_S8_S4_PS3_21rocsparse_index_base_b,@function
_ZN9rocsparseL19gebsrmvn_2xn_kernelILj128ELj14ELj16EfEEvi20rocsparse_direction_NS_24const_host_device_scalarIT2_EEPKiS6_PKS3_S8_S4_PS3_21rocsparse_index_base_b: ; @_ZN9rocsparseL19gebsrmvn_2xn_kernelILj128ELj14ELj16EfEEvi20rocsparse_direction_NS_24const_host_device_scalarIT2_EEPKiS6_PKS3_S8_S4_PS3_21rocsparse_index_base_b
; %bb.0:
	s_clause 0x2
	s_load_b64 s[16:17], s[0:1], 0x40
	s_load_b64 s[14:15], s[0:1], 0x8
	;; [unrolled: 1-line block ×3, first 2 shown]
	s_wait_kmcnt 0x0
	s_bitcmp1_b32 s17, 0
	s_cselect_b32 s2, -1, 0
	s_delay_alu instid0(SALU_CYCLE_1)
	s_and_b32 vcc_lo, exec_lo, s2
	s_xor_b32 s2, s2, -1
	s_cbranch_vccnz .LBB62_2
; %bb.1:
	s_load_b32 s14, s[14:15], 0x0
.LBB62_2:
	s_and_not1_b32 vcc_lo, exec_lo, s2
	s_cbranch_vccnz .LBB62_4
; %bb.3:
	s_load_b32 s12, s[12:13], 0x0
.LBB62_4:
	s_wait_kmcnt 0x0
	s_cmp_eq_f32 s14, 0
	s_cselect_b32 s2, -1, 0
	s_cmp_eq_f32 s12, 1.0
	s_cselect_b32 s3, -1, 0
	s_delay_alu instid0(SALU_CYCLE_1) | instskip(NEXT) | instid1(SALU_CYCLE_1)
	s_and_b32 s2, s2, s3
	s_and_b32 vcc_lo, exec_lo, s2
	s_cbranch_vccnz .LBB62_23
; %bb.5:
	s_load_b64 s[2:3], s[0:1], 0x0
	s_bfe_u32 s4, ttmp6, 0x4000c
	s_and_b32 s5, ttmp6, 15
	s_add_co_i32 s4, s4, 1
	s_getreg_b32 s6, hwreg(HW_REG_IB_STS2, 6, 4)
	s_mul_i32 s4, ttmp9, s4
	v_lshrrev_b32_e32 v1, 4, v0
	s_add_co_i32 s5, s5, s4
	s_cmp_eq_u32 s6, 0
	s_cselect_b32 s4, ttmp9, s5
	s_delay_alu instid0(VALU_DEP_1) | instid1(SALU_CYCLE_1)
	v_lshl_or_b32 v2, s4, 3, v1
	s_wait_kmcnt 0x0
	s_delay_alu instid0(VALU_DEP_1)
	v_cmp_gt_i32_e32 vcc_lo, s2, v2
	s_and_saveexec_b32 s2, vcc_lo
	s_cbranch_execz .LBB62_23
; %bb.6:
	s_load_b256 s[4:11], s[0:1], 0x10
	v_ashrrev_i32_e32 v3, 31, v2
	s_cmp_lg_u32 s3, 0
	s_wait_kmcnt 0x0
	s_delay_alu instid0(VALU_DEP_1)
	v_lshl_add_u64 v[4:5], v[2:3], 2, s[4:5]
	v_and_b32_e32 v3, 15, v0
	global_load_b64 v[4:5], v[4:5], off
	s_wait_loadcnt 0x0
	v_subrev_nc_u32_e32 v0, s16, v4
	v_subrev_nc_u32_e32 v8, s16, v5
	s_delay_alu instid0(VALU_DEP_2) | instskip(NEXT) | instid1(VALU_DEP_1)
	v_add_nc_u32_e32 v9, v0, v3
	v_cmp_lt_i32_e64 s2, v9, v8
	s_cbranch_scc0 .LBB62_12
; %bb.7:
	v_mov_b32_e32 v1, 0
	s_delay_alu instid0(VALU_DEP_1)
	v_mov_b32_e32 v0, v1
	s_and_saveexec_b32 s3, s2
	s_cbranch_execz .LBB62_11
; %bb.8:
	v_mad_u32 v4, v9, 28, 26
	v_dual_mov_b32 v7, 0 :: v_dual_mov_b32 v10, v9
	s_mov_b32 s4, 0
	s_delay_alu instid0(VALU_DEP_1)
	v_dual_mov_b32 v0, v7 :: v_dual_mov_b32 v1, v7
.LBB62_9:                               ; =>This Inner Loop Header: Depth=1
	global_load_b32 v5, v10, s[6:7] scale_offset
	v_subrev_nc_u32_e32 v6, 26, v4
	s_wait_xcnt 0x0
	v_add_nc_u32_e32 v10, 16, v10
	s_delay_alu instid0(VALU_DEP_2) | instskip(SKIP_1) | instid1(VALU_DEP_3)
	v_lshl_add_u64 v[18:19], v[6:7], 2, s[8:9]
	v_subrev_nc_u32_e32 v6, 22, v4
	v_cmp_ge_i32_e32 vcc_lo, v10, v8
	s_delay_alu instid0(VALU_DEP_2)
	v_lshl_add_u64 v[20:21], v[6:7], 2, s[8:9]
	s_clause 0x1
	global_load_b128 v[12:15], v[18:19], off
	global_load_b64 v[22:23], v[20:21], off
	s_or_b32 s4, vcc_lo, s4
	s_wait_loadcnt 0x2
	v_subrev_nc_u32_e32 v5, s16, v5
	s_delay_alu instid0(VALU_DEP_1) | instskip(SKIP_1) | instid1(VALU_DEP_2)
	v_mul_lo_u32 v16, v5, 14
	v_dual_mov_b32 v17, v7 :: v_dual_mov_b32 v5, v7
	v_add_nc_u32_e32 v6, 2, v16
	s_wait_xcnt 0x1
	s_delay_alu instid0(VALU_DEP_2) | instskip(SKIP_1) | instid1(VALU_DEP_2)
	v_lshl_add_u64 v[18:19], v[16:17], 2, s[10:11]
	s_wait_xcnt 0x0
	v_lshl_add_u64 v[20:21], v[6:7], 2, s[10:11]
	v_subrev_nc_u32_e32 v6, 20, v4
	s_clause 0x1
	global_load_b64 v[18:19], v[18:19], off
	global_load_b64 v[20:21], v[20:21], off
	v_lshl_add_u64 v[24:25], v[6:7], 2, s[8:9]
	v_subrev_nc_u32_e32 v6, 18, v4
	global_load_b64 v[24:25], v[24:25], off
	v_lshl_add_u64 v[26:27], v[6:7], 2, s[8:9]
	v_add_nc_u32_e32 v6, 4, v16
	global_load_b64 v[26:27], v[26:27], off
	v_lshl_add_u64 v[28:29], v[6:7], 2, s[10:11]
	v_add_nc_u32_e32 v6, -16, v4
	global_load_b64 v[28:29], v[28:29], off
	v_lshl_add_u64 v[30:31], v[6:7], 2, s[8:9]
	v_add_nc_u32_e32 v6, -14, v4
	global_load_b64 v[30:31], v[30:31], off
	v_lshl_add_u64 v[32:33], v[6:7], 2, s[8:9]
	v_add_nc_u32_e32 v6, 6, v16
	global_load_b64 v[32:33], v[32:33], off
	v_lshl_add_u64 v[34:35], v[6:7], 2, s[10:11]
	v_add_nc_u32_e32 v6, -12, v4
	global_load_b64 v[34:35], v[34:35], off
	v_lshl_add_u64 v[36:37], v[6:7], 2, s[8:9]
	v_add_nc_u32_e32 v6, -10, v4
	;; [unrolled: 9-line block ×3, first 2 shown]
	global_load_b64 v[42:43], v[42:43], off
	v_lshl_add_u64 v[44:45], v[6:7], 2, s[8:9]
	v_add_nc_u32_e32 v6, 10, v16
	s_delay_alu instid0(VALU_DEP_1)
	v_lshl_add_u64 v[46:47], v[6:7], 2, s[10:11]
	v_add_nc_u32_e32 v6, -4, v4
	global_load_b64 v[50:51], v[44:45], off
	global_load_b64 v[52:53], v[46:47], off
	v_lshl_add_u64 v[48:49], v[6:7], 2, s[8:9]
	v_add_nc_u32_e32 v6, -2, v4
	s_wait_xcnt 0x1
	s_delay_alu instid0(VALU_DEP_1)
	v_lshl_add_u64 v[44:45], v[6:7], 2, s[8:9]
	v_add_nc_u32_e32 v6, 12, v16
	global_load_b64 v[16:17], v[48:49], off
	s_wait_xcnt 0x0
	v_lshl_add_u64 v[48:49], v[4:5], 2, s[8:9]
	v_add_nc_u32_e32 v4, 0x1c0, v4
	v_lshl_add_u64 v[46:47], v[6:7], 2, s[10:11]
	global_load_b64 v[54:55], v[44:45], off
	global_load_b64 v[56:57], v[46:47], off
	;; [unrolled: 1-line block ×3, first 2 shown]
	s_wait_loadcnt 0x11
	v_pk_fma_f32 v[0:1], v[12:13], v[18:19], v[0:1] op_sel_hi:[1,0,1]
	s_delay_alu instid0(VALU_DEP_1) | instskip(SKIP_1) | instid1(VALU_DEP_1)
	v_pk_fma_f32 v[0:1], v[14:15], v[18:19], v[0:1] op_sel:[0,1,0]
	s_wait_loadcnt 0x10
	v_pk_fma_f32 v[0:1], v[22:23], v[20:21], v[0:1] op_sel_hi:[1,0,1]
	s_wait_loadcnt 0xf
	s_delay_alu instid0(VALU_DEP_1) | instskip(SKIP_1) | instid1(VALU_DEP_1)
	v_pk_fma_f32 v[0:1], v[24:25], v[20:21], v[0:1] op_sel:[0,1,0]
	s_wait_loadcnt 0xd
	v_pk_fma_f32 v[0:1], v[26:27], v[28:29], v[0:1] op_sel_hi:[1,0,1]
	s_wait_loadcnt 0xc
	;; [unrolled: 5-line block ×6, first 2 shown]
	s_delay_alu instid0(VALU_DEP_1)
	v_pk_fma_f32 v[0:1], v[58:59], v[56:57], v[0:1] op_sel:[0,1,0]
	s_and_not1_b32 exec_lo, exec_lo, s4
	s_cbranch_execnz .LBB62_9
; %bb.10:
	s_or_b32 exec_lo, exec_lo, s4
.LBB62_11:
	s_delay_alu instid0(SALU_CYCLE_1)
	s_or_b32 exec_lo, exec_lo, s3
	s_cbranch_execz .LBB62_13
	s_branch .LBB62_18
.LBB62_12:
                                        ; implicit-def: $vgpr1
.LBB62_13:
	v_mov_b32_e32 v1, 0
	s_delay_alu instid0(VALU_DEP_1)
	v_mov_b32_e32 v0, v1
	s_and_saveexec_b32 s3, s2
	s_cbranch_execz .LBB62_17
; %bb.14:
	v_mad_u32 v6, v9, 28, 27
	v_mov_b32_e32 v5, 0
	s_mov_b32 s2, 0
	s_delay_alu instid0(VALU_DEP_1)
	v_dual_mov_b32 v0, v5 :: v_dual_mov_b32 v1, v5
.LBB62_15:                              ; =>This Inner Loop Header: Depth=1
	global_load_b32 v4, v9, s[6:7] scale_offset
	v_dual_mov_b32 v15, v5 :: v_dual_add_nc_u32 v7, -12, v6
	v_add_nc_u32_e32 v18, -11, v6
	v_subrev_nc_u32_e32 v24, 23, v6
	v_subrev_nc_u32_e32 v32, 22, v6
	;; [unrolled: 1-line block ×4, first 2 shown]
	v_add_nc_u32_e32 v45, -4, v6
	s_clause 0x1
	global_load_b32 v19, v7, s[8:9] scale_offset
	global_load_b32 v23, v18, s[8:9] scale_offset
	v_dual_add_nc_u32 v22, -10, v6 :: v_dual_add_nc_u32 v37, -7, v6
	s_wait_xcnt 0x2
	v_add_nc_u32_e32 v9, 16, v9
	global_load_b32 v25, v22, s[8:9] scale_offset
	s_wait_xcnt 0x1
	v_dual_add_nc_u32 v7, -9, v6 :: v_dual_add_nc_u32 v18, -8, v6
	s_wait_xcnt 0x0
	v_subrev_nc_u32_e32 v22, 20, v6
	v_cmp_ge_i32_e32 vcc_lo, v9, v8
	s_or_b32 s2, vcc_lo, s2
	s_wait_loadcnt 0x3
	v_subrev_nc_u32_e32 v4, s16, v4
	s_delay_alu instid0(VALU_DEP_1) | instskip(SKIP_1) | instid1(VALU_DEP_1)
	v_mul_lo_u32 v14, v4, 14
	v_subrev_nc_u32_e32 v4, 27, v6
	v_lshl_add_u64 v[10:11], v[4:5], 2, s[8:9]
	v_add_nc_u32_e32 v4, -13, v6
	global_load_b128 v[10:13], v[10:11], off
	v_lshl_add_u64 v[16:17], v[14:15], 2, s[10:11]
	global_load_b32 v15, v4, s[8:9] scale_offset
	s_wait_xcnt 0x0
	v_add_nc_u32_e32 v4, 2, v14
	global_load_b64 v[16:17], v[16:17], off
	v_lshl_add_u64 v[20:21], v[4:5], 2, s[10:11]
	v_add_nc_u32_e32 v4, 4, v14
	global_load_b64 v[20:21], v[20:21], off
	v_lshl_add_u64 v[26:27], v[4:5], 2, s[10:11]
	s_clause 0x1
	global_load_b32 v28, v24, s[8:9] scale_offset
	global_load_b32 v29, v7, s[8:9] scale_offset
	v_add_nc_u32_e32 v4, 6, v14
	s_wait_xcnt 0x0
	v_add_nc_u32_e32 v7, -6, v6
	v_subrev_nc_u32_e32 v24, 19, v6
	global_load_b64 v[26:27], v[26:27], off
	s_clause 0x1
	global_load_b32 v30, v32, s[8:9] scale_offset
	global_load_b32 v31, v18, s[8:9] scale_offset
	s_wait_xcnt 0x1
	v_lshl_add_u64 v[32:33], v[4:5], 2, s[10:11]
	s_clause 0x1
	global_load_b32 v34, v36, s[8:9] scale_offset
	global_load_b32 v35, v37, s[8:9] scale_offset
	v_add_nc_u32_e32 v4, 8, v14
	s_wait_xcnt 0x2
	v_add_nc_u32_e32 v18, -5, v6
	global_load_b64 v[32:33], v[32:33], off
	s_clause 0x1
	global_load_b32 v36, v22, s[8:9] scale_offset
	global_load_b32 v37, v7, s[8:9] scale_offset
	v_lshl_add_u64 v[38:39], v[4:5], 2, s[10:11]
	s_clause 0x1
	global_load_b32 v40, v24, s[8:9] scale_offset
	global_load_b32 v41, v18, s[8:9] scale_offset
	v_add_nc_u32_e32 v4, 10, v14
	s_wait_xcnt 0x2
	v_subrev_nc_u32_e32 v7, 17, v6
	s_wait_xcnt 0x0
	v_add_nc_u32_e32 v18, -3, v6
	global_load_b64 v[38:39], v[38:39], off
	s_clause 0x1
	global_load_b32 v42, v44, s[8:9] scale_offset
	global_load_b32 v43, v45, s[8:9] scale_offset
	s_wait_xcnt 0x0
	v_lshl_add_u64 v[44:45], v[4:5], 2, s[10:11]
	v_dual_add_nc_u32 v22, -16, v6 :: v_dual_add_nc_u32 v24, -2, v6
	s_clause 0x1
	global_load_b32 v46, v7, s[8:9] scale_offset
	global_load_b32 v47, v18, s[8:9] scale_offset
	v_add_nc_u32_e32 v4, 12, v14
	global_load_b64 v[44:45], v[44:45], off
	s_clause 0x1
	global_load_b32 v48, v22, s[8:9] scale_offset
	global_load_b32 v49, v24, s[8:9] scale_offset
	s_wait_xcnt 0x4
	v_dual_add_nc_u32 v7, -15, v6 :: v_dual_add_nc_u32 v14, -1, v6
	v_lshl_add_u64 v[50:51], v[4:5], 2, s[10:11]
	v_add_nc_u32_e32 v4, -14, v6
	s_clause 0x1
	global_load_b32 v52, v7, s[8:9] scale_offset
	global_load_b32 v53, v14, s[8:9] scale_offset
	global_load_b64 v[54:55], v[50:51], off
	s_clause 0x1
	global_load_b32 v56, v4, s[8:9] scale_offset
	global_load_b32 v57, v6, s[8:9] scale_offset
	s_wait_xcnt 0x0
	v_add_nc_u32_e32 v6, 0x1c0, v6
	s_wait_loadcnt 0x1c
	v_dual_mov_b32 v14, v10 :: v_dual_mov_b32 v18, v11
	v_dual_mov_b32 v22, v12 :: v_dual_mov_b32 v24, v13
	s_wait_loadcnt 0x1a
	s_delay_alu instid0(VALU_DEP_2) | instskip(NEXT) | instid1(VALU_DEP_1)
	v_pk_fma_f32 v[0:1], v[14:15], v[16:17], v[0:1] op_sel_hi:[1,0,1]
	v_pk_fma_f32 v[0:1], v[18:19], v[16:17], v[0:1] op_sel:[0,1,0]
	s_wait_loadcnt 0x19
	s_delay_alu instid0(VALU_DEP_1) | instskip(NEXT) | instid1(VALU_DEP_1)
	v_pk_fma_f32 v[0:1], v[22:23], v[20:21], v[0:1] op_sel_hi:[1,0,1]
	v_pk_fma_f32 v[0:1], v[24:25], v[20:21], v[0:1] op_sel:[0,1,0]
	s_wait_loadcnt 0x16
	s_delay_alu instid0(VALU_DEP_1) | instskip(SKIP_1) | instid1(VALU_DEP_1)
	v_pk_fma_f32 v[0:1], v[28:29], v[26:27], v[0:1] op_sel_hi:[1,0,1]
	s_wait_loadcnt 0x14
	v_pk_fma_f32 v[0:1], v[30:31], v[26:27], v[0:1] op_sel:[0,1,0]
	s_wait_loadcnt 0x11
	s_delay_alu instid0(VALU_DEP_1) | instskip(SKIP_1) | instid1(VALU_DEP_1)
	v_pk_fma_f32 v[0:1], v[34:35], v[32:33], v[0:1] op_sel_hi:[1,0,1]
	s_wait_loadcnt 0xf
	v_pk_fma_f32 v[0:1], v[36:37], v[32:33], v[0:1] op_sel:[0,1,0]
	s_wait_loadcnt 0xc
	s_delay_alu instid0(VALU_DEP_1) | instskip(SKIP_1) | instid1(VALU_DEP_1)
	v_pk_fma_f32 v[0:1], v[40:41], v[38:39], v[0:1] op_sel_hi:[1,0,1]
	s_wait_loadcnt 0xa
	v_pk_fma_f32 v[0:1], v[42:43], v[38:39], v[0:1] op_sel:[0,1,0]
	s_wait_loadcnt 0x7
	s_delay_alu instid0(VALU_DEP_1) | instskip(SKIP_1) | instid1(VALU_DEP_1)
	v_pk_fma_f32 v[0:1], v[46:47], v[44:45], v[0:1] op_sel_hi:[1,0,1]
	s_wait_loadcnt 0x5
	v_pk_fma_f32 v[0:1], v[48:49], v[44:45], v[0:1] op_sel:[0,1,0]
	s_wait_loadcnt 0x2
	s_delay_alu instid0(VALU_DEP_1) | instskip(SKIP_1) | instid1(VALU_DEP_1)
	v_pk_fma_f32 v[0:1], v[52:53], v[54:55], v[0:1] op_sel_hi:[1,0,1]
	s_wait_loadcnt 0x0
	v_pk_fma_f32 v[0:1], v[56:57], v[54:55], v[0:1] op_sel:[0,1,0]
	s_and_not1_b32 exec_lo, exec_lo, s2
	s_cbranch_execnz .LBB62_15
; %bb.16:
	s_or_b32 exec_lo, exec_lo, s2
.LBB62_17:
	s_delay_alu instid0(SALU_CYCLE_1)
	s_or_b32 exec_lo, exec_lo, s3
.LBB62_18:
	v_mbcnt_lo_u32_b32 v6, -1, 0
	s_mov_b32 s2, -1
	s_delay_alu instid0(VALU_DEP_1) | instskip(SKIP_1) | instid1(VALU_DEP_1)
	v_xor_b32_e32 v7, 4, v6
	v_xor_b32_e32 v4, 8, v6
	v_cmp_gt_i32_e32 vcc_lo, 32, v4
	v_cndmask_b32_e32 v4, v6, v4, vcc_lo
	s_delay_alu instid0(VALU_DEP_4) | instskip(SKIP_1) | instid1(VALU_DEP_1)
	v_cmp_gt_i32_e32 vcc_lo, 32, v7
	v_cndmask_b32_e32 v7, v6, v7, vcc_lo
	v_dual_lshlrev_b32 v7, 2, v7 :: v_dual_lshlrev_b32 v5, 2, v4
	ds_bpermute_b32 v4, v5, v0
	ds_bpermute_b32 v5, v5, v1
	s_wait_dscnt 0x0
	v_pk_add_f32 v[0:1], v[0:1], v[4:5]
	ds_bpermute_b32 v4, v7, v0
	ds_bpermute_b32 v5, v7, v1
	v_xor_b32_e32 v7, 2, v6
	s_delay_alu instid0(VALU_DEP_1) | instskip(SKIP_1) | instid1(VALU_DEP_1)
	v_cmp_gt_i32_e32 vcc_lo, 32, v7
	v_cndmask_b32_e32 v7, v6, v7, vcc_lo
	v_lshlrev_b32_e32 v7, 2, v7
	s_wait_dscnt 0x0
	v_pk_add_f32 v[0:1], v[0:1], v[4:5]
	ds_bpermute_b32 v4, v7, v0
	ds_bpermute_b32 v5, v7, v1
	v_xor_b32_e32 v7, 1, v6
	s_delay_alu instid0(VALU_DEP_1) | instskip(SKIP_2) | instid1(VALU_DEP_2)
	v_cmp_gt_i32_e32 vcc_lo, 32, v7
	v_cndmask_b32_e32 v6, v6, v7, vcc_lo
	v_cmp_eq_u32_e32 vcc_lo, 15, v3
	v_lshlrev_b32_e32 v6, 2, v6
	s_wait_dscnt 0x0
	v_pk_add_f32 v[0:1], v[0:1], v[4:5]
	ds_bpermute_b32 v4, v6, v0
	ds_bpermute_b32 v5, v6, v1
	s_and_b32 exec_lo, exec_lo, vcc_lo
	s_cbranch_execz .LBB62_23
; %bb.19:
	s_load_b64 s[0:1], s[0:1], 0x38
	s_wait_dscnt 0x0
	v_pk_add_f32 v[0:1], v[0:1], v[4:5]
	v_lshlrev_b32_e32 v2, 1, v2
	s_cmp_eq_f32 s12, 0
	s_cbranch_scc0 .LBB62_21
; %bb.20:
	s_delay_alu instid0(VALU_DEP_1) | instskip(SKIP_3) | instid1(VALU_DEP_2)
	v_ashrrev_i32_e32 v3, 31, v2
	v_pk_mul_f32 v[6:7], s[14:15], v[0:1] op_sel_hi:[0,1]
	s_mov_b32 s2, 0
	s_wait_kmcnt 0x0
	v_lshl_add_u64 v[4:5], v[2:3], 2, s[0:1]
	global_store_b64 v[4:5], v[6:7], off
.LBB62_21:
	s_and_not1_b32 vcc_lo, exec_lo, s2
	s_cbranch_vccnz .LBB62_23
; %bb.22:
	v_ashrrev_i32_e32 v3, 31, v2
	v_pk_mul_f32 v[0:1], s[14:15], v[0:1] op_sel_hi:[0,1]
	s_wait_kmcnt 0x0
	s_delay_alu instid0(VALU_DEP_2)
	v_lshl_add_u64 v[2:3], v[2:3], 2, s[0:1]
	global_load_b64 v[4:5], v[2:3], off
	s_wait_loadcnt 0x0
	v_pk_fma_f32 v[0:1], s[12:13], v[4:5], v[0:1] op_sel_hi:[0,1,1]
	global_store_b64 v[2:3], v[0:1], off
.LBB62_23:
	s_endpgm
	.section	.rodata,"a",@progbits
	.p2align	6, 0x0
	.amdhsa_kernel _ZN9rocsparseL19gebsrmvn_2xn_kernelILj128ELj14ELj16EfEEvi20rocsparse_direction_NS_24const_host_device_scalarIT2_EEPKiS6_PKS3_S8_S4_PS3_21rocsparse_index_base_b
		.amdhsa_group_segment_fixed_size 0
		.amdhsa_private_segment_fixed_size 0
		.amdhsa_kernarg_size 72
		.amdhsa_user_sgpr_count 2
		.amdhsa_user_sgpr_dispatch_ptr 0
		.amdhsa_user_sgpr_queue_ptr 0
		.amdhsa_user_sgpr_kernarg_segment_ptr 1
		.amdhsa_user_sgpr_dispatch_id 0
		.amdhsa_user_sgpr_kernarg_preload_length 0
		.amdhsa_user_sgpr_kernarg_preload_offset 0
		.amdhsa_user_sgpr_private_segment_size 0
		.amdhsa_wavefront_size32 1
		.amdhsa_uses_dynamic_stack 0
		.amdhsa_enable_private_segment 0
		.amdhsa_system_sgpr_workgroup_id_x 1
		.amdhsa_system_sgpr_workgroup_id_y 0
		.amdhsa_system_sgpr_workgroup_id_z 0
		.amdhsa_system_sgpr_workgroup_info 0
		.amdhsa_system_vgpr_workitem_id 0
		.amdhsa_next_free_vgpr 60
		.amdhsa_next_free_sgpr 18
		.amdhsa_named_barrier_count 0
		.amdhsa_reserve_vcc 1
		.amdhsa_float_round_mode_32 0
		.amdhsa_float_round_mode_16_64 0
		.amdhsa_float_denorm_mode_32 3
		.amdhsa_float_denorm_mode_16_64 3
		.amdhsa_fp16_overflow 0
		.amdhsa_memory_ordered 1
		.amdhsa_forward_progress 1
		.amdhsa_inst_pref_size 20
		.amdhsa_round_robin_scheduling 0
		.amdhsa_exception_fp_ieee_invalid_op 0
		.amdhsa_exception_fp_denorm_src 0
		.amdhsa_exception_fp_ieee_div_zero 0
		.amdhsa_exception_fp_ieee_overflow 0
		.amdhsa_exception_fp_ieee_underflow 0
		.amdhsa_exception_fp_ieee_inexact 0
		.amdhsa_exception_int_div_zero 0
	.end_amdhsa_kernel
	.section	.text._ZN9rocsparseL19gebsrmvn_2xn_kernelILj128ELj14ELj16EfEEvi20rocsparse_direction_NS_24const_host_device_scalarIT2_EEPKiS6_PKS3_S8_S4_PS3_21rocsparse_index_base_b,"axG",@progbits,_ZN9rocsparseL19gebsrmvn_2xn_kernelILj128ELj14ELj16EfEEvi20rocsparse_direction_NS_24const_host_device_scalarIT2_EEPKiS6_PKS3_S8_S4_PS3_21rocsparse_index_base_b,comdat
.Lfunc_end62:
	.size	_ZN9rocsparseL19gebsrmvn_2xn_kernelILj128ELj14ELj16EfEEvi20rocsparse_direction_NS_24const_host_device_scalarIT2_EEPKiS6_PKS3_S8_S4_PS3_21rocsparse_index_base_b, .Lfunc_end62-_ZN9rocsparseL19gebsrmvn_2xn_kernelILj128ELj14ELj16EfEEvi20rocsparse_direction_NS_24const_host_device_scalarIT2_EEPKiS6_PKS3_S8_S4_PS3_21rocsparse_index_base_b
                                        ; -- End function
	.set _ZN9rocsparseL19gebsrmvn_2xn_kernelILj128ELj14ELj16EfEEvi20rocsparse_direction_NS_24const_host_device_scalarIT2_EEPKiS6_PKS3_S8_S4_PS3_21rocsparse_index_base_b.num_vgpr, 60
	.set _ZN9rocsparseL19gebsrmvn_2xn_kernelILj128ELj14ELj16EfEEvi20rocsparse_direction_NS_24const_host_device_scalarIT2_EEPKiS6_PKS3_S8_S4_PS3_21rocsparse_index_base_b.num_agpr, 0
	.set _ZN9rocsparseL19gebsrmvn_2xn_kernelILj128ELj14ELj16EfEEvi20rocsparse_direction_NS_24const_host_device_scalarIT2_EEPKiS6_PKS3_S8_S4_PS3_21rocsparse_index_base_b.numbered_sgpr, 18
	.set _ZN9rocsparseL19gebsrmvn_2xn_kernelILj128ELj14ELj16EfEEvi20rocsparse_direction_NS_24const_host_device_scalarIT2_EEPKiS6_PKS3_S8_S4_PS3_21rocsparse_index_base_b.num_named_barrier, 0
	.set _ZN9rocsparseL19gebsrmvn_2xn_kernelILj128ELj14ELj16EfEEvi20rocsparse_direction_NS_24const_host_device_scalarIT2_EEPKiS6_PKS3_S8_S4_PS3_21rocsparse_index_base_b.private_seg_size, 0
	.set _ZN9rocsparseL19gebsrmvn_2xn_kernelILj128ELj14ELj16EfEEvi20rocsparse_direction_NS_24const_host_device_scalarIT2_EEPKiS6_PKS3_S8_S4_PS3_21rocsparse_index_base_b.uses_vcc, 1
	.set _ZN9rocsparseL19gebsrmvn_2xn_kernelILj128ELj14ELj16EfEEvi20rocsparse_direction_NS_24const_host_device_scalarIT2_EEPKiS6_PKS3_S8_S4_PS3_21rocsparse_index_base_b.uses_flat_scratch, 0
	.set _ZN9rocsparseL19gebsrmvn_2xn_kernelILj128ELj14ELj16EfEEvi20rocsparse_direction_NS_24const_host_device_scalarIT2_EEPKiS6_PKS3_S8_S4_PS3_21rocsparse_index_base_b.has_dyn_sized_stack, 0
	.set _ZN9rocsparseL19gebsrmvn_2xn_kernelILj128ELj14ELj16EfEEvi20rocsparse_direction_NS_24const_host_device_scalarIT2_EEPKiS6_PKS3_S8_S4_PS3_21rocsparse_index_base_b.has_recursion, 0
	.set _ZN9rocsparseL19gebsrmvn_2xn_kernelILj128ELj14ELj16EfEEvi20rocsparse_direction_NS_24const_host_device_scalarIT2_EEPKiS6_PKS3_S8_S4_PS3_21rocsparse_index_base_b.has_indirect_call, 0
	.section	.AMDGPU.csdata,"",@progbits
; Kernel info:
; codeLenInByte = 2512
; TotalNumSgprs: 20
; NumVgprs: 60
; ScratchSize: 0
; MemoryBound: 0
; FloatMode: 240
; IeeeMode: 1
; LDSByteSize: 0 bytes/workgroup (compile time only)
; SGPRBlocks: 0
; VGPRBlocks: 3
; NumSGPRsForWavesPerEU: 20
; NumVGPRsForWavesPerEU: 60
; NamedBarCnt: 0
; Occupancy: 16
; WaveLimiterHint : 1
; COMPUTE_PGM_RSRC2:SCRATCH_EN: 0
; COMPUTE_PGM_RSRC2:USER_SGPR: 2
; COMPUTE_PGM_RSRC2:TRAP_HANDLER: 0
; COMPUTE_PGM_RSRC2:TGID_X_EN: 1
; COMPUTE_PGM_RSRC2:TGID_Y_EN: 0
; COMPUTE_PGM_RSRC2:TGID_Z_EN: 0
; COMPUTE_PGM_RSRC2:TIDIG_COMP_CNT: 0
	.section	.text._ZN9rocsparseL19gebsrmvn_2xn_kernelILj128ELj14ELj32EfEEvi20rocsparse_direction_NS_24const_host_device_scalarIT2_EEPKiS6_PKS3_S8_S4_PS3_21rocsparse_index_base_b,"axG",@progbits,_ZN9rocsparseL19gebsrmvn_2xn_kernelILj128ELj14ELj32EfEEvi20rocsparse_direction_NS_24const_host_device_scalarIT2_EEPKiS6_PKS3_S8_S4_PS3_21rocsparse_index_base_b,comdat
	.globl	_ZN9rocsparseL19gebsrmvn_2xn_kernelILj128ELj14ELj32EfEEvi20rocsparse_direction_NS_24const_host_device_scalarIT2_EEPKiS6_PKS3_S8_S4_PS3_21rocsparse_index_base_b ; -- Begin function _ZN9rocsparseL19gebsrmvn_2xn_kernelILj128ELj14ELj32EfEEvi20rocsparse_direction_NS_24const_host_device_scalarIT2_EEPKiS6_PKS3_S8_S4_PS3_21rocsparse_index_base_b
	.p2align	8
	.type	_ZN9rocsparseL19gebsrmvn_2xn_kernelILj128ELj14ELj32EfEEvi20rocsparse_direction_NS_24const_host_device_scalarIT2_EEPKiS6_PKS3_S8_S4_PS3_21rocsparse_index_base_b,@function
_ZN9rocsparseL19gebsrmvn_2xn_kernelILj128ELj14ELj32EfEEvi20rocsparse_direction_NS_24const_host_device_scalarIT2_EEPKiS6_PKS3_S8_S4_PS3_21rocsparse_index_base_b: ; @_ZN9rocsparseL19gebsrmvn_2xn_kernelILj128ELj14ELj32EfEEvi20rocsparse_direction_NS_24const_host_device_scalarIT2_EEPKiS6_PKS3_S8_S4_PS3_21rocsparse_index_base_b
; %bb.0:
	s_clause 0x2
	s_load_b64 s[16:17], s[0:1], 0x40
	s_load_b64 s[14:15], s[0:1], 0x8
	;; [unrolled: 1-line block ×3, first 2 shown]
	s_wait_kmcnt 0x0
	s_bitcmp1_b32 s17, 0
	s_cselect_b32 s2, -1, 0
	s_delay_alu instid0(SALU_CYCLE_1)
	s_and_b32 vcc_lo, exec_lo, s2
	s_xor_b32 s2, s2, -1
	s_cbranch_vccnz .LBB63_2
; %bb.1:
	s_load_b32 s14, s[14:15], 0x0
.LBB63_2:
	s_and_not1_b32 vcc_lo, exec_lo, s2
	s_cbranch_vccnz .LBB63_4
; %bb.3:
	s_load_b32 s12, s[12:13], 0x0
.LBB63_4:
	s_wait_kmcnt 0x0
	s_cmp_eq_f32 s14, 0
	s_cselect_b32 s2, -1, 0
	s_cmp_eq_f32 s12, 1.0
	s_cselect_b32 s3, -1, 0
	s_delay_alu instid0(SALU_CYCLE_1) | instskip(NEXT) | instid1(SALU_CYCLE_1)
	s_and_b32 s2, s2, s3
	s_and_b32 vcc_lo, exec_lo, s2
	s_cbranch_vccnz .LBB63_23
; %bb.5:
	s_load_b64 s[2:3], s[0:1], 0x0
	s_bfe_u32 s4, ttmp6, 0x4000c
	s_and_b32 s5, ttmp6, 15
	s_add_co_i32 s4, s4, 1
	s_getreg_b32 s6, hwreg(HW_REG_IB_STS2, 6, 4)
	s_mul_i32 s4, ttmp9, s4
	v_lshrrev_b32_e32 v1, 5, v0
	s_add_co_i32 s5, s5, s4
	s_cmp_eq_u32 s6, 0
	s_cselect_b32 s4, ttmp9, s5
	s_delay_alu instid0(VALU_DEP_1) | instid1(SALU_CYCLE_1)
	v_lshl_or_b32 v2, s4, 2, v1
	s_wait_kmcnt 0x0
	s_delay_alu instid0(VALU_DEP_1)
	v_cmp_gt_i32_e32 vcc_lo, s2, v2
	s_and_saveexec_b32 s2, vcc_lo
	s_cbranch_execz .LBB63_23
; %bb.6:
	s_load_b256 s[4:11], s[0:1], 0x10
	v_ashrrev_i32_e32 v3, 31, v2
	s_cmp_lg_u32 s3, 0
	s_wait_kmcnt 0x0
	s_delay_alu instid0(VALU_DEP_1)
	v_lshl_add_u64 v[4:5], v[2:3], 2, s[4:5]
	v_and_b32_e32 v3, 31, v0
	global_load_b64 v[4:5], v[4:5], off
	s_wait_loadcnt 0x0
	v_subrev_nc_u32_e32 v0, s16, v4
	v_subrev_nc_u32_e32 v8, s16, v5
	s_delay_alu instid0(VALU_DEP_2) | instskip(NEXT) | instid1(VALU_DEP_1)
	v_add_nc_u32_e32 v9, v0, v3
	v_cmp_lt_i32_e64 s2, v9, v8
	s_cbranch_scc0 .LBB63_12
; %bb.7:
	v_mov_b32_e32 v1, 0
	s_delay_alu instid0(VALU_DEP_1)
	v_mov_b32_e32 v0, v1
	s_and_saveexec_b32 s3, s2
	s_cbranch_execz .LBB63_11
; %bb.8:
	v_mad_u32 v4, v9, 28, 26
	v_dual_mov_b32 v7, 0 :: v_dual_mov_b32 v10, v9
	s_mov_b32 s4, 0
	s_delay_alu instid0(VALU_DEP_1)
	v_dual_mov_b32 v0, v7 :: v_dual_mov_b32 v1, v7
.LBB63_9:                               ; =>This Inner Loop Header: Depth=1
	global_load_b32 v5, v10, s[6:7] scale_offset
	v_subrev_nc_u32_e32 v6, 26, v4
	s_wait_xcnt 0x0
	v_add_nc_u32_e32 v10, 32, v10
	s_delay_alu instid0(VALU_DEP_2) | instskip(SKIP_1) | instid1(VALU_DEP_3)
	v_lshl_add_u64 v[18:19], v[6:7], 2, s[8:9]
	v_subrev_nc_u32_e32 v6, 22, v4
	v_cmp_ge_i32_e32 vcc_lo, v10, v8
	s_delay_alu instid0(VALU_DEP_2)
	v_lshl_add_u64 v[20:21], v[6:7], 2, s[8:9]
	s_clause 0x1
	global_load_b128 v[12:15], v[18:19], off
	global_load_b64 v[22:23], v[20:21], off
	s_or_b32 s4, vcc_lo, s4
	s_wait_loadcnt 0x2
	v_subrev_nc_u32_e32 v5, s16, v5
	s_delay_alu instid0(VALU_DEP_1) | instskip(SKIP_1) | instid1(VALU_DEP_2)
	v_mul_lo_u32 v16, v5, 14
	v_dual_mov_b32 v17, v7 :: v_dual_mov_b32 v5, v7
	v_add_nc_u32_e32 v6, 2, v16
	s_wait_xcnt 0x1
	s_delay_alu instid0(VALU_DEP_2) | instskip(SKIP_1) | instid1(VALU_DEP_2)
	v_lshl_add_u64 v[18:19], v[16:17], 2, s[10:11]
	s_wait_xcnt 0x0
	v_lshl_add_u64 v[20:21], v[6:7], 2, s[10:11]
	v_subrev_nc_u32_e32 v6, 20, v4
	s_clause 0x1
	global_load_b64 v[18:19], v[18:19], off
	global_load_b64 v[20:21], v[20:21], off
	v_lshl_add_u64 v[24:25], v[6:7], 2, s[8:9]
	v_subrev_nc_u32_e32 v6, 18, v4
	global_load_b64 v[24:25], v[24:25], off
	v_lshl_add_u64 v[26:27], v[6:7], 2, s[8:9]
	v_add_nc_u32_e32 v6, 4, v16
	global_load_b64 v[26:27], v[26:27], off
	v_lshl_add_u64 v[28:29], v[6:7], 2, s[10:11]
	v_add_nc_u32_e32 v6, -16, v4
	global_load_b64 v[28:29], v[28:29], off
	v_lshl_add_u64 v[30:31], v[6:7], 2, s[8:9]
	v_add_nc_u32_e32 v6, -14, v4
	global_load_b64 v[30:31], v[30:31], off
	v_lshl_add_u64 v[32:33], v[6:7], 2, s[8:9]
	v_add_nc_u32_e32 v6, 6, v16
	global_load_b64 v[32:33], v[32:33], off
	v_lshl_add_u64 v[34:35], v[6:7], 2, s[10:11]
	v_add_nc_u32_e32 v6, -12, v4
	global_load_b64 v[34:35], v[34:35], off
	v_lshl_add_u64 v[36:37], v[6:7], 2, s[8:9]
	v_add_nc_u32_e32 v6, -10, v4
	;; [unrolled: 9-line block ×3, first 2 shown]
	global_load_b64 v[42:43], v[42:43], off
	v_lshl_add_u64 v[44:45], v[6:7], 2, s[8:9]
	v_add_nc_u32_e32 v6, 10, v16
	s_delay_alu instid0(VALU_DEP_1)
	v_lshl_add_u64 v[46:47], v[6:7], 2, s[10:11]
	v_add_nc_u32_e32 v6, -4, v4
	global_load_b64 v[50:51], v[44:45], off
	global_load_b64 v[52:53], v[46:47], off
	v_lshl_add_u64 v[48:49], v[6:7], 2, s[8:9]
	v_add_nc_u32_e32 v6, -2, v4
	s_wait_xcnt 0x1
	s_delay_alu instid0(VALU_DEP_1)
	v_lshl_add_u64 v[44:45], v[6:7], 2, s[8:9]
	v_add_nc_u32_e32 v6, 12, v16
	global_load_b64 v[16:17], v[48:49], off
	s_wait_xcnt 0x0
	v_lshl_add_u64 v[48:49], v[4:5], 2, s[8:9]
	v_add_nc_u32_e32 v4, 0x380, v4
	v_lshl_add_u64 v[46:47], v[6:7], 2, s[10:11]
	global_load_b64 v[54:55], v[44:45], off
	global_load_b64 v[56:57], v[46:47], off
	;; [unrolled: 1-line block ×3, first 2 shown]
	s_wait_loadcnt 0x11
	v_pk_fma_f32 v[0:1], v[12:13], v[18:19], v[0:1] op_sel_hi:[1,0,1]
	s_delay_alu instid0(VALU_DEP_1) | instskip(SKIP_1) | instid1(VALU_DEP_1)
	v_pk_fma_f32 v[0:1], v[14:15], v[18:19], v[0:1] op_sel:[0,1,0]
	s_wait_loadcnt 0x10
	v_pk_fma_f32 v[0:1], v[22:23], v[20:21], v[0:1] op_sel_hi:[1,0,1]
	s_wait_loadcnt 0xf
	s_delay_alu instid0(VALU_DEP_1) | instskip(SKIP_1) | instid1(VALU_DEP_1)
	v_pk_fma_f32 v[0:1], v[24:25], v[20:21], v[0:1] op_sel:[0,1,0]
	s_wait_loadcnt 0xd
	v_pk_fma_f32 v[0:1], v[26:27], v[28:29], v[0:1] op_sel_hi:[1,0,1]
	s_wait_loadcnt 0xc
	;; [unrolled: 5-line block ×6, first 2 shown]
	s_delay_alu instid0(VALU_DEP_1)
	v_pk_fma_f32 v[0:1], v[58:59], v[56:57], v[0:1] op_sel:[0,1,0]
	s_and_not1_b32 exec_lo, exec_lo, s4
	s_cbranch_execnz .LBB63_9
; %bb.10:
	s_or_b32 exec_lo, exec_lo, s4
.LBB63_11:
	s_delay_alu instid0(SALU_CYCLE_1)
	s_or_b32 exec_lo, exec_lo, s3
	s_cbranch_execz .LBB63_13
	s_branch .LBB63_18
.LBB63_12:
                                        ; implicit-def: $vgpr1
.LBB63_13:
	v_mov_b32_e32 v1, 0
	s_delay_alu instid0(VALU_DEP_1)
	v_mov_b32_e32 v0, v1
	s_and_saveexec_b32 s3, s2
	s_cbranch_execz .LBB63_17
; %bb.14:
	v_mad_u32 v6, v9, 28, 27
	v_mov_b32_e32 v5, 0
	s_mov_b32 s2, 0
	s_delay_alu instid0(VALU_DEP_1)
	v_dual_mov_b32 v0, v5 :: v_dual_mov_b32 v1, v5
.LBB63_15:                              ; =>This Inner Loop Header: Depth=1
	global_load_b32 v4, v9, s[6:7] scale_offset
	v_dual_mov_b32 v15, v5 :: v_dual_add_nc_u32 v7, -12, v6
	v_add_nc_u32_e32 v18, -11, v6
	v_subrev_nc_u32_e32 v24, 23, v6
	v_subrev_nc_u32_e32 v32, 22, v6
	;; [unrolled: 1-line block ×4, first 2 shown]
	v_add_nc_u32_e32 v45, -4, v6
	s_clause 0x1
	global_load_b32 v19, v7, s[8:9] scale_offset
	global_load_b32 v23, v18, s[8:9] scale_offset
	v_dual_add_nc_u32 v22, -10, v6 :: v_dual_add_nc_u32 v37, -7, v6
	s_wait_xcnt 0x2
	v_add_nc_u32_e32 v9, 32, v9
	global_load_b32 v25, v22, s[8:9] scale_offset
	s_wait_xcnt 0x1
	v_dual_add_nc_u32 v7, -9, v6 :: v_dual_add_nc_u32 v18, -8, v6
	s_wait_xcnt 0x0
	v_subrev_nc_u32_e32 v22, 20, v6
	v_cmp_ge_i32_e32 vcc_lo, v9, v8
	s_or_b32 s2, vcc_lo, s2
	s_wait_loadcnt 0x3
	v_subrev_nc_u32_e32 v4, s16, v4
	s_delay_alu instid0(VALU_DEP_1) | instskip(SKIP_1) | instid1(VALU_DEP_1)
	v_mul_lo_u32 v14, v4, 14
	v_subrev_nc_u32_e32 v4, 27, v6
	v_lshl_add_u64 v[10:11], v[4:5], 2, s[8:9]
	v_add_nc_u32_e32 v4, -13, v6
	global_load_b128 v[10:13], v[10:11], off
	v_lshl_add_u64 v[16:17], v[14:15], 2, s[10:11]
	global_load_b32 v15, v4, s[8:9] scale_offset
	s_wait_xcnt 0x0
	v_add_nc_u32_e32 v4, 2, v14
	global_load_b64 v[16:17], v[16:17], off
	v_lshl_add_u64 v[20:21], v[4:5], 2, s[10:11]
	v_add_nc_u32_e32 v4, 4, v14
	global_load_b64 v[20:21], v[20:21], off
	v_lshl_add_u64 v[26:27], v[4:5], 2, s[10:11]
	s_clause 0x1
	global_load_b32 v28, v24, s[8:9] scale_offset
	global_load_b32 v29, v7, s[8:9] scale_offset
	v_add_nc_u32_e32 v4, 6, v14
	s_wait_xcnt 0x0
	v_add_nc_u32_e32 v7, -6, v6
	v_subrev_nc_u32_e32 v24, 19, v6
	global_load_b64 v[26:27], v[26:27], off
	s_clause 0x1
	global_load_b32 v30, v32, s[8:9] scale_offset
	global_load_b32 v31, v18, s[8:9] scale_offset
	s_wait_xcnt 0x1
	v_lshl_add_u64 v[32:33], v[4:5], 2, s[10:11]
	s_clause 0x1
	global_load_b32 v34, v36, s[8:9] scale_offset
	global_load_b32 v35, v37, s[8:9] scale_offset
	v_add_nc_u32_e32 v4, 8, v14
	s_wait_xcnt 0x2
	v_add_nc_u32_e32 v18, -5, v6
	global_load_b64 v[32:33], v[32:33], off
	s_clause 0x1
	global_load_b32 v36, v22, s[8:9] scale_offset
	global_load_b32 v37, v7, s[8:9] scale_offset
	v_lshl_add_u64 v[38:39], v[4:5], 2, s[10:11]
	s_clause 0x1
	global_load_b32 v40, v24, s[8:9] scale_offset
	global_load_b32 v41, v18, s[8:9] scale_offset
	v_add_nc_u32_e32 v4, 10, v14
	s_wait_xcnt 0x2
	v_subrev_nc_u32_e32 v7, 17, v6
	s_wait_xcnt 0x0
	v_add_nc_u32_e32 v18, -3, v6
	global_load_b64 v[38:39], v[38:39], off
	s_clause 0x1
	global_load_b32 v42, v44, s[8:9] scale_offset
	global_load_b32 v43, v45, s[8:9] scale_offset
	s_wait_xcnt 0x0
	v_lshl_add_u64 v[44:45], v[4:5], 2, s[10:11]
	v_dual_add_nc_u32 v22, -16, v6 :: v_dual_add_nc_u32 v24, -2, v6
	s_clause 0x1
	global_load_b32 v46, v7, s[8:9] scale_offset
	global_load_b32 v47, v18, s[8:9] scale_offset
	v_add_nc_u32_e32 v4, 12, v14
	global_load_b64 v[44:45], v[44:45], off
	s_clause 0x1
	global_load_b32 v48, v22, s[8:9] scale_offset
	global_load_b32 v49, v24, s[8:9] scale_offset
	s_wait_xcnt 0x4
	v_dual_add_nc_u32 v7, -15, v6 :: v_dual_add_nc_u32 v14, -1, v6
	v_lshl_add_u64 v[50:51], v[4:5], 2, s[10:11]
	v_add_nc_u32_e32 v4, -14, v6
	s_clause 0x1
	global_load_b32 v52, v7, s[8:9] scale_offset
	global_load_b32 v53, v14, s[8:9] scale_offset
	global_load_b64 v[54:55], v[50:51], off
	s_clause 0x1
	global_load_b32 v56, v4, s[8:9] scale_offset
	global_load_b32 v57, v6, s[8:9] scale_offset
	s_wait_xcnt 0x0
	v_add_nc_u32_e32 v6, 0x380, v6
	s_wait_loadcnt 0x1c
	v_dual_mov_b32 v14, v10 :: v_dual_mov_b32 v18, v11
	v_dual_mov_b32 v22, v12 :: v_dual_mov_b32 v24, v13
	s_wait_loadcnt 0x1a
	s_delay_alu instid0(VALU_DEP_2) | instskip(NEXT) | instid1(VALU_DEP_1)
	v_pk_fma_f32 v[0:1], v[14:15], v[16:17], v[0:1] op_sel_hi:[1,0,1]
	v_pk_fma_f32 v[0:1], v[18:19], v[16:17], v[0:1] op_sel:[0,1,0]
	s_wait_loadcnt 0x19
	s_delay_alu instid0(VALU_DEP_1) | instskip(NEXT) | instid1(VALU_DEP_1)
	v_pk_fma_f32 v[0:1], v[22:23], v[20:21], v[0:1] op_sel_hi:[1,0,1]
	v_pk_fma_f32 v[0:1], v[24:25], v[20:21], v[0:1] op_sel:[0,1,0]
	s_wait_loadcnt 0x16
	s_delay_alu instid0(VALU_DEP_1) | instskip(SKIP_1) | instid1(VALU_DEP_1)
	v_pk_fma_f32 v[0:1], v[28:29], v[26:27], v[0:1] op_sel_hi:[1,0,1]
	s_wait_loadcnt 0x14
	v_pk_fma_f32 v[0:1], v[30:31], v[26:27], v[0:1] op_sel:[0,1,0]
	s_wait_loadcnt 0x11
	s_delay_alu instid0(VALU_DEP_1) | instskip(SKIP_1) | instid1(VALU_DEP_1)
	v_pk_fma_f32 v[0:1], v[34:35], v[32:33], v[0:1] op_sel_hi:[1,0,1]
	s_wait_loadcnt 0xf
	;; [unrolled: 5-line block ×5, first 2 shown]
	v_pk_fma_f32 v[0:1], v[56:57], v[54:55], v[0:1] op_sel:[0,1,0]
	s_and_not1_b32 exec_lo, exec_lo, s2
	s_cbranch_execnz .LBB63_15
; %bb.16:
	s_or_b32 exec_lo, exec_lo, s2
.LBB63_17:
	s_delay_alu instid0(SALU_CYCLE_1)
	s_or_b32 exec_lo, exec_lo, s3
.LBB63_18:
	v_mbcnt_lo_u32_b32 v6, -1, 0
	s_mov_b32 s2, -1
	s_delay_alu instid0(VALU_DEP_1) | instskip(SKIP_1) | instid1(VALU_DEP_1)
	v_xor_b32_e32 v7, 8, v6
	v_xor_b32_e32 v4, 16, v6
	v_cmp_gt_i32_e32 vcc_lo, 32, v4
	v_cndmask_b32_e32 v4, v6, v4, vcc_lo
	s_delay_alu instid0(VALU_DEP_4) | instskip(SKIP_1) | instid1(VALU_DEP_1)
	v_cmp_gt_i32_e32 vcc_lo, 32, v7
	v_cndmask_b32_e32 v7, v6, v7, vcc_lo
	v_dual_lshlrev_b32 v7, 2, v7 :: v_dual_lshlrev_b32 v5, 2, v4
	ds_bpermute_b32 v4, v5, v0
	ds_bpermute_b32 v5, v5, v1
	s_wait_dscnt 0x0
	v_pk_add_f32 v[0:1], v[0:1], v[4:5]
	ds_bpermute_b32 v4, v7, v0
	ds_bpermute_b32 v5, v7, v1
	v_xor_b32_e32 v7, 4, v6
	s_delay_alu instid0(VALU_DEP_1) | instskip(SKIP_1) | instid1(VALU_DEP_1)
	v_cmp_gt_i32_e32 vcc_lo, 32, v7
	v_cndmask_b32_e32 v7, v6, v7, vcc_lo
	v_lshlrev_b32_e32 v7, 2, v7
	s_wait_dscnt 0x0
	v_pk_add_f32 v[0:1], v[0:1], v[4:5]
	ds_bpermute_b32 v4, v7, v0
	ds_bpermute_b32 v5, v7, v1
	v_xor_b32_e32 v7, 2, v6
	s_delay_alu instid0(VALU_DEP_1) | instskip(SKIP_1) | instid1(VALU_DEP_1)
	v_cmp_gt_i32_e32 vcc_lo, 32, v7
	v_cndmask_b32_e32 v7, v6, v7, vcc_lo
	v_lshlrev_b32_e32 v7, 2, v7
	s_wait_dscnt 0x0
	v_pk_add_f32 v[0:1], v[0:1], v[4:5]
	ds_bpermute_b32 v4, v7, v0
	ds_bpermute_b32 v5, v7, v1
	v_xor_b32_e32 v7, 1, v6
	s_delay_alu instid0(VALU_DEP_1) | instskip(SKIP_2) | instid1(VALU_DEP_2)
	v_cmp_gt_i32_e32 vcc_lo, 32, v7
	v_cndmask_b32_e32 v6, v6, v7, vcc_lo
	v_cmp_eq_u32_e32 vcc_lo, 31, v3
	v_lshlrev_b32_e32 v6, 2, v6
	s_wait_dscnt 0x0
	v_pk_add_f32 v[0:1], v[0:1], v[4:5]
	ds_bpermute_b32 v4, v6, v0
	ds_bpermute_b32 v5, v6, v1
	s_and_b32 exec_lo, exec_lo, vcc_lo
	s_cbranch_execz .LBB63_23
; %bb.19:
	s_load_b64 s[0:1], s[0:1], 0x38
	s_wait_dscnt 0x0
	v_pk_add_f32 v[0:1], v[0:1], v[4:5]
	v_lshlrev_b32_e32 v2, 1, v2
	s_cmp_eq_f32 s12, 0
	s_cbranch_scc0 .LBB63_21
; %bb.20:
	s_delay_alu instid0(VALU_DEP_1) | instskip(SKIP_3) | instid1(VALU_DEP_2)
	v_ashrrev_i32_e32 v3, 31, v2
	v_pk_mul_f32 v[6:7], s[14:15], v[0:1] op_sel_hi:[0,1]
	s_mov_b32 s2, 0
	s_wait_kmcnt 0x0
	v_lshl_add_u64 v[4:5], v[2:3], 2, s[0:1]
	global_store_b64 v[4:5], v[6:7], off
.LBB63_21:
	s_and_not1_b32 vcc_lo, exec_lo, s2
	s_cbranch_vccnz .LBB63_23
; %bb.22:
	v_ashrrev_i32_e32 v3, 31, v2
	v_pk_mul_f32 v[0:1], s[14:15], v[0:1] op_sel_hi:[0,1]
	s_wait_kmcnt 0x0
	s_delay_alu instid0(VALU_DEP_2)
	v_lshl_add_u64 v[2:3], v[2:3], 2, s[0:1]
	global_load_b64 v[4:5], v[2:3], off
	s_wait_loadcnt 0x0
	v_pk_fma_f32 v[0:1], s[12:13], v[4:5], v[0:1] op_sel_hi:[0,1,1]
	global_store_b64 v[2:3], v[0:1], off
.LBB63_23:
	s_endpgm
	.section	.rodata,"a",@progbits
	.p2align	6, 0x0
	.amdhsa_kernel _ZN9rocsparseL19gebsrmvn_2xn_kernelILj128ELj14ELj32EfEEvi20rocsparse_direction_NS_24const_host_device_scalarIT2_EEPKiS6_PKS3_S8_S4_PS3_21rocsparse_index_base_b
		.amdhsa_group_segment_fixed_size 0
		.amdhsa_private_segment_fixed_size 0
		.amdhsa_kernarg_size 72
		.amdhsa_user_sgpr_count 2
		.amdhsa_user_sgpr_dispatch_ptr 0
		.amdhsa_user_sgpr_queue_ptr 0
		.amdhsa_user_sgpr_kernarg_segment_ptr 1
		.amdhsa_user_sgpr_dispatch_id 0
		.amdhsa_user_sgpr_kernarg_preload_length 0
		.amdhsa_user_sgpr_kernarg_preload_offset 0
		.amdhsa_user_sgpr_private_segment_size 0
		.amdhsa_wavefront_size32 1
		.amdhsa_uses_dynamic_stack 0
		.amdhsa_enable_private_segment 0
		.amdhsa_system_sgpr_workgroup_id_x 1
		.amdhsa_system_sgpr_workgroup_id_y 0
		.amdhsa_system_sgpr_workgroup_id_z 0
		.amdhsa_system_sgpr_workgroup_info 0
		.amdhsa_system_vgpr_workitem_id 0
		.amdhsa_next_free_vgpr 60
		.amdhsa_next_free_sgpr 18
		.amdhsa_named_barrier_count 0
		.amdhsa_reserve_vcc 1
		.amdhsa_float_round_mode_32 0
		.amdhsa_float_round_mode_16_64 0
		.amdhsa_float_denorm_mode_32 3
		.amdhsa_float_denorm_mode_16_64 3
		.amdhsa_fp16_overflow 0
		.amdhsa_memory_ordered 1
		.amdhsa_forward_progress 1
		.amdhsa_inst_pref_size 20
		.amdhsa_round_robin_scheduling 0
		.amdhsa_exception_fp_ieee_invalid_op 0
		.amdhsa_exception_fp_denorm_src 0
		.amdhsa_exception_fp_ieee_div_zero 0
		.amdhsa_exception_fp_ieee_overflow 0
		.amdhsa_exception_fp_ieee_underflow 0
		.amdhsa_exception_fp_ieee_inexact 0
		.amdhsa_exception_int_div_zero 0
	.end_amdhsa_kernel
	.section	.text._ZN9rocsparseL19gebsrmvn_2xn_kernelILj128ELj14ELj32EfEEvi20rocsparse_direction_NS_24const_host_device_scalarIT2_EEPKiS6_PKS3_S8_S4_PS3_21rocsparse_index_base_b,"axG",@progbits,_ZN9rocsparseL19gebsrmvn_2xn_kernelILj128ELj14ELj32EfEEvi20rocsparse_direction_NS_24const_host_device_scalarIT2_EEPKiS6_PKS3_S8_S4_PS3_21rocsparse_index_base_b,comdat
.Lfunc_end63:
	.size	_ZN9rocsparseL19gebsrmvn_2xn_kernelILj128ELj14ELj32EfEEvi20rocsparse_direction_NS_24const_host_device_scalarIT2_EEPKiS6_PKS3_S8_S4_PS3_21rocsparse_index_base_b, .Lfunc_end63-_ZN9rocsparseL19gebsrmvn_2xn_kernelILj128ELj14ELj32EfEEvi20rocsparse_direction_NS_24const_host_device_scalarIT2_EEPKiS6_PKS3_S8_S4_PS3_21rocsparse_index_base_b
                                        ; -- End function
	.set _ZN9rocsparseL19gebsrmvn_2xn_kernelILj128ELj14ELj32EfEEvi20rocsparse_direction_NS_24const_host_device_scalarIT2_EEPKiS6_PKS3_S8_S4_PS3_21rocsparse_index_base_b.num_vgpr, 60
	.set _ZN9rocsparseL19gebsrmvn_2xn_kernelILj128ELj14ELj32EfEEvi20rocsparse_direction_NS_24const_host_device_scalarIT2_EEPKiS6_PKS3_S8_S4_PS3_21rocsparse_index_base_b.num_agpr, 0
	.set _ZN9rocsparseL19gebsrmvn_2xn_kernelILj128ELj14ELj32EfEEvi20rocsparse_direction_NS_24const_host_device_scalarIT2_EEPKiS6_PKS3_S8_S4_PS3_21rocsparse_index_base_b.numbered_sgpr, 18
	.set _ZN9rocsparseL19gebsrmvn_2xn_kernelILj128ELj14ELj32EfEEvi20rocsparse_direction_NS_24const_host_device_scalarIT2_EEPKiS6_PKS3_S8_S4_PS3_21rocsparse_index_base_b.num_named_barrier, 0
	.set _ZN9rocsparseL19gebsrmvn_2xn_kernelILj128ELj14ELj32EfEEvi20rocsparse_direction_NS_24const_host_device_scalarIT2_EEPKiS6_PKS3_S8_S4_PS3_21rocsparse_index_base_b.private_seg_size, 0
	.set _ZN9rocsparseL19gebsrmvn_2xn_kernelILj128ELj14ELj32EfEEvi20rocsparse_direction_NS_24const_host_device_scalarIT2_EEPKiS6_PKS3_S8_S4_PS3_21rocsparse_index_base_b.uses_vcc, 1
	.set _ZN9rocsparseL19gebsrmvn_2xn_kernelILj128ELj14ELj32EfEEvi20rocsparse_direction_NS_24const_host_device_scalarIT2_EEPKiS6_PKS3_S8_S4_PS3_21rocsparse_index_base_b.uses_flat_scratch, 0
	.set _ZN9rocsparseL19gebsrmvn_2xn_kernelILj128ELj14ELj32EfEEvi20rocsparse_direction_NS_24const_host_device_scalarIT2_EEPKiS6_PKS3_S8_S4_PS3_21rocsparse_index_base_b.has_dyn_sized_stack, 0
	.set _ZN9rocsparseL19gebsrmvn_2xn_kernelILj128ELj14ELj32EfEEvi20rocsparse_direction_NS_24const_host_device_scalarIT2_EEPKiS6_PKS3_S8_S4_PS3_21rocsparse_index_base_b.has_recursion, 0
	.set _ZN9rocsparseL19gebsrmvn_2xn_kernelILj128ELj14ELj32EfEEvi20rocsparse_direction_NS_24const_host_device_scalarIT2_EEPKiS6_PKS3_S8_S4_PS3_21rocsparse_index_base_b.has_indirect_call, 0
	.section	.AMDGPU.csdata,"",@progbits
; Kernel info:
; codeLenInByte = 2560
; TotalNumSgprs: 20
; NumVgprs: 60
; ScratchSize: 0
; MemoryBound: 0
; FloatMode: 240
; IeeeMode: 1
; LDSByteSize: 0 bytes/workgroup (compile time only)
; SGPRBlocks: 0
; VGPRBlocks: 3
; NumSGPRsForWavesPerEU: 20
; NumVGPRsForWavesPerEU: 60
; NamedBarCnt: 0
; Occupancy: 16
; WaveLimiterHint : 1
; COMPUTE_PGM_RSRC2:SCRATCH_EN: 0
; COMPUTE_PGM_RSRC2:USER_SGPR: 2
; COMPUTE_PGM_RSRC2:TRAP_HANDLER: 0
; COMPUTE_PGM_RSRC2:TGID_X_EN: 1
; COMPUTE_PGM_RSRC2:TGID_Y_EN: 0
; COMPUTE_PGM_RSRC2:TGID_Z_EN: 0
; COMPUTE_PGM_RSRC2:TIDIG_COMP_CNT: 0
	.section	.text._ZN9rocsparseL19gebsrmvn_2xn_kernelILj128ELj14ELj64EfEEvi20rocsparse_direction_NS_24const_host_device_scalarIT2_EEPKiS6_PKS3_S8_S4_PS3_21rocsparse_index_base_b,"axG",@progbits,_ZN9rocsparseL19gebsrmvn_2xn_kernelILj128ELj14ELj64EfEEvi20rocsparse_direction_NS_24const_host_device_scalarIT2_EEPKiS6_PKS3_S8_S4_PS3_21rocsparse_index_base_b,comdat
	.globl	_ZN9rocsparseL19gebsrmvn_2xn_kernelILj128ELj14ELj64EfEEvi20rocsparse_direction_NS_24const_host_device_scalarIT2_EEPKiS6_PKS3_S8_S4_PS3_21rocsparse_index_base_b ; -- Begin function _ZN9rocsparseL19gebsrmvn_2xn_kernelILj128ELj14ELj64EfEEvi20rocsparse_direction_NS_24const_host_device_scalarIT2_EEPKiS6_PKS3_S8_S4_PS3_21rocsparse_index_base_b
	.p2align	8
	.type	_ZN9rocsparseL19gebsrmvn_2xn_kernelILj128ELj14ELj64EfEEvi20rocsparse_direction_NS_24const_host_device_scalarIT2_EEPKiS6_PKS3_S8_S4_PS3_21rocsparse_index_base_b,@function
_ZN9rocsparseL19gebsrmvn_2xn_kernelILj128ELj14ELj64EfEEvi20rocsparse_direction_NS_24const_host_device_scalarIT2_EEPKiS6_PKS3_S8_S4_PS3_21rocsparse_index_base_b: ; @_ZN9rocsparseL19gebsrmvn_2xn_kernelILj128ELj14ELj64EfEEvi20rocsparse_direction_NS_24const_host_device_scalarIT2_EEPKiS6_PKS3_S8_S4_PS3_21rocsparse_index_base_b
; %bb.0:
	s_clause 0x2
	s_load_b64 s[16:17], s[0:1], 0x40
	s_load_b64 s[14:15], s[0:1], 0x8
	;; [unrolled: 1-line block ×3, first 2 shown]
	s_wait_kmcnt 0x0
	s_bitcmp1_b32 s17, 0
	s_cselect_b32 s2, -1, 0
	s_delay_alu instid0(SALU_CYCLE_1)
	s_and_b32 vcc_lo, exec_lo, s2
	s_xor_b32 s2, s2, -1
	s_cbranch_vccnz .LBB64_2
; %bb.1:
	s_load_b32 s14, s[14:15], 0x0
.LBB64_2:
	s_and_not1_b32 vcc_lo, exec_lo, s2
	s_cbranch_vccnz .LBB64_4
; %bb.3:
	s_load_b32 s12, s[12:13], 0x0
.LBB64_4:
	s_wait_kmcnt 0x0
	s_cmp_eq_f32 s14, 0
	s_cselect_b32 s2, -1, 0
	s_cmp_eq_f32 s12, 1.0
	s_cselect_b32 s3, -1, 0
	s_delay_alu instid0(SALU_CYCLE_1) | instskip(NEXT) | instid1(SALU_CYCLE_1)
	s_and_b32 s2, s2, s3
	s_and_b32 vcc_lo, exec_lo, s2
	s_cbranch_vccnz .LBB64_23
; %bb.5:
	s_load_b64 s[2:3], s[0:1], 0x0
	s_bfe_u32 s4, ttmp6, 0x4000c
	s_and_b32 s5, ttmp6, 15
	s_add_co_i32 s4, s4, 1
	s_getreg_b32 s6, hwreg(HW_REG_IB_STS2, 6, 4)
	s_mul_i32 s4, ttmp9, s4
	v_lshrrev_b32_e32 v1, 6, v0
	s_add_co_i32 s5, s5, s4
	s_cmp_eq_u32 s6, 0
	s_cselect_b32 s4, ttmp9, s5
	s_delay_alu instid0(VALU_DEP_1) | instid1(SALU_CYCLE_1)
	v_lshl_or_b32 v2, s4, 1, v1
	s_wait_kmcnt 0x0
	s_delay_alu instid0(VALU_DEP_1)
	v_cmp_gt_i32_e32 vcc_lo, s2, v2
	s_and_saveexec_b32 s2, vcc_lo
	s_cbranch_execz .LBB64_23
; %bb.6:
	s_load_b256 s[4:11], s[0:1], 0x10
	v_ashrrev_i32_e32 v3, 31, v2
	s_cmp_lg_u32 s3, 0
	s_wait_kmcnt 0x0
	s_delay_alu instid0(VALU_DEP_1)
	v_lshl_add_u64 v[4:5], v[2:3], 2, s[4:5]
	v_and_b32_e32 v3, 63, v0
	global_load_b64 v[4:5], v[4:5], off
	s_wait_loadcnt 0x0
	v_subrev_nc_u32_e32 v0, s16, v4
	v_subrev_nc_u32_e32 v8, s16, v5
	s_delay_alu instid0(VALU_DEP_2) | instskip(NEXT) | instid1(VALU_DEP_1)
	v_add_nc_u32_e32 v9, v0, v3
	v_cmp_lt_i32_e64 s2, v9, v8
	s_cbranch_scc0 .LBB64_12
; %bb.7:
	v_mov_b32_e32 v1, 0
	s_delay_alu instid0(VALU_DEP_1)
	v_mov_b32_e32 v0, v1
	s_and_saveexec_b32 s3, s2
	s_cbranch_execz .LBB64_11
; %bb.8:
	v_mad_u32 v4, v9, 28, 26
	v_dual_mov_b32 v7, 0 :: v_dual_mov_b32 v10, v9
	s_mov_b32 s4, 0
	s_delay_alu instid0(VALU_DEP_1)
	v_dual_mov_b32 v0, v7 :: v_dual_mov_b32 v1, v7
.LBB64_9:                               ; =>This Inner Loop Header: Depth=1
	global_load_b32 v5, v10, s[6:7] scale_offset
	v_subrev_nc_u32_e32 v6, 26, v4
	s_wait_xcnt 0x0
	v_add_nc_u32_e32 v10, 64, v10
	s_delay_alu instid0(VALU_DEP_2) | instskip(SKIP_1) | instid1(VALU_DEP_3)
	v_lshl_add_u64 v[18:19], v[6:7], 2, s[8:9]
	v_subrev_nc_u32_e32 v6, 22, v4
	v_cmp_ge_i32_e32 vcc_lo, v10, v8
	s_delay_alu instid0(VALU_DEP_2)
	v_lshl_add_u64 v[20:21], v[6:7], 2, s[8:9]
	s_clause 0x1
	global_load_b128 v[12:15], v[18:19], off
	global_load_b64 v[22:23], v[20:21], off
	s_or_b32 s4, vcc_lo, s4
	s_wait_loadcnt 0x2
	v_subrev_nc_u32_e32 v5, s16, v5
	s_delay_alu instid0(VALU_DEP_1) | instskip(SKIP_1) | instid1(VALU_DEP_2)
	v_mul_lo_u32 v16, v5, 14
	v_dual_mov_b32 v17, v7 :: v_dual_mov_b32 v5, v7
	v_add_nc_u32_e32 v6, 2, v16
	s_wait_xcnt 0x1
	s_delay_alu instid0(VALU_DEP_2) | instskip(SKIP_1) | instid1(VALU_DEP_2)
	v_lshl_add_u64 v[18:19], v[16:17], 2, s[10:11]
	s_wait_xcnt 0x0
	v_lshl_add_u64 v[20:21], v[6:7], 2, s[10:11]
	v_subrev_nc_u32_e32 v6, 20, v4
	s_clause 0x1
	global_load_b64 v[18:19], v[18:19], off
	global_load_b64 v[20:21], v[20:21], off
	v_lshl_add_u64 v[24:25], v[6:7], 2, s[8:9]
	v_subrev_nc_u32_e32 v6, 18, v4
	global_load_b64 v[24:25], v[24:25], off
	v_lshl_add_u64 v[26:27], v[6:7], 2, s[8:9]
	v_add_nc_u32_e32 v6, 4, v16
	global_load_b64 v[26:27], v[26:27], off
	v_lshl_add_u64 v[28:29], v[6:7], 2, s[10:11]
	v_add_nc_u32_e32 v6, -16, v4
	global_load_b64 v[28:29], v[28:29], off
	v_lshl_add_u64 v[30:31], v[6:7], 2, s[8:9]
	v_add_nc_u32_e32 v6, -14, v4
	global_load_b64 v[30:31], v[30:31], off
	v_lshl_add_u64 v[32:33], v[6:7], 2, s[8:9]
	v_add_nc_u32_e32 v6, 6, v16
	global_load_b64 v[32:33], v[32:33], off
	v_lshl_add_u64 v[34:35], v[6:7], 2, s[10:11]
	v_add_nc_u32_e32 v6, -12, v4
	global_load_b64 v[34:35], v[34:35], off
	v_lshl_add_u64 v[36:37], v[6:7], 2, s[8:9]
	v_add_nc_u32_e32 v6, -10, v4
	global_load_b64 v[36:37], v[36:37], off
	v_lshl_add_u64 v[38:39], v[6:7], 2, s[8:9]
	v_add_nc_u32_e32 v6, 8, v16
	global_load_b64 v[38:39], v[38:39], off
	v_lshl_add_u64 v[40:41], v[6:7], 2, s[10:11]
	v_add_nc_u32_e32 v6, -8, v4
	global_load_b64 v[40:41], v[40:41], off
	v_lshl_add_u64 v[42:43], v[6:7], 2, s[8:9]
	v_add_nc_u32_e32 v6, -6, v4
	global_load_b64 v[42:43], v[42:43], off
	v_lshl_add_u64 v[44:45], v[6:7], 2, s[8:9]
	v_add_nc_u32_e32 v6, 10, v16
	s_delay_alu instid0(VALU_DEP_1)
	v_lshl_add_u64 v[46:47], v[6:7], 2, s[10:11]
	v_add_nc_u32_e32 v6, -4, v4
	global_load_b64 v[50:51], v[44:45], off
	global_load_b64 v[52:53], v[46:47], off
	v_lshl_add_u64 v[48:49], v[6:7], 2, s[8:9]
	v_add_nc_u32_e32 v6, -2, v4
	s_wait_xcnt 0x1
	s_delay_alu instid0(VALU_DEP_1)
	v_lshl_add_u64 v[44:45], v[6:7], 2, s[8:9]
	v_add_nc_u32_e32 v6, 12, v16
	global_load_b64 v[16:17], v[48:49], off
	s_wait_xcnt 0x0
	v_lshl_add_u64 v[48:49], v[4:5], 2, s[8:9]
	v_add_nc_u32_e32 v4, 0x700, v4
	v_lshl_add_u64 v[46:47], v[6:7], 2, s[10:11]
	global_load_b64 v[54:55], v[44:45], off
	global_load_b64 v[56:57], v[46:47], off
	;; [unrolled: 1-line block ×3, first 2 shown]
	s_wait_loadcnt 0x11
	v_pk_fma_f32 v[0:1], v[12:13], v[18:19], v[0:1] op_sel_hi:[1,0,1]
	s_delay_alu instid0(VALU_DEP_1) | instskip(SKIP_1) | instid1(VALU_DEP_1)
	v_pk_fma_f32 v[0:1], v[14:15], v[18:19], v[0:1] op_sel:[0,1,0]
	s_wait_loadcnt 0x10
	v_pk_fma_f32 v[0:1], v[22:23], v[20:21], v[0:1] op_sel_hi:[1,0,1]
	s_wait_loadcnt 0xf
	s_delay_alu instid0(VALU_DEP_1) | instskip(SKIP_1) | instid1(VALU_DEP_1)
	v_pk_fma_f32 v[0:1], v[24:25], v[20:21], v[0:1] op_sel:[0,1,0]
	s_wait_loadcnt 0xd
	v_pk_fma_f32 v[0:1], v[26:27], v[28:29], v[0:1] op_sel_hi:[1,0,1]
	s_wait_loadcnt 0xc
	;; [unrolled: 5-line block ×6, first 2 shown]
	s_delay_alu instid0(VALU_DEP_1)
	v_pk_fma_f32 v[0:1], v[58:59], v[56:57], v[0:1] op_sel:[0,1,0]
	s_and_not1_b32 exec_lo, exec_lo, s4
	s_cbranch_execnz .LBB64_9
; %bb.10:
	s_or_b32 exec_lo, exec_lo, s4
.LBB64_11:
	s_delay_alu instid0(SALU_CYCLE_1)
	s_or_b32 exec_lo, exec_lo, s3
	s_cbranch_execz .LBB64_13
	s_branch .LBB64_18
.LBB64_12:
                                        ; implicit-def: $vgpr1
.LBB64_13:
	v_mov_b32_e32 v1, 0
	s_delay_alu instid0(VALU_DEP_1)
	v_mov_b32_e32 v0, v1
	s_and_saveexec_b32 s3, s2
	s_cbranch_execz .LBB64_17
; %bb.14:
	v_mad_u32 v6, v9, 28, 27
	v_mov_b32_e32 v5, 0
	s_mov_b32 s2, 0
	s_delay_alu instid0(VALU_DEP_1)
	v_dual_mov_b32 v0, v5 :: v_dual_mov_b32 v1, v5
.LBB64_15:                              ; =>This Inner Loop Header: Depth=1
	global_load_b32 v4, v9, s[6:7] scale_offset
	v_dual_mov_b32 v15, v5 :: v_dual_add_nc_u32 v7, -12, v6
	v_add_nc_u32_e32 v18, -11, v6
	v_subrev_nc_u32_e32 v24, 23, v6
	v_subrev_nc_u32_e32 v32, 22, v6
	;; [unrolled: 1-line block ×4, first 2 shown]
	v_add_nc_u32_e32 v45, -4, v6
	s_clause 0x1
	global_load_b32 v19, v7, s[8:9] scale_offset
	global_load_b32 v23, v18, s[8:9] scale_offset
	v_dual_add_nc_u32 v22, -10, v6 :: v_dual_add_nc_u32 v37, -7, v6
	s_wait_xcnt 0x2
	v_add_nc_u32_e32 v9, 64, v9
	global_load_b32 v25, v22, s[8:9] scale_offset
	s_wait_xcnt 0x1
	v_dual_add_nc_u32 v7, -9, v6 :: v_dual_add_nc_u32 v18, -8, v6
	s_wait_xcnt 0x0
	v_subrev_nc_u32_e32 v22, 20, v6
	v_cmp_ge_i32_e32 vcc_lo, v9, v8
	s_or_b32 s2, vcc_lo, s2
	s_wait_loadcnt 0x3
	v_subrev_nc_u32_e32 v4, s16, v4
	s_delay_alu instid0(VALU_DEP_1) | instskip(SKIP_1) | instid1(VALU_DEP_1)
	v_mul_lo_u32 v14, v4, 14
	v_subrev_nc_u32_e32 v4, 27, v6
	v_lshl_add_u64 v[10:11], v[4:5], 2, s[8:9]
	v_add_nc_u32_e32 v4, -13, v6
	global_load_b128 v[10:13], v[10:11], off
	v_lshl_add_u64 v[16:17], v[14:15], 2, s[10:11]
	global_load_b32 v15, v4, s[8:9] scale_offset
	s_wait_xcnt 0x0
	v_add_nc_u32_e32 v4, 2, v14
	global_load_b64 v[16:17], v[16:17], off
	v_lshl_add_u64 v[20:21], v[4:5], 2, s[10:11]
	v_add_nc_u32_e32 v4, 4, v14
	global_load_b64 v[20:21], v[20:21], off
	v_lshl_add_u64 v[26:27], v[4:5], 2, s[10:11]
	s_clause 0x1
	global_load_b32 v28, v24, s[8:9] scale_offset
	global_load_b32 v29, v7, s[8:9] scale_offset
	v_add_nc_u32_e32 v4, 6, v14
	s_wait_xcnt 0x0
	v_add_nc_u32_e32 v7, -6, v6
	v_subrev_nc_u32_e32 v24, 19, v6
	global_load_b64 v[26:27], v[26:27], off
	s_clause 0x1
	global_load_b32 v30, v32, s[8:9] scale_offset
	global_load_b32 v31, v18, s[8:9] scale_offset
	s_wait_xcnt 0x1
	v_lshl_add_u64 v[32:33], v[4:5], 2, s[10:11]
	s_clause 0x1
	global_load_b32 v34, v36, s[8:9] scale_offset
	global_load_b32 v35, v37, s[8:9] scale_offset
	v_add_nc_u32_e32 v4, 8, v14
	s_wait_xcnt 0x2
	v_add_nc_u32_e32 v18, -5, v6
	global_load_b64 v[32:33], v[32:33], off
	s_clause 0x1
	global_load_b32 v36, v22, s[8:9] scale_offset
	global_load_b32 v37, v7, s[8:9] scale_offset
	v_lshl_add_u64 v[38:39], v[4:5], 2, s[10:11]
	s_clause 0x1
	global_load_b32 v40, v24, s[8:9] scale_offset
	global_load_b32 v41, v18, s[8:9] scale_offset
	v_add_nc_u32_e32 v4, 10, v14
	s_wait_xcnt 0x2
	v_subrev_nc_u32_e32 v7, 17, v6
	s_wait_xcnt 0x0
	v_add_nc_u32_e32 v18, -3, v6
	global_load_b64 v[38:39], v[38:39], off
	s_clause 0x1
	global_load_b32 v42, v44, s[8:9] scale_offset
	global_load_b32 v43, v45, s[8:9] scale_offset
	s_wait_xcnt 0x0
	v_lshl_add_u64 v[44:45], v[4:5], 2, s[10:11]
	v_dual_add_nc_u32 v22, -16, v6 :: v_dual_add_nc_u32 v24, -2, v6
	s_clause 0x1
	global_load_b32 v46, v7, s[8:9] scale_offset
	global_load_b32 v47, v18, s[8:9] scale_offset
	v_add_nc_u32_e32 v4, 12, v14
	global_load_b64 v[44:45], v[44:45], off
	s_clause 0x1
	global_load_b32 v48, v22, s[8:9] scale_offset
	global_load_b32 v49, v24, s[8:9] scale_offset
	s_wait_xcnt 0x4
	v_dual_add_nc_u32 v7, -15, v6 :: v_dual_add_nc_u32 v14, -1, v6
	v_lshl_add_u64 v[50:51], v[4:5], 2, s[10:11]
	v_add_nc_u32_e32 v4, -14, v6
	s_clause 0x1
	global_load_b32 v52, v7, s[8:9] scale_offset
	global_load_b32 v53, v14, s[8:9] scale_offset
	global_load_b64 v[54:55], v[50:51], off
	s_clause 0x1
	global_load_b32 v56, v4, s[8:9] scale_offset
	global_load_b32 v57, v6, s[8:9] scale_offset
	s_wait_xcnt 0x0
	v_add_nc_u32_e32 v6, 0x700, v6
	s_wait_loadcnt 0x1c
	v_dual_mov_b32 v14, v10 :: v_dual_mov_b32 v18, v11
	v_dual_mov_b32 v22, v12 :: v_dual_mov_b32 v24, v13
	s_wait_loadcnt 0x1a
	s_delay_alu instid0(VALU_DEP_2) | instskip(NEXT) | instid1(VALU_DEP_1)
	v_pk_fma_f32 v[0:1], v[14:15], v[16:17], v[0:1] op_sel_hi:[1,0,1]
	v_pk_fma_f32 v[0:1], v[18:19], v[16:17], v[0:1] op_sel:[0,1,0]
	s_wait_loadcnt 0x19
	s_delay_alu instid0(VALU_DEP_1) | instskip(NEXT) | instid1(VALU_DEP_1)
	v_pk_fma_f32 v[0:1], v[22:23], v[20:21], v[0:1] op_sel_hi:[1,0,1]
	v_pk_fma_f32 v[0:1], v[24:25], v[20:21], v[0:1] op_sel:[0,1,0]
	s_wait_loadcnt 0x16
	s_delay_alu instid0(VALU_DEP_1) | instskip(SKIP_1) | instid1(VALU_DEP_1)
	v_pk_fma_f32 v[0:1], v[28:29], v[26:27], v[0:1] op_sel_hi:[1,0,1]
	s_wait_loadcnt 0x14
	v_pk_fma_f32 v[0:1], v[30:31], v[26:27], v[0:1] op_sel:[0,1,0]
	s_wait_loadcnt 0x11
	s_delay_alu instid0(VALU_DEP_1) | instskip(SKIP_1) | instid1(VALU_DEP_1)
	v_pk_fma_f32 v[0:1], v[34:35], v[32:33], v[0:1] op_sel_hi:[1,0,1]
	s_wait_loadcnt 0xf
	;; [unrolled: 5-line block ×5, first 2 shown]
	v_pk_fma_f32 v[0:1], v[56:57], v[54:55], v[0:1] op_sel:[0,1,0]
	s_and_not1_b32 exec_lo, exec_lo, s2
	s_cbranch_execnz .LBB64_15
; %bb.16:
	s_or_b32 exec_lo, exec_lo, s2
.LBB64_17:
	s_delay_alu instid0(SALU_CYCLE_1)
	s_or_b32 exec_lo, exec_lo, s3
.LBB64_18:
	v_mbcnt_lo_u32_b32 v6, -1, 0
	s_mov_b32 s2, -1
	s_delay_alu instid0(VALU_DEP_1) | instskip(SKIP_1) | instid1(VALU_DEP_1)
	v_xor_b32_e32 v7, 16, v6
	v_or_b32_e32 v4, 32, v6
	v_cmp_gt_i32_e32 vcc_lo, 32, v4
	v_cndmask_b32_e32 v4, v6, v4, vcc_lo
	s_delay_alu instid0(VALU_DEP_4) | instskip(SKIP_1) | instid1(VALU_DEP_1)
	v_cmp_gt_i32_e32 vcc_lo, 32, v7
	v_cndmask_b32_e32 v7, v6, v7, vcc_lo
	v_dual_lshlrev_b32 v7, 2, v7 :: v_dual_lshlrev_b32 v5, 2, v4
	ds_bpermute_b32 v4, v5, v0
	ds_bpermute_b32 v5, v5, v1
	s_wait_dscnt 0x0
	v_pk_add_f32 v[0:1], v[0:1], v[4:5]
	ds_bpermute_b32 v4, v7, v0
	ds_bpermute_b32 v5, v7, v1
	v_xor_b32_e32 v7, 8, v6
	s_delay_alu instid0(VALU_DEP_1) | instskip(SKIP_1) | instid1(VALU_DEP_1)
	v_cmp_gt_i32_e32 vcc_lo, 32, v7
	v_cndmask_b32_e32 v7, v6, v7, vcc_lo
	v_lshlrev_b32_e32 v7, 2, v7
	s_wait_dscnt 0x0
	v_pk_add_f32 v[0:1], v[0:1], v[4:5]
	ds_bpermute_b32 v4, v7, v0
	ds_bpermute_b32 v5, v7, v1
	v_xor_b32_e32 v7, 4, v6
	s_delay_alu instid0(VALU_DEP_1) | instskip(SKIP_1) | instid1(VALU_DEP_1)
	v_cmp_gt_i32_e32 vcc_lo, 32, v7
	v_cndmask_b32_e32 v7, v6, v7, vcc_lo
	v_lshlrev_b32_e32 v7, 2, v7
	;; [unrolled: 9-line block ×3, first 2 shown]
	s_wait_dscnt 0x0
	v_pk_add_f32 v[0:1], v[0:1], v[4:5]
	ds_bpermute_b32 v4, v7, v0
	ds_bpermute_b32 v5, v7, v1
	v_xor_b32_e32 v7, 1, v6
	s_delay_alu instid0(VALU_DEP_1) | instskip(SKIP_2) | instid1(VALU_DEP_2)
	v_cmp_gt_i32_e32 vcc_lo, 32, v7
	v_cndmask_b32_e32 v6, v6, v7, vcc_lo
	v_cmp_eq_u32_e32 vcc_lo, 63, v3
	v_lshlrev_b32_e32 v6, 2, v6
	s_wait_dscnt 0x0
	v_pk_add_f32 v[0:1], v[0:1], v[4:5]
	ds_bpermute_b32 v4, v6, v0
	ds_bpermute_b32 v5, v6, v1
	s_and_b32 exec_lo, exec_lo, vcc_lo
	s_cbranch_execz .LBB64_23
; %bb.19:
	s_load_b64 s[0:1], s[0:1], 0x38
	s_wait_dscnt 0x0
	v_pk_add_f32 v[0:1], v[0:1], v[4:5]
	v_lshlrev_b32_e32 v2, 1, v2
	s_cmp_eq_f32 s12, 0
	s_cbranch_scc0 .LBB64_21
; %bb.20:
	s_delay_alu instid0(VALU_DEP_1) | instskip(SKIP_3) | instid1(VALU_DEP_2)
	v_ashrrev_i32_e32 v3, 31, v2
	v_pk_mul_f32 v[6:7], s[14:15], v[0:1] op_sel_hi:[0,1]
	s_mov_b32 s2, 0
	s_wait_kmcnt 0x0
	v_lshl_add_u64 v[4:5], v[2:3], 2, s[0:1]
	global_store_b64 v[4:5], v[6:7], off
.LBB64_21:
	s_and_not1_b32 vcc_lo, exec_lo, s2
	s_cbranch_vccnz .LBB64_23
; %bb.22:
	v_ashrrev_i32_e32 v3, 31, v2
	v_pk_mul_f32 v[0:1], s[14:15], v[0:1] op_sel_hi:[0,1]
	s_wait_kmcnt 0x0
	s_delay_alu instid0(VALU_DEP_2)
	v_lshl_add_u64 v[2:3], v[2:3], 2, s[0:1]
	global_load_b64 v[4:5], v[2:3], off
	s_wait_loadcnt 0x0
	v_pk_fma_f32 v[0:1], s[12:13], v[4:5], v[0:1] op_sel_hi:[0,1,1]
	global_store_b64 v[2:3], v[0:1], off
.LBB64_23:
	s_endpgm
	.section	.rodata,"a",@progbits
	.p2align	6, 0x0
	.amdhsa_kernel _ZN9rocsparseL19gebsrmvn_2xn_kernelILj128ELj14ELj64EfEEvi20rocsparse_direction_NS_24const_host_device_scalarIT2_EEPKiS6_PKS3_S8_S4_PS3_21rocsparse_index_base_b
		.amdhsa_group_segment_fixed_size 0
		.amdhsa_private_segment_fixed_size 0
		.amdhsa_kernarg_size 72
		.amdhsa_user_sgpr_count 2
		.amdhsa_user_sgpr_dispatch_ptr 0
		.amdhsa_user_sgpr_queue_ptr 0
		.amdhsa_user_sgpr_kernarg_segment_ptr 1
		.amdhsa_user_sgpr_dispatch_id 0
		.amdhsa_user_sgpr_kernarg_preload_length 0
		.amdhsa_user_sgpr_kernarg_preload_offset 0
		.amdhsa_user_sgpr_private_segment_size 0
		.amdhsa_wavefront_size32 1
		.amdhsa_uses_dynamic_stack 0
		.amdhsa_enable_private_segment 0
		.amdhsa_system_sgpr_workgroup_id_x 1
		.amdhsa_system_sgpr_workgroup_id_y 0
		.amdhsa_system_sgpr_workgroup_id_z 0
		.amdhsa_system_sgpr_workgroup_info 0
		.amdhsa_system_vgpr_workitem_id 0
		.amdhsa_next_free_vgpr 60
		.amdhsa_next_free_sgpr 18
		.amdhsa_named_barrier_count 0
		.amdhsa_reserve_vcc 1
		.amdhsa_float_round_mode_32 0
		.amdhsa_float_round_mode_16_64 0
		.amdhsa_float_denorm_mode_32 3
		.amdhsa_float_denorm_mode_16_64 3
		.amdhsa_fp16_overflow 0
		.amdhsa_memory_ordered 1
		.amdhsa_forward_progress 1
		.amdhsa_inst_pref_size 21
		.amdhsa_round_robin_scheduling 0
		.amdhsa_exception_fp_ieee_invalid_op 0
		.amdhsa_exception_fp_denorm_src 0
		.amdhsa_exception_fp_ieee_div_zero 0
		.amdhsa_exception_fp_ieee_overflow 0
		.amdhsa_exception_fp_ieee_underflow 0
		.amdhsa_exception_fp_ieee_inexact 0
		.amdhsa_exception_int_div_zero 0
	.end_amdhsa_kernel
	.section	.text._ZN9rocsparseL19gebsrmvn_2xn_kernelILj128ELj14ELj64EfEEvi20rocsparse_direction_NS_24const_host_device_scalarIT2_EEPKiS6_PKS3_S8_S4_PS3_21rocsparse_index_base_b,"axG",@progbits,_ZN9rocsparseL19gebsrmvn_2xn_kernelILj128ELj14ELj64EfEEvi20rocsparse_direction_NS_24const_host_device_scalarIT2_EEPKiS6_PKS3_S8_S4_PS3_21rocsparse_index_base_b,comdat
.Lfunc_end64:
	.size	_ZN9rocsparseL19gebsrmvn_2xn_kernelILj128ELj14ELj64EfEEvi20rocsparse_direction_NS_24const_host_device_scalarIT2_EEPKiS6_PKS3_S8_S4_PS3_21rocsparse_index_base_b, .Lfunc_end64-_ZN9rocsparseL19gebsrmvn_2xn_kernelILj128ELj14ELj64EfEEvi20rocsparse_direction_NS_24const_host_device_scalarIT2_EEPKiS6_PKS3_S8_S4_PS3_21rocsparse_index_base_b
                                        ; -- End function
	.set _ZN9rocsparseL19gebsrmvn_2xn_kernelILj128ELj14ELj64EfEEvi20rocsparse_direction_NS_24const_host_device_scalarIT2_EEPKiS6_PKS3_S8_S4_PS3_21rocsparse_index_base_b.num_vgpr, 60
	.set _ZN9rocsparseL19gebsrmvn_2xn_kernelILj128ELj14ELj64EfEEvi20rocsparse_direction_NS_24const_host_device_scalarIT2_EEPKiS6_PKS3_S8_S4_PS3_21rocsparse_index_base_b.num_agpr, 0
	.set _ZN9rocsparseL19gebsrmvn_2xn_kernelILj128ELj14ELj64EfEEvi20rocsparse_direction_NS_24const_host_device_scalarIT2_EEPKiS6_PKS3_S8_S4_PS3_21rocsparse_index_base_b.numbered_sgpr, 18
	.set _ZN9rocsparseL19gebsrmvn_2xn_kernelILj128ELj14ELj64EfEEvi20rocsparse_direction_NS_24const_host_device_scalarIT2_EEPKiS6_PKS3_S8_S4_PS3_21rocsparse_index_base_b.num_named_barrier, 0
	.set _ZN9rocsparseL19gebsrmvn_2xn_kernelILj128ELj14ELj64EfEEvi20rocsparse_direction_NS_24const_host_device_scalarIT2_EEPKiS6_PKS3_S8_S4_PS3_21rocsparse_index_base_b.private_seg_size, 0
	.set _ZN9rocsparseL19gebsrmvn_2xn_kernelILj128ELj14ELj64EfEEvi20rocsparse_direction_NS_24const_host_device_scalarIT2_EEPKiS6_PKS3_S8_S4_PS3_21rocsparse_index_base_b.uses_vcc, 1
	.set _ZN9rocsparseL19gebsrmvn_2xn_kernelILj128ELj14ELj64EfEEvi20rocsparse_direction_NS_24const_host_device_scalarIT2_EEPKiS6_PKS3_S8_S4_PS3_21rocsparse_index_base_b.uses_flat_scratch, 0
	.set _ZN9rocsparseL19gebsrmvn_2xn_kernelILj128ELj14ELj64EfEEvi20rocsparse_direction_NS_24const_host_device_scalarIT2_EEPKiS6_PKS3_S8_S4_PS3_21rocsparse_index_base_b.has_dyn_sized_stack, 0
	.set _ZN9rocsparseL19gebsrmvn_2xn_kernelILj128ELj14ELj64EfEEvi20rocsparse_direction_NS_24const_host_device_scalarIT2_EEPKiS6_PKS3_S8_S4_PS3_21rocsparse_index_base_b.has_recursion, 0
	.set _ZN9rocsparseL19gebsrmvn_2xn_kernelILj128ELj14ELj64EfEEvi20rocsparse_direction_NS_24const_host_device_scalarIT2_EEPKiS6_PKS3_S8_S4_PS3_21rocsparse_index_base_b.has_indirect_call, 0
	.section	.AMDGPU.csdata,"",@progbits
; Kernel info:
; codeLenInByte = 2608
; TotalNumSgprs: 20
; NumVgprs: 60
; ScratchSize: 0
; MemoryBound: 0
; FloatMode: 240
; IeeeMode: 1
; LDSByteSize: 0 bytes/workgroup (compile time only)
; SGPRBlocks: 0
; VGPRBlocks: 3
; NumSGPRsForWavesPerEU: 20
; NumVGPRsForWavesPerEU: 60
; NamedBarCnt: 0
; Occupancy: 16
; WaveLimiterHint : 1
; COMPUTE_PGM_RSRC2:SCRATCH_EN: 0
; COMPUTE_PGM_RSRC2:USER_SGPR: 2
; COMPUTE_PGM_RSRC2:TRAP_HANDLER: 0
; COMPUTE_PGM_RSRC2:TGID_X_EN: 1
; COMPUTE_PGM_RSRC2:TGID_Y_EN: 0
; COMPUTE_PGM_RSRC2:TGID_Z_EN: 0
; COMPUTE_PGM_RSRC2:TIDIG_COMP_CNT: 0
	.section	.text._ZN9rocsparseL19gebsrmvn_2xn_kernelILj128ELj15ELj4EfEEvi20rocsparse_direction_NS_24const_host_device_scalarIT2_EEPKiS6_PKS3_S8_S4_PS3_21rocsparse_index_base_b,"axG",@progbits,_ZN9rocsparseL19gebsrmvn_2xn_kernelILj128ELj15ELj4EfEEvi20rocsparse_direction_NS_24const_host_device_scalarIT2_EEPKiS6_PKS3_S8_S4_PS3_21rocsparse_index_base_b,comdat
	.globl	_ZN9rocsparseL19gebsrmvn_2xn_kernelILj128ELj15ELj4EfEEvi20rocsparse_direction_NS_24const_host_device_scalarIT2_EEPKiS6_PKS3_S8_S4_PS3_21rocsparse_index_base_b ; -- Begin function _ZN9rocsparseL19gebsrmvn_2xn_kernelILj128ELj15ELj4EfEEvi20rocsparse_direction_NS_24const_host_device_scalarIT2_EEPKiS6_PKS3_S8_S4_PS3_21rocsparse_index_base_b
	.p2align	8
	.type	_ZN9rocsparseL19gebsrmvn_2xn_kernelILj128ELj15ELj4EfEEvi20rocsparse_direction_NS_24const_host_device_scalarIT2_EEPKiS6_PKS3_S8_S4_PS3_21rocsparse_index_base_b,@function
_ZN9rocsparseL19gebsrmvn_2xn_kernelILj128ELj15ELj4EfEEvi20rocsparse_direction_NS_24const_host_device_scalarIT2_EEPKiS6_PKS3_S8_S4_PS3_21rocsparse_index_base_b: ; @_ZN9rocsparseL19gebsrmvn_2xn_kernelILj128ELj15ELj4EfEEvi20rocsparse_direction_NS_24const_host_device_scalarIT2_EEPKiS6_PKS3_S8_S4_PS3_21rocsparse_index_base_b
; %bb.0:
	s_clause 0x2
	s_load_b64 s[16:17], s[0:1], 0x40
	s_load_b64 s[14:15], s[0:1], 0x8
	;; [unrolled: 1-line block ×3, first 2 shown]
	s_wait_kmcnt 0x0
	s_bitcmp1_b32 s17, 0
	s_cselect_b32 s2, -1, 0
	s_delay_alu instid0(SALU_CYCLE_1)
	s_and_b32 vcc_lo, exec_lo, s2
	s_xor_b32 s2, s2, -1
	s_cbranch_vccnz .LBB65_2
; %bb.1:
	s_load_b32 s14, s[14:15], 0x0
.LBB65_2:
	s_and_not1_b32 vcc_lo, exec_lo, s2
	s_cbranch_vccnz .LBB65_4
; %bb.3:
	s_load_b32 s12, s[12:13], 0x0
.LBB65_4:
	s_wait_kmcnt 0x0
	s_cmp_eq_f32 s14, 0
	s_cselect_b32 s2, -1, 0
	s_cmp_eq_f32 s12, 1.0
	s_cselect_b32 s3, -1, 0
	s_delay_alu instid0(SALU_CYCLE_1) | instskip(NEXT) | instid1(SALU_CYCLE_1)
	s_and_b32 s2, s2, s3
	s_and_b32 vcc_lo, exec_lo, s2
	s_cbranch_vccnz .LBB65_23
; %bb.5:
	s_load_b64 s[2:3], s[0:1], 0x0
	s_bfe_u32 s4, ttmp6, 0x4000c
	s_and_b32 s5, ttmp6, 15
	s_add_co_i32 s4, s4, 1
	s_getreg_b32 s6, hwreg(HW_REG_IB_STS2, 6, 4)
	s_mul_i32 s4, ttmp9, s4
	v_lshrrev_b32_e32 v1, 2, v0
	s_add_co_i32 s5, s5, s4
	s_cmp_eq_u32 s6, 0
	s_cselect_b32 s4, ttmp9, s5
	s_delay_alu instid0(VALU_DEP_1) | instid1(SALU_CYCLE_1)
	v_lshl_or_b32 v2, s4, 5, v1
	s_wait_kmcnt 0x0
	s_delay_alu instid0(VALU_DEP_1)
	v_cmp_gt_i32_e32 vcc_lo, s2, v2
	s_and_saveexec_b32 s2, vcc_lo
	s_cbranch_execz .LBB65_23
; %bb.6:
	s_load_b256 s[4:11], s[0:1], 0x10
	v_ashrrev_i32_e32 v3, 31, v2
	s_cmp_lg_u32 s3, 0
	s_wait_kmcnt 0x0
	s_delay_alu instid0(VALU_DEP_1)
	v_lshl_add_u64 v[4:5], v[2:3], 2, s[4:5]
	v_and_b32_e32 v3, 3, v0
	global_load_b64 v[4:5], v[4:5], off
	s_wait_loadcnt 0x0
	v_subrev_nc_u32_e32 v0, s16, v4
	v_subrev_nc_u32_e32 v8, s16, v5
	s_delay_alu instid0(VALU_DEP_2) | instskip(NEXT) | instid1(VALU_DEP_1)
	v_add_nc_u32_e32 v9, v0, v3
	v_cmp_lt_i32_e64 s2, v9, v8
	s_cbranch_scc0 .LBB65_12
; %bb.7:
	v_mov_b32_e32 v1, 0
	s_delay_alu instid0(VALU_DEP_1)
	v_mov_b32_e32 v0, v1
	s_and_saveexec_b32 s3, s2
	s_cbranch_execz .LBB65_11
; %bb.8:
	v_mad_u32 v4, v9, 30, 28
	v_dual_mov_b32 v7, 0 :: v_dual_mov_b32 v10, v9
	s_mov_b32 s4, 0
	s_delay_alu instid0(VALU_DEP_1)
	v_dual_mov_b32 v0, v7 :: v_dual_mov_b32 v1, v7
.LBB65_9:                               ; =>This Inner Loop Header: Depth=1
	global_load_b32 v11, v10, s[6:7] scale_offset
	v_subrev_nc_u32_e32 v6, 28, v4
	s_wait_xcnt 0x0
	v_dual_mov_b32 v5, v7 :: v_dual_add_nc_u32 v10, 4, v10
	s_delay_alu instid0(VALU_DEP_2) | instskip(SKIP_1) | instid1(VALU_DEP_3)
	v_lshl_add_u64 v[12:13], v[6:7], 2, s[8:9]
	v_subrev_nc_u32_e32 v6, 26, v4
	v_cmp_ge_i32_e32 vcc_lo, v10, v8
	global_load_b64 v[12:13], v[12:13], off
	v_lshl_add_u64 v[14:15], v[6:7], 2, s[8:9]
	v_subrev_nc_u32_e32 v6, 24, v4
	s_or_b32 s4, vcc_lo, s4
	global_load_b64 v[14:15], v[14:15], off
	v_lshl_add_u64 v[16:17], v[6:7], 2, s[8:9]
	v_subrev_nc_u32_e32 v6, 22, v4
	global_load_b64 v[16:17], v[16:17], off
	v_lshl_add_u64 v[18:19], v[6:7], 2, s[8:9]
	v_subrev_nc_u32_e32 v6, 20, v4
	;; [unrolled: 3-line block ×3, first 2 shown]
	global_load_b64 v[20:21], v[20:21], off
	v_lshl_add_u64 v[22:23], v[6:7], 2, s[8:9]
	v_add_nc_u32_e32 v6, -16, v4
	global_load_b64 v[22:23], v[22:23], off
	v_lshl_add_u64 v[24:25], v[6:7], 2, s[8:9]
	v_add_nc_u32_e32 v6, -14, v4
	global_load_b64 v[24:25], v[24:25], off
	v_lshl_add_u64 v[26:27], v[6:7], 2, s[8:9]
	global_load_b64 v[26:27], v[26:27], off
	s_wait_loadcnt 0x8
	v_subrev_nc_u32_e32 v6, s16, v11
	s_delay_alu instid0(VALU_DEP_1)
	v_mul_lo_u32 v11, v6, 15
	global_load_b32 v28, v11, s[10:11] scale_offset
	v_dual_add_nc_u32 v6, 1, v11 :: v_dual_add_nc_u32 v31, 3, v11
	v_dual_add_nc_u32 v29, 2, v11 :: v_dual_add_nc_u32 v35, 13, v11
	s_clause 0x1
	global_load_b32 v36, v31, s[10:11] scale_offset
	global_load_b32 v30, v6, s[10:11] scale_offset
	s_wait_xcnt 0x1
	v_add_nc_u32_e32 v31, 7, v11
	s_clause 0x1
	global_load_b32 v34, v29, s[10:11] scale_offset
	global_load_b32 v48, v31, s[10:11] scale_offset
	s_wait_xcnt 0x0
	v_dual_add_nc_u32 v6, -12, v4 :: v_dual_add_nc_u32 v31, 11, v11
	s_delay_alu instid0(VALU_DEP_1)
	v_lshl_add_u64 v[32:33], v[6:7], 2, s[8:9]
	v_add_nc_u32_e32 v6, -10, v4
	global_load_b64 v[32:33], v[32:33], off
	v_lshl_add_u64 v[38:39], v[6:7], 2, s[8:9]
	v_add_nc_u32_e32 v6, 5, v11
	global_load_b64 v[38:39], v[38:39], off
	global_load_b32 v42, v6, s[10:11] scale_offset
	s_wait_xcnt 0x0
	v_dual_add_nc_u32 v6, -8, v4 :: v_dual_add_nc_u32 v29, 4, v11
	s_delay_alu instid0(VALU_DEP_1)
	v_lshl_add_u64 v[44:45], v[6:7], 2, s[8:9]
	v_add_nc_u32_e32 v6, -6, v4
	global_load_b32 v40, v29, s[10:11] scale_offset
	global_load_b64 v[44:45], v[44:45], off
	v_lshl_add_u64 v[50:51], v[6:7], 2, s[8:9]
	v_add_nc_u32_e32 v6, 9, v11
	global_load_b32 v54, v6, s[10:11] scale_offset
	s_wait_xcnt 0x0
	v_dual_add_nc_u32 v29, 6, v11 :: v_dual_add_nc_u32 v6, -4, v4
	global_load_b32 v46, v29, s[10:11] scale_offset
	s_wait_xcnt 0x0
	v_add_nc_u32_e32 v29, 8, v11
	global_load_b32 v52, v29, s[10:11] scale_offset
	s_wait_xcnt 0x0
	v_add_nc_u32_e32 v29, 10, v11
	global_load_b32 v58, v29, s[10:11] scale_offset
	global_load_b64 v[60:61], v[50:51], off
	s_wait_xcnt 0x1
	v_add_nc_u32_e32 v29, 12, v11
	v_lshl_add_u64 v[56:57], v[6:7], 2, s[8:9]
	v_add_nc_u32_e32 v6, -2, v4
	global_load_b64 v[50:51], v[56:57], off
	s_wait_loadcnt 0xf
	v_pk_fma_f32 v[0:1], v[12:13], v[28:29], v[0:1] op_sel_hi:[1,0,1]
	v_lshl_add_u64 v[12:13], v[6:7], 2, s[8:9]
	global_load_b32 v6, v29, s[10:11] scale_offset
	global_load_b64 v[12:13], v[12:13], off
	global_load_b32 v56, v31, s[10:11] scale_offset
	s_wait_loadcnt 0x10
	v_pk_fma_f32 v[0:1], v[14:15], v[30:31], v[0:1] op_sel_hi:[1,0,1]
	v_lshl_add_u64 v[14:15], v[4:5], 2, s[8:9]
	v_add_nc_u32_e32 v5, 14, v11
	global_load_b32 v28, v35, s[10:11] scale_offset
	global_load_b64 v[30:31], v[14:15], off
	global_load_b32 v62, v5, s[10:11] scale_offset
	s_wait_loadcnt 0x12
	v_pk_fma_f32 v[0:1], v[16:17], v[34:35], v[0:1] op_sel_hi:[1,0,1]
	v_add_nc_u32_e32 v4, 0x78, v4
	s_delay_alu instid0(VALU_DEP_2) | instskip(SKIP_1) | instid1(VALU_DEP_1)
	v_pk_fma_f32 v[0:1], v[18:19], v[36:37], v[0:1] op_sel_hi:[1,0,1]
	s_wait_loadcnt 0xd
	v_pk_fma_f32 v[0:1], v[20:21], v[40:41], v[0:1] op_sel_hi:[1,0,1]
	s_delay_alu instid0(VALU_DEP_1) | instskip(SKIP_1) | instid1(VALU_DEP_1)
	v_pk_fma_f32 v[0:1], v[22:23], v[42:43], v[0:1] op_sel_hi:[1,0,1]
	s_wait_loadcnt 0xa
	v_pk_fma_f32 v[0:1], v[24:25], v[46:47], v[0:1] op_sel_hi:[1,0,1]
	s_delay_alu instid0(VALU_DEP_1) | instskip(SKIP_1) | instid1(VALU_DEP_1)
	;; [unrolled: 4-line block ×3, first 2 shown]
	v_pk_fma_f32 v[0:1], v[38:39], v[54:55], v[0:1] op_sel_hi:[1,0,1]
	s_wait_loadcnt 0x8
	v_pk_fma_f32 v[0:1], v[44:45], v[58:59], v[0:1] op_sel_hi:[1,0,1]
	s_wait_loadcnt 0x3
	s_delay_alu instid0(VALU_DEP_1) | instskip(NEXT) | instid1(VALU_DEP_1)
	v_pk_fma_f32 v[0:1], v[60:61], v[56:57], v[0:1] op_sel_hi:[1,0,1]
	v_pk_fma_f32 v[0:1], v[50:51], v[6:7], v[0:1] op_sel_hi:[1,0,1]
	s_wait_loadcnt 0x2
	s_delay_alu instid0(VALU_DEP_1) | instskip(SKIP_1) | instid1(VALU_DEP_1)
	v_pk_fma_f32 v[0:1], v[12:13], v[28:29], v[0:1] op_sel_hi:[1,0,1]
	s_wait_loadcnt 0x0
	v_pk_fma_f32 v[0:1], v[30:31], v[62:63], v[0:1] op_sel_hi:[1,0,1]
	s_and_not1_b32 exec_lo, exec_lo, s4
	s_cbranch_execnz .LBB65_9
; %bb.10:
	s_or_b32 exec_lo, exec_lo, s4
.LBB65_11:
	s_delay_alu instid0(SALU_CYCLE_1)
	s_or_b32 exec_lo, exec_lo, s3
	s_cbranch_execz .LBB65_13
	s_branch .LBB65_18
.LBB65_12:
                                        ; implicit-def: $vgpr1
.LBB65_13:
	v_mov_b32_e32 v1, 0
	s_delay_alu instid0(VALU_DEP_1)
	v_mov_b32_e32 v0, v1
	s_and_saveexec_b32 s3, s2
	s_cbranch_execz .LBB65_17
; %bb.14:
	v_mad_u32 v6, v9, 30, 29
	v_mov_b32_e32 v5, 0
	s_mov_b32 s2, 0
	s_delay_alu instid0(VALU_DEP_1)
	v_dual_mov_b32 v0, v5 :: v_dual_mov_b32 v1, v5
.LBB65_15:                              ; =>This Inner Loop Header: Depth=1
	global_load_b32 v7, v9, s[6:7] scale_offset
	v_subrev_nc_u32_e32 v4, 29, v6
	v_dual_add_nc_u32 v12, -14, v6 :: v_dual_add_nc_u32 v16, -13, v6
	v_subrev_nc_u32_e32 v20, 27, v6
	v_dual_add_nc_u32 v21, -12, v6 :: v_dual_add_nc_u32 v25, -11, v6
	s_delay_alu instid0(VALU_DEP_4)
	v_lshl_add_u64 v[10:11], v[4:5], 2, s[8:9]
	v_subrev_nc_u32_e32 v24, 26, v6
	s_clause 0x2
	global_load_b32 v13, v16, s[8:9] scale_offset
	global_load_b64 v[14:15], v[10:11], off
	global_load_b32 v17, v12, s[8:9] scale_offset
	v_subrev_nc_u32_e32 v28, 25, v6
	v_dual_add_nc_u32 v29, -10, v6 :: v_dual_add_nc_u32 v34, -9, v6
	v_subrev_nc_u32_e32 v33, 24, v6
	v_subrev_nc_u32_e32 v35, 23, v6
	v_dual_add_nc_u32 v38, -8, v6 :: v_dual_add_nc_u32 v40, -7, v6
	v_subrev_nc_u32_e32 v39, 22, v6
	;; [unrolled: 3-line block ×4, first 2 shown]
	v_subrev_nc_u32_e32 v54, 17, v6
	s_wait_xcnt 0x3
	v_add_nc_u32_e32 v9, 4, v9
	s_delay_alu instid0(VALU_DEP_1) | instskip(SKIP_3) | instid1(VALU_DEP_1)
	v_cmp_ge_i32_e32 vcc_lo, v9, v8
	s_or_b32 s2, vcc_lo, s2
	s_wait_loadcnt 0x3
	v_subrev_nc_u32_e32 v4, s16, v7
	v_mul_lo_u32 v7, v4, 15
	s_wait_xcnt 0x0
	s_delay_alu instid0(VALU_DEP_1)
	v_dual_add_nc_u32 v12, -2, v6 :: v_dual_add_nc_u32 v16, 3, v7
	global_load_b32 v4, v7, s[10:11] scale_offset
	v_dual_add_nc_u32 v10, 1, v7 :: v_dual_add_nc_u32 v11, 2, v7
	global_load_b32 v10, v10, s[10:11] scale_offset
	s_clause 0x1
	global_load_b32 v18, v20, s[8:9] scale_offset
	global_load_b32 v19, v21, s[8:9] scale_offset
	;; [unrolled: 1-line block ×3, first 2 shown]
	s_clause 0x1
	global_load_b32 v22, v24, s[8:9] scale_offset
	global_load_b32 v23, v25, s[8:9] scale_offset
	;; [unrolled: 1-line block ×3, first 2 shown]
	v_dual_add_nc_u32 v11, -16, v6 :: v_dual_add_nc_u32 v21, 4, v7
	s_clause 0x1
	global_load_b32 v26, v28, s[8:9] scale_offset
	global_load_b32 v27, v29, s[8:9] scale_offset
	s_wait_xcnt 0x2
	v_dual_add_nc_u32 v25, -1, v6 :: v_dual_add_nc_u32 v16, 5, v7
	global_load_b32 v28, v21, s[10:11] scale_offset
	s_clause 0x2
	global_load_b32 v30, v33, s[8:9] scale_offset
	global_load_b32 v31, v34, s[8:9] scale_offset
	global_load_b32 v32, v35, s[8:9] scale_offset
	s_wait_xcnt 0x3
	v_add_nc_u32_e32 v21, 6, v7
	global_load_b32 v34, v16, s[10:11] scale_offset
	s_clause 0x2
	global_load_b32 v33, v38, s[8:9] scale_offset
	global_load_b32 v36, v39, s[8:9] scale_offset
	global_load_b32 v37, v40, s[8:9] scale_offset
	s_wait_xcnt 0x3
	v_add_nc_u32_e32 v16, 7, v7
	;; [unrolled: 7-line block ×3, first 2 shown]
	global_load_b32 v44, v16, s[10:11] scale_offset
	s_clause 0x1
	global_load_b32 v43, v47, s[8:9] scale_offset
	global_load_b32 v46, v48, s[8:9] scale_offset
	s_wait_xcnt 0x2
	v_add_nc_u32_e32 v16, 9, v7
	global_load_b32 v48, v21, s[10:11] scale_offset
	global_load_b32 v47, v49, s[8:9] scale_offset
	s_wait_xcnt 0x1
	v_dual_add_nc_u32 v21, 10, v7 :: v_dual_add_nc_u32 v29, 11, v7
	global_load_b32 v50, v16, s[10:11] scale_offset
	s_wait_loadcnt 0x1d
	s_wait_xcnt 0x0
	v_mov_b32_e32 v16, v14
	s_wait_loadcnt 0x1b
	s_delay_alu instid0(VALU_DEP_1)
	v_pk_fma_f32 v[0:1], v[16:17], v[4:5], v[0:1] op_sel_hi:[1,0,1]
	global_load_b32 v4, v21, s[10:11] scale_offset
	s_clause 0x2
	global_load_b32 v16, v51, s[8:9] scale_offset
	global_load_b32 v17, v53, s[8:9] scale_offset
	;; [unrolled: 1-line block ×3, first 2 shown]
	s_wait_xcnt 0x3
	v_add_nc_u32_e32 v21, 12, v7
	global_load_b32 v14, v29, s[10:11] scale_offset
	s_clause 0x1
	global_load_b32 v53, v12, s[8:9] scale_offset
	global_load_b32 v54, v11, s[8:9] scale_offset
	;; [unrolled: 1-line block ×4, first 2 shown]
	s_wait_xcnt 0x2
	v_dual_mov_b32 v12, v15 :: v_dual_add_nc_u32 v11, 13, v7
	v_dual_add_nc_u32 v15, -15, v6 :: v_dual_add_nc_u32 v7, 14, v7
	s_wait_loadcnt 0x23
	s_delay_alu instid0(VALU_DEP_2)
	v_pk_fma_f32 v[0:1], v[12:13], v[10:11], v[0:1] op_sel_hi:[1,0,1]
	global_load_b32 v10, v11, s[10:11] scale_offset
	s_clause 0x1
	global_load_b32 v13, v6, s[8:9] scale_offset
	global_load_b32 v12, v15, s[8:9] scale_offset
	;; [unrolled: 1-line block ×3, first 2 shown]
	s_wait_xcnt 0x2
	v_add_nc_u32_e32 v6, 0x78, v6
	s_wait_loadcnt 0x24
	v_pk_fma_f32 v[0:1], v[18:19], v[20:21], v[0:1] op_sel_hi:[1,0,1]
	s_wait_loadcnt 0x21
	s_delay_alu instid0(VALU_DEP_1) | instskip(SKIP_1) | instid1(VALU_DEP_1)
	v_pk_fma_f32 v[0:1], v[22:23], v[24:25], v[0:1] op_sel_hi:[1,0,1]
	s_wait_loadcnt 0x1e
	v_pk_fma_f32 v[0:1], v[26:27], v[28:29], v[0:1] op_sel_hi:[1,0,1]
	s_wait_loadcnt 0x1a
	s_delay_alu instid0(VALU_DEP_1) | instskip(SKIP_1) | instid1(VALU_DEP_1)
	v_pk_fma_f32 v[0:1], v[30:31], v[34:35], v[0:1] op_sel_hi:[1,0,1]
	;; [unrolled: 5-line block ×6, first 2 shown]
	s_wait_loadcnt 0x0
	v_pk_fma_f32 v[0:1], v[12:13], v[58:59], v[0:1] op_sel_hi:[1,0,1]
	s_and_not1_b32 exec_lo, exec_lo, s2
	s_cbranch_execnz .LBB65_15
; %bb.16:
	s_or_b32 exec_lo, exec_lo, s2
.LBB65_17:
	s_delay_alu instid0(SALU_CYCLE_1)
	s_or_b32 exec_lo, exec_lo, s3
.LBB65_18:
	v_mbcnt_lo_u32_b32 v6, -1, 0
	s_mov_b32 s2, -1
	s_delay_alu instid0(VALU_DEP_1) | instskip(SKIP_1) | instid1(VALU_DEP_1)
	v_xor_b32_e32 v7, 1, v6
	v_xor_b32_e32 v4, 2, v6
	v_cmp_gt_i32_e32 vcc_lo, 32, v4
	v_cndmask_b32_e32 v4, v6, v4, vcc_lo
	s_delay_alu instid0(VALU_DEP_4) | instskip(SKIP_2) | instid1(VALU_DEP_2)
	v_cmp_gt_i32_e32 vcc_lo, 32, v7
	v_cndmask_b32_e32 v6, v6, v7, vcc_lo
	v_cmp_eq_u32_e32 vcc_lo, 3, v3
	v_dual_lshlrev_b32 v6, 2, v6 :: v_dual_lshlrev_b32 v5, 2, v4
	ds_bpermute_b32 v4, v5, v0
	ds_bpermute_b32 v5, v5, v1
	s_wait_dscnt 0x0
	v_pk_add_f32 v[0:1], v[0:1], v[4:5]
	ds_bpermute_b32 v4, v6, v0
	ds_bpermute_b32 v5, v6, v1
	s_and_b32 exec_lo, exec_lo, vcc_lo
	s_cbranch_execz .LBB65_23
; %bb.19:
	s_load_b64 s[0:1], s[0:1], 0x38
	s_wait_dscnt 0x0
	v_pk_add_f32 v[0:1], v[0:1], v[4:5]
	v_lshlrev_b32_e32 v2, 1, v2
	s_cmp_eq_f32 s12, 0
	s_cbranch_scc0 .LBB65_21
; %bb.20:
	s_delay_alu instid0(VALU_DEP_1) | instskip(SKIP_3) | instid1(VALU_DEP_2)
	v_ashrrev_i32_e32 v3, 31, v2
	v_pk_mul_f32 v[6:7], s[14:15], v[0:1] op_sel_hi:[0,1]
	s_mov_b32 s2, 0
	s_wait_kmcnt 0x0
	v_lshl_add_u64 v[4:5], v[2:3], 2, s[0:1]
	global_store_b64 v[4:5], v[6:7], off
.LBB65_21:
	s_and_not1_b32 vcc_lo, exec_lo, s2
	s_cbranch_vccnz .LBB65_23
; %bb.22:
	v_ashrrev_i32_e32 v3, 31, v2
	v_pk_mul_f32 v[0:1], s[14:15], v[0:1] op_sel_hi:[0,1]
	s_wait_kmcnt 0x0
	s_delay_alu instid0(VALU_DEP_2)
	v_lshl_add_u64 v[2:3], v[2:3], 2, s[0:1]
	global_load_b64 v[4:5], v[2:3], off
	s_wait_loadcnt 0x0
	v_pk_fma_f32 v[0:1], s[12:13], v[4:5], v[0:1] op_sel_hi:[0,1,1]
	global_store_b64 v[2:3], v[0:1], off
.LBB65_23:
	s_endpgm
	.section	.rodata,"a",@progbits
	.p2align	6, 0x0
	.amdhsa_kernel _ZN9rocsparseL19gebsrmvn_2xn_kernelILj128ELj15ELj4EfEEvi20rocsparse_direction_NS_24const_host_device_scalarIT2_EEPKiS6_PKS3_S8_S4_PS3_21rocsparse_index_base_b
		.amdhsa_group_segment_fixed_size 0
		.amdhsa_private_segment_fixed_size 0
		.amdhsa_kernarg_size 72
		.amdhsa_user_sgpr_count 2
		.amdhsa_user_sgpr_dispatch_ptr 0
		.amdhsa_user_sgpr_queue_ptr 0
		.amdhsa_user_sgpr_kernarg_segment_ptr 1
		.amdhsa_user_sgpr_dispatch_id 0
		.amdhsa_user_sgpr_kernarg_preload_length 0
		.amdhsa_user_sgpr_kernarg_preload_offset 0
		.amdhsa_user_sgpr_private_segment_size 0
		.amdhsa_wavefront_size32 1
		.amdhsa_uses_dynamic_stack 0
		.amdhsa_enable_private_segment 0
		.amdhsa_system_sgpr_workgroup_id_x 1
		.amdhsa_system_sgpr_workgroup_id_y 0
		.amdhsa_system_sgpr_workgroup_id_z 0
		.amdhsa_system_sgpr_workgroup_info 0
		.amdhsa_system_vgpr_workitem_id 0
		.amdhsa_next_free_vgpr 64
		.amdhsa_next_free_sgpr 18
		.amdhsa_named_barrier_count 0
		.amdhsa_reserve_vcc 1
		.amdhsa_float_round_mode_32 0
		.amdhsa_float_round_mode_16_64 0
		.amdhsa_float_denorm_mode_32 3
		.amdhsa_float_denorm_mode_16_64 3
		.amdhsa_fp16_overflow 0
		.amdhsa_memory_ordered 1
		.amdhsa_forward_progress 1
		.amdhsa_inst_pref_size 22
		.amdhsa_round_robin_scheduling 0
		.amdhsa_exception_fp_ieee_invalid_op 0
		.amdhsa_exception_fp_denorm_src 0
		.amdhsa_exception_fp_ieee_div_zero 0
		.amdhsa_exception_fp_ieee_overflow 0
		.amdhsa_exception_fp_ieee_underflow 0
		.amdhsa_exception_fp_ieee_inexact 0
		.amdhsa_exception_int_div_zero 0
	.end_amdhsa_kernel
	.section	.text._ZN9rocsparseL19gebsrmvn_2xn_kernelILj128ELj15ELj4EfEEvi20rocsparse_direction_NS_24const_host_device_scalarIT2_EEPKiS6_PKS3_S8_S4_PS3_21rocsparse_index_base_b,"axG",@progbits,_ZN9rocsparseL19gebsrmvn_2xn_kernelILj128ELj15ELj4EfEEvi20rocsparse_direction_NS_24const_host_device_scalarIT2_EEPKiS6_PKS3_S8_S4_PS3_21rocsparse_index_base_b,comdat
.Lfunc_end65:
	.size	_ZN9rocsparseL19gebsrmvn_2xn_kernelILj128ELj15ELj4EfEEvi20rocsparse_direction_NS_24const_host_device_scalarIT2_EEPKiS6_PKS3_S8_S4_PS3_21rocsparse_index_base_b, .Lfunc_end65-_ZN9rocsparseL19gebsrmvn_2xn_kernelILj128ELj15ELj4EfEEvi20rocsparse_direction_NS_24const_host_device_scalarIT2_EEPKiS6_PKS3_S8_S4_PS3_21rocsparse_index_base_b
                                        ; -- End function
	.set _ZN9rocsparseL19gebsrmvn_2xn_kernelILj128ELj15ELj4EfEEvi20rocsparse_direction_NS_24const_host_device_scalarIT2_EEPKiS6_PKS3_S8_S4_PS3_21rocsparse_index_base_b.num_vgpr, 64
	.set _ZN9rocsparseL19gebsrmvn_2xn_kernelILj128ELj15ELj4EfEEvi20rocsparse_direction_NS_24const_host_device_scalarIT2_EEPKiS6_PKS3_S8_S4_PS3_21rocsparse_index_base_b.num_agpr, 0
	.set _ZN9rocsparseL19gebsrmvn_2xn_kernelILj128ELj15ELj4EfEEvi20rocsparse_direction_NS_24const_host_device_scalarIT2_EEPKiS6_PKS3_S8_S4_PS3_21rocsparse_index_base_b.numbered_sgpr, 18
	.set _ZN9rocsparseL19gebsrmvn_2xn_kernelILj128ELj15ELj4EfEEvi20rocsparse_direction_NS_24const_host_device_scalarIT2_EEPKiS6_PKS3_S8_S4_PS3_21rocsparse_index_base_b.num_named_barrier, 0
	.set _ZN9rocsparseL19gebsrmvn_2xn_kernelILj128ELj15ELj4EfEEvi20rocsparse_direction_NS_24const_host_device_scalarIT2_EEPKiS6_PKS3_S8_S4_PS3_21rocsparse_index_base_b.private_seg_size, 0
	.set _ZN9rocsparseL19gebsrmvn_2xn_kernelILj128ELj15ELj4EfEEvi20rocsparse_direction_NS_24const_host_device_scalarIT2_EEPKiS6_PKS3_S8_S4_PS3_21rocsparse_index_base_b.uses_vcc, 1
	.set _ZN9rocsparseL19gebsrmvn_2xn_kernelILj128ELj15ELj4EfEEvi20rocsparse_direction_NS_24const_host_device_scalarIT2_EEPKiS6_PKS3_S8_S4_PS3_21rocsparse_index_base_b.uses_flat_scratch, 0
	.set _ZN9rocsparseL19gebsrmvn_2xn_kernelILj128ELj15ELj4EfEEvi20rocsparse_direction_NS_24const_host_device_scalarIT2_EEPKiS6_PKS3_S8_S4_PS3_21rocsparse_index_base_b.has_dyn_sized_stack, 0
	.set _ZN9rocsparseL19gebsrmvn_2xn_kernelILj128ELj15ELj4EfEEvi20rocsparse_direction_NS_24const_host_device_scalarIT2_EEPKiS6_PKS3_S8_S4_PS3_21rocsparse_index_base_b.has_recursion, 0
	.set _ZN9rocsparseL19gebsrmvn_2xn_kernelILj128ELj15ELj4EfEEvi20rocsparse_direction_NS_24const_host_device_scalarIT2_EEPKiS6_PKS3_S8_S4_PS3_21rocsparse_index_base_b.has_indirect_call, 0
	.section	.AMDGPU.csdata,"",@progbits
; Kernel info:
; codeLenInByte = 2720
; TotalNumSgprs: 20
; NumVgprs: 64
; ScratchSize: 0
; MemoryBound: 0
; FloatMode: 240
; IeeeMode: 1
; LDSByteSize: 0 bytes/workgroup (compile time only)
; SGPRBlocks: 0
; VGPRBlocks: 3
; NumSGPRsForWavesPerEU: 20
; NumVGPRsForWavesPerEU: 64
; NamedBarCnt: 0
; Occupancy: 16
; WaveLimiterHint : 1
; COMPUTE_PGM_RSRC2:SCRATCH_EN: 0
; COMPUTE_PGM_RSRC2:USER_SGPR: 2
; COMPUTE_PGM_RSRC2:TRAP_HANDLER: 0
; COMPUTE_PGM_RSRC2:TGID_X_EN: 1
; COMPUTE_PGM_RSRC2:TGID_Y_EN: 0
; COMPUTE_PGM_RSRC2:TGID_Z_EN: 0
; COMPUTE_PGM_RSRC2:TIDIG_COMP_CNT: 0
	.section	.text._ZN9rocsparseL19gebsrmvn_2xn_kernelILj128ELj15ELj8EfEEvi20rocsparse_direction_NS_24const_host_device_scalarIT2_EEPKiS6_PKS3_S8_S4_PS3_21rocsparse_index_base_b,"axG",@progbits,_ZN9rocsparseL19gebsrmvn_2xn_kernelILj128ELj15ELj8EfEEvi20rocsparse_direction_NS_24const_host_device_scalarIT2_EEPKiS6_PKS3_S8_S4_PS3_21rocsparse_index_base_b,comdat
	.globl	_ZN9rocsparseL19gebsrmvn_2xn_kernelILj128ELj15ELj8EfEEvi20rocsparse_direction_NS_24const_host_device_scalarIT2_EEPKiS6_PKS3_S8_S4_PS3_21rocsparse_index_base_b ; -- Begin function _ZN9rocsparseL19gebsrmvn_2xn_kernelILj128ELj15ELj8EfEEvi20rocsparse_direction_NS_24const_host_device_scalarIT2_EEPKiS6_PKS3_S8_S4_PS3_21rocsparse_index_base_b
	.p2align	8
	.type	_ZN9rocsparseL19gebsrmvn_2xn_kernelILj128ELj15ELj8EfEEvi20rocsparse_direction_NS_24const_host_device_scalarIT2_EEPKiS6_PKS3_S8_S4_PS3_21rocsparse_index_base_b,@function
_ZN9rocsparseL19gebsrmvn_2xn_kernelILj128ELj15ELj8EfEEvi20rocsparse_direction_NS_24const_host_device_scalarIT2_EEPKiS6_PKS3_S8_S4_PS3_21rocsparse_index_base_b: ; @_ZN9rocsparseL19gebsrmvn_2xn_kernelILj128ELj15ELj8EfEEvi20rocsparse_direction_NS_24const_host_device_scalarIT2_EEPKiS6_PKS3_S8_S4_PS3_21rocsparse_index_base_b
; %bb.0:
	s_clause 0x2
	s_load_b64 s[16:17], s[0:1], 0x40
	s_load_b64 s[14:15], s[0:1], 0x8
	;; [unrolled: 1-line block ×3, first 2 shown]
	s_wait_kmcnt 0x0
	s_bitcmp1_b32 s17, 0
	s_cselect_b32 s2, -1, 0
	s_delay_alu instid0(SALU_CYCLE_1)
	s_and_b32 vcc_lo, exec_lo, s2
	s_xor_b32 s2, s2, -1
	s_cbranch_vccnz .LBB66_2
; %bb.1:
	s_load_b32 s14, s[14:15], 0x0
.LBB66_2:
	s_and_not1_b32 vcc_lo, exec_lo, s2
	s_cbranch_vccnz .LBB66_4
; %bb.3:
	s_load_b32 s12, s[12:13], 0x0
.LBB66_4:
	s_wait_kmcnt 0x0
	s_cmp_eq_f32 s14, 0
	s_cselect_b32 s2, -1, 0
	s_cmp_eq_f32 s12, 1.0
	s_cselect_b32 s3, -1, 0
	s_delay_alu instid0(SALU_CYCLE_1) | instskip(NEXT) | instid1(SALU_CYCLE_1)
	s_and_b32 s2, s2, s3
	s_and_b32 vcc_lo, exec_lo, s2
	s_cbranch_vccnz .LBB66_23
; %bb.5:
	s_load_b64 s[2:3], s[0:1], 0x0
	s_bfe_u32 s4, ttmp6, 0x4000c
	s_and_b32 s5, ttmp6, 15
	s_add_co_i32 s4, s4, 1
	s_getreg_b32 s6, hwreg(HW_REG_IB_STS2, 6, 4)
	s_mul_i32 s4, ttmp9, s4
	v_lshrrev_b32_e32 v1, 3, v0
	s_add_co_i32 s5, s5, s4
	s_cmp_eq_u32 s6, 0
	s_cselect_b32 s4, ttmp9, s5
	s_delay_alu instid0(VALU_DEP_1) | instid1(SALU_CYCLE_1)
	v_lshl_or_b32 v2, s4, 4, v1
	s_wait_kmcnt 0x0
	s_delay_alu instid0(VALU_DEP_1)
	v_cmp_gt_i32_e32 vcc_lo, s2, v2
	s_and_saveexec_b32 s2, vcc_lo
	s_cbranch_execz .LBB66_23
; %bb.6:
	s_load_b256 s[4:11], s[0:1], 0x10
	v_ashrrev_i32_e32 v3, 31, v2
	s_cmp_lg_u32 s3, 0
	s_wait_kmcnt 0x0
	s_delay_alu instid0(VALU_DEP_1)
	v_lshl_add_u64 v[4:5], v[2:3], 2, s[4:5]
	v_and_b32_e32 v3, 7, v0
	global_load_b64 v[4:5], v[4:5], off
	s_wait_loadcnt 0x0
	v_subrev_nc_u32_e32 v0, s16, v4
	v_subrev_nc_u32_e32 v8, s16, v5
	s_delay_alu instid0(VALU_DEP_2) | instskip(NEXT) | instid1(VALU_DEP_1)
	v_add_nc_u32_e32 v9, v0, v3
	v_cmp_lt_i32_e64 s2, v9, v8
	s_cbranch_scc0 .LBB66_12
; %bb.7:
	v_mov_b32_e32 v1, 0
	s_delay_alu instid0(VALU_DEP_1)
	v_mov_b32_e32 v0, v1
	s_and_saveexec_b32 s3, s2
	s_cbranch_execz .LBB66_11
; %bb.8:
	v_mad_u32 v4, v9, 30, 28
	v_dual_mov_b32 v7, 0 :: v_dual_mov_b32 v10, v9
	s_mov_b32 s4, 0
	s_delay_alu instid0(VALU_DEP_1)
	v_dual_mov_b32 v0, v7 :: v_dual_mov_b32 v1, v7
.LBB66_9:                               ; =>This Inner Loop Header: Depth=1
	global_load_b32 v11, v10, s[6:7] scale_offset
	v_subrev_nc_u32_e32 v6, 28, v4
	s_wait_xcnt 0x0
	v_dual_mov_b32 v5, v7 :: v_dual_add_nc_u32 v10, 8, v10
	s_delay_alu instid0(VALU_DEP_2) | instskip(SKIP_1) | instid1(VALU_DEP_3)
	v_lshl_add_u64 v[12:13], v[6:7], 2, s[8:9]
	v_subrev_nc_u32_e32 v6, 26, v4
	v_cmp_ge_i32_e32 vcc_lo, v10, v8
	global_load_b64 v[12:13], v[12:13], off
	v_lshl_add_u64 v[14:15], v[6:7], 2, s[8:9]
	v_subrev_nc_u32_e32 v6, 24, v4
	s_or_b32 s4, vcc_lo, s4
	global_load_b64 v[14:15], v[14:15], off
	v_lshl_add_u64 v[16:17], v[6:7], 2, s[8:9]
	v_subrev_nc_u32_e32 v6, 22, v4
	global_load_b64 v[16:17], v[16:17], off
	v_lshl_add_u64 v[18:19], v[6:7], 2, s[8:9]
	v_subrev_nc_u32_e32 v6, 20, v4
	;; [unrolled: 3-line block ×3, first 2 shown]
	global_load_b64 v[20:21], v[20:21], off
	v_lshl_add_u64 v[22:23], v[6:7], 2, s[8:9]
	v_add_nc_u32_e32 v6, -16, v4
	global_load_b64 v[22:23], v[22:23], off
	v_lshl_add_u64 v[24:25], v[6:7], 2, s[8:9]
	v_add_nc_u32_e32 v6, -14, v4
	global_load_b64 v[24:25], v[24:25], off
	v_lshl_add_u64 v[26:27], v[6:7], 2, s[8:9]
	global_load_b64 v[26:27], v[26:27], off
	s_wait_loadcnt 0x8
	v_subrev_nc_u32_e32 v6, s16, v11
	s_delay_alu instid0(VALU_DEP_1)
	v_mul_lo_u32 v11, v6, 15
	global_load_b32 v28, v11, s[10:11] scale_offset
	v_dual_add_nc_u32 v6, 1, v11 :: v_dual_add_nc_u32 v31, 3, v11
	v_dual_add_nc_u32 v29, 2, v11 :: v_dual_add_nc_u32 v35, 13, v11
	s_clause 0x1
	global_load_b32 v36, v31, s[10:11] scale_offset
	global_load_b32 v30, v6, s[10:11] scale_offset
	s_wait_xcnt 0x1
	v_add_nc_u32_e32 v31, 7, v11
	s_clause 0x1
	global_load_b32 v34, v29, s[10:11] scale_offset
	global_load_b32 v48, v31, s[10:11] scale_offset
	s_wait_xcnt 0x0
	v_dual_add_nc_u32 v6, -12, v4 :: v_dual_add_nc_u32 v31, 11, v11
	s_delay_alu instid0(VALU_DEP_1)
	v_lshl_add_u64 v[32:33], v[6:7], 2, s[8:9]
	v_add_nc_u32_e32 v6, -10, v4
	global_load_b64 v[32:33], v[32:33], off
	v_lshl_add_u64 v[38:39], v[6:7], 2, s[8:9]
	v_add_nc_u32_e32 v6, 5, v11
	global_load_b64 v[38:39], v[38:39], off
	global_load_b32 v42, v6, s[10:11] scale_offset
	s_wait_xcnt 0x0
	v_dual_add_nc_u32 v6, -8, v4 :: v_dual_add_nc_u32 v29, 4, v11
	s_delay_alu instid0(VALU_DEP_1)
	v_lshl_add_u64 v[44:45], v[6:7], 2, s[8:9]
	v_add_nc_u32_e32 v6, -6, v4
	global_load_b32 v40, v29, s[10:11] scale_offset
	global_load_b64 v[44:45], v[44:45], off
	v_lshl_add_u64 v[50:51], v[6:7], 2, s[8:9]
	v_add_nc_u32_e32 v6, 9, v11
	global_load_b32 v54, v6, s[10:11] scale_offset
	s_wait_xcnt 0x0
	v_dual_add_nc_u32 v29, 6, v11 :: v_dual_add_nc_u32 v6, -4, v4
	global_load_b32 v46, v29, s[10:11] scale_offset
	s_wait_xcnt 0x0
	v_add_nc_u32_e32 v29, 8, v11
	global_load_b32 v52, v29, s[10:11] scale_offset
	s_wait_xcnt 0x0
	v_add_nc_u32_e32 v29, 10, v11
	global_load_b32 v58, v29, s[10:11] scale_offset
	global_load_b64 v[60:61], v[50:51], off
	s_wait_xcnt 0x1
	v_add_nc_u32_e32 v29, 12, v11
	v_lshl_add_u64 v[56:57], v[6:7], 2, s[8:9]
	v_add_nc_u32_e32 v6, -2, v4
	global_load_b64 v[50:51], v[56:57], off
	s_wait_loadcnt 0xf
	v_pk_fma_f32 v[0:1], v[12:13], v[28:29], v[0:1] op_sel_hi:[1,0,1]
	v_lshl_add_u64 v[12:13], v[6:7], 2, s[8:9]
	global_load_b32 v6, v29, s[10:11] scale_offset
	global_load_b64 v[12:13], v[12:13], off
	global_load_b32 v56, v31, s[10:11] scale_offset
	s_wait_loadcnt 0x10
	v_pk_fma_f32 v[0:1], v[14:15], v[30:31], v[0:1] op_sel_hi:[1,0,1]
	v_lshl_add_u64 v[14:15], v[4:5], 2, s[8:9]
	v_add_nc_u32_e32 v5, 14, v11
	global_load_b32 v28, v35, s[10:11] scale_offset
	global_load_b64 v[30:31], v[14:15], off
	global_load_b32 v62, v5, s[10:11] scale_offset
	s_wait_loadcnt 0x12
	v_pk_fma_f32 v[0:1], v[16:17], v[34:35], v[0:1] op_sel_hi:[1,0,1]
	v_add_nc_u32_e32 v4, 0xf0, v4
	s_delay_alu instid0(VALU_DEP_2) | instskip(SKIP_1) | instid1(VALU_DEP_1)
	v_pk_fma_f32 v[0:1], v[18:19], v[36:37], v[0:1] op_sel_hi:[1,0,1]
	s_wait_loadcnt 0xd
	v_pk_fma_f32 v[0:1], v[20:21], v[40:41], v[0:1] op_sel_hi:[1,0,1]
	s_delay_alu instid0(VALU_DEP_1) | instskip(SKIP_1) | instid1(VALU_DEP_1)
	v_pk_fma_f32 v[0:1], v[22:23], v[42:43], v[0:1] op_sel_hi:[1,0,1]
	s_wait_loadcnt 0xa
	v_pk_fma_f32 v[0:1], v[24:25], v[46:47], v[0:1] op_sel_hi:[1,0,1]
	s_delay_alu instid0(VALU_DEP_1) | instskip(SKIP_1) | instid1(VALU_DEP_1)
	;; [unrolled: 4-line block ×3, first 2 shown]
	v_pk_fma_f32 v[0:1], v[38:39], v[54:55], v[0:1] op_sel_hi:[1,0,1]
	s_wait_loadcnt 0x8
	v_pk_fma_f32 v[0:1], v[44:45], v[58:59], v[0:1] op_sel_hi:[1,0,1]
	s_wait_loadcnt 0x3
	s_delay_alu instid0(VALU_DEP_1) | instskip(NEXT) | instid1(VALU_DEP_1)
	v_pk_fma_f32 v[0:1], v[60:61], v[56:57], v[0:1] op_sel_hi:[1,0,1]
	v_pk_fma_f32 v[0:1], v[50:51], v[6:7], v[0:1] op_sel_hi:[1,0,1]
	s_wait_loadcnt 0x2
	s_delay_alu instid0(VALU_DEP_1) | instskip(SKIP_1) | instid1(VALU_DEP_1)
	v_pk_fma_f32 v[0:1], v[12:13], v[28:29], v[0:1] op_sel_hi:[1,0,1]
	s_wait_loadcnt 0x0
	v_pk_fma_f32 v[0:1], v[30:31], v[62:63], v[0:1] op_sel_hi:[1,0,1]
	s_and_not1_b32 exec_lo, exec_lo, s4
	s_cbranch_execnz .LBB66_9
; %bb.10:
	s_or_b32 exec_lo, exec_lo, s4
.LBB66_11:
	s_delay_alu instid0(SALU_CYCLE_1)
	s_or_b32 exec_lo, exec_lo, s3
	s_cbranch_execz .LBB66_13
	s_branch .LBB66_18
.LBB66_12:
                                        ; implicit-def: $vgpr1
.LBB66_13:
	v_mov_b32_e32 v1, 0
	s_delay_alu instid0(VALU_DEP_1)
	v_mov_b32_e32 v0, v1
	s_and_saveexec_b32 s3, s2
	s_cbranch_execz .LBB66_17
; %bb.14:
	v_mad_u32 v6, v9, 30, 29
	v_mov_b32_e32 v5, 0
	s_mov_b32 s2, 0
	s_delay_alu instid0(VALU_DEP_1)
	v_dual_mov_b32 v0, v5 :: v_dual_mov_b32 v1, v5
.LBB66_15:                              ; =>This Inner Loop Header: Depth=1
	global_load_b32 v7, v9, s[6:7] scale_offset
	v_subrev_nc_u32_e32 v4, 29, v6
	v_dual_add_nc_u32 v12, -14, v6 :: v_dual_add_nc_u32 v16, -13, v6
	v_subrev_nc_u32_e32 v20, 27, v6
	v_dual_add_nc_u32 v21, -12, v6 :: v_dual_add_nc_u32 v25, -11, v6
	s_delay_alu instid0(VALU_DEP_4)
	v_lshl_add_u64 v[10:11], v[4:5], 2, s[8:9]
	v_subrev_nc_u32_e32 v24, 26, v6
	s_clause 0x2
	global_load_b32 v13, v16, s[8:9] scale_offset
	global_load_b64 v[14:15], v[10:11], off
	global_load_b32 v17, v12, s[8:9] scale_offset
	v_subrev_nc_u32_e32 v28, 25, v6
	v_dual_add_nc_u32 v29, -10, v6 :: v_dual_add_nc_u32 v34, -9, v6
	v_subrev_nc_u32_e32 v33, 24, v6
	v_subrev_nc_u32_e32 v35, 23, v6
	v_dual_add_nc_u32 v38, -8, v6 :: v_dual_add_nc_u32 v40, -7, v6
	v_subrev_nc_u32_e32 v39, 22, v6
	;; [unrolled: 3-line block ×4, first 2 shown]
	v_subrev_nc_u32_e32 v54, 17, v6
	s_wait_xcnt 0x3
	v_add_nc_u32_e32 v9, 8, v9
	s_delay_alu instid0(VALU_DEP_1) | instskip(SKIP_3) | instid1(VALU_DEP_1)
	v_cmp_ge_i32_e32 vcc_lo, v9, v8
	s_or_b32 s2, vcc_lo, s2
	s_wait_loadcnt 0x3
	v_subrev_nc_u32_e32 v4, s16, v7
	v_mul_lo_u32 v7, v4, 15
	s_wait_xcnt 0x0
	s_delay_alu instid0(VALU_DEP_1)
	v_dual_add_nc_u32 v12, -2, v6 :: v_dual_add_nc_u32 v16, 3, v7
	global_load_b32 v4, v7, s[10:11] scale_offset
	v_dual_add_nc_u32 v10, 1, v7 :: v_dual_add_nc_u32 v11, 2, v7
	global_load_b32 v10, v10, s[10:11] scale_offset
	s_clause 0x1
	global_load_b32 v18, v20, s[8:9] scale_offset
	global_load_b32 v19, v21, s[8:9] scale_offset
	;; [unrolled: 1-line block ×3, first 2 shown]
	s_clause 0x1
	global_load_b32 v22, v24, s[8:9] scale_offset
	global_load_b32 v23, v25, s[8:9] scale_offset
	global_load_b32 v24, v16, s[10:11] scale_offset
	v_dual_add_nc_u32 v11, -16, v6 :: v_dual_add_nc_u32 v21, 4, v7
	s_clause 0x1
	global_load_b32 v26, v28, s[8:9] scale_offset
	global_load_b32 v27, v29, s[8:9] scale_offset
	s_wait_xcnt 0x2
	v_dual_add_nc_u32 v25, -1, v6 :: v_dual_add_nc_u32 v16, 5, v7
	global_load_b32 v28, v21, s[10:11] scale_offset
	s_clause 0x2
	global_load_b32 v30, v33, s[8:9] scale_offset
	global_load_b32 v31, v34, s[8:9] scale_offset
	global_load_b32 v32, v35, s[8:9] scale_offset
	s_wait_xcnt 0x3
	v_add_nc_u32_e32 v21, 6, v7
	global_load_b32 v34, v16, s[10:11] scale_offset
	s_clause 0x2
	global_load_b32 v33, v38, s[8:9] scale_offset
	global_load_b32 v36, v39, s[8:9] scale_offset
	global_load_b32 v37, v40, s[8:9] scale_offset
	s_wait_xcnt 0x3
	v_add_nc_u32_e32 v16, 7, v7
	;; [unrolled: 7-line block ×3, first 2 shown]
	global_load_b32 v44, v16, s[10:11] scale_offset
	s_clause 0x1
	global_load_b32 v43, v47, s[8:9] scale_offset
	global_load_b32 v46, v48, s[8:9] scale_offset
	s_wait_xcnt 0x2
	v_add_nc_u32_e32 v16, 9, v7
	global_load_b32 v48, v21, s[10:11] scale_offset
	global_load_b32 v47, v49, s[8:9] scale_offset
	s_wait_xcnt 0x1
	v_dual_add_nc_u32 v21, 10, v7 :: v_dual_add_nc_u32 v29, 11, v7
	global_load_b32 v50, v16, s[10:11] scale_offset
	s_wait_loadcnt 0x1d
	s_wait_xcnt 0x0
	v_mov_b32_e32 v16, v14
	s_wait_loadcnt 0x1b
	s_delay_alu instid0(VALU_DEP_1)
	v_pk_fma_f32 v[0:1], v[16:17], v[4:5], v[0:1] op_sel_hi:[1,0,1]
	global_load_b32 v4, v21, s[10:11] scale_offset
	s_clause 0x2
	global_load_b32 v16, v51, s[8:9] scale_offset
	global_load_b32 v17, v53, s[8:9] scale_offset
	;; [unrolled: 1-line block ×3, first 2 shown]
	s_wait_xcnt 0x3
	v_add_nc_u32_e32 v21, 12, v7
	global_load_b32 v14, v29, s[10:11] scale_offset
	s_clause 0x1
	global_load_b32 v53, v12, s[8:9] scale_offset
	global_load_b32 v54, v11, s[8:9] scale_offset
	;; [unrolled: 1-line block ×4, first 2 shown]
	s_wait_xcnt 0x2
	v_dual_mov_b32 v12, v15 :: v_dual_add_nc_u32 v11, 13, v7
	v_dual_add_nc_u32 v15, -15, v6 :: v_dual_add_nc_u32 v7, 14, v7
	s_wait_loadcnt 0x23
	s_delay_alu instid0(VALU_DEP_2)
	v_pk_fma_f32 v[0:1], v[12:13], v[10:11], v[0:1] op_sel_hi:[1,0,1]
	global_load_b32 v10, v11, s[10:11] scale_offset
	s_clause 0x1
	global_load_b32 v13, v6, s[8:9] scale_offset
	global_load_b32 v12, v15, s[8:9] scale_offset
	;; [unrolled: 1-line block ×3, first 2 shown]
	s_wait_xcnt 0x2
	v_add_nc_u32_e32 v6, 0xf0, v6
	s_wait_loadcnt 0x24
	v_pk_fma_f32 v[0:1], v[18:19], v[20:21], v[0:1] op_sel_hi:[1,0,1]
	s_wait_loadcnt 0x21
	s_delay_alu instid0(VALU_DEP_1) | instskip(SKIP_1) | instid1(VALU_DEP_1)
	v_pk_fma_f32 v[0:1], v[22:23], v[24:25], v[0:1] op_sel_hi:[1,0,1]
	s_wait_loadcnt 0x1e
	v_pk_fma_f32 v[0:1], v[26:27], v[28:29], v[0:1] op_sel_hi:[1,0,1]
	s_wait_loadcnt 0x1a
	s_delay_alu instid0(VALU_DEP_1) | instskip(SKIP_1) | instid1(VALU_DEP_1)
	v_pk_fma_f32 v[0:1], v[30:31], v[34:35], v[0:1] op_sel_hi:[1,0,1]
	;; [unrolled: 5-line block ×6, first 2 shown]
	s_wait_loadcnt 0x0
	v_pk_fma_f32 v[0:1], v[12:13], v[58:59], v[0:1] op_sel_hi:[1,0,1]
	s_and_not1_b32 exec_lo, exec_lo, s2
	s_cbranch_execnz .LBB66_15
; %bb.16:
	s_or_b32 exec_lo, exec_lo, s2
.LBB66_17:
	s_delay_alu instid0(SALU_CYCLE_1)
	s_or_b32 exec_lo, exec_lo, s3
.LBB66_18:
	v_mbcnt_lo_u32_b32 v6, -1, 0
	s_mov_b32 s2, -1
	s_delay_alu instid0(VALU_DEP_1) | instskip(SKIP_1) | instid1(VALU_DEP_1)
	v_xor_b32_e32 v7, 2, v6
	v_xor_b32_e32 v4, 4, v6
	v_cmp_gt_i32_e32 vcc_lo, 32, v4
	v_cndmask_b32_e32 v4, v6, v4, vcc_lo
	s_delay_alu instid0(VALU_DEP_4) | instskip(SKIP_1) | instid1(VALU_DEP_1)
	v_cmp_gt_i32_e32 vcc_lo, 32, v7
	v_cndmask_b32_e32 v7, v6, v7, vcc_lo
	v_dual_lshlrev_b32 v7, 2, v7 :: v_dual_lshlrev_b32 v5, 2, v4
	ds_bpermute_b32 v4, v5, v0
	ds_bpermute_b32 v5, v5, v1
	s_wait_dscnt 0x0
	v_pk_add_f32 v[0:1], v[0:1], v[4:5]
	ds_bpermute_b32 v4, v7, v0
	ds_bpermute_b32 v5, v7, v1
	v_xor_b32_e32 v7, 1, v6
	s_delay_alu instid0(VALU_DEP_1) | instskip(SKIP_2) | instid1(VALU_DEP_2)
	v_cmp_gt_i32_e32 vcc_lo, 32, v7
	v_cndmask_b32_e32 v6, v6, v7, vcc_lo
	v_cmp_eq_u32_e32 vcc_lo, 7, v3
	v_lshlrev_b32_e32 v6, 2, v6
	s_wait_dscnt 0x0
	v_pk_add_f32 v[0:1], v[0:1], v[4:5]
	ds_bpermute_b32 v4, v6, v0
	ds_bpermute_b32 v5, v6, v1
	s_and_b32 exec_lo, exec_lo, vcc_lo
	s_cbranch_execz .LBB66_23
; %bb.19:
	s_load_b64 s[0:1], s[0:1], 0x38
	s_wait_dscnt 0x0
	v_pk_add_f32 v[0:1], v[0:1], v[4:5]
	v_lshlrev_b32_e32 v2, 1, v2
	s_cmp_eq_f32 s12, 0
	s_cbranch_scc0 .LBB66_21
; %bb.20:
	s_delay_alu instid0(VALU_DEP_1) | instskip(SKIP_3) | instid1(VALU_DEP_2)
	v_ashrrev_i32_e32 v3, 31, v2
	v_pk_mul_f32 v[6:7], s[14:15], v[0:1] op_sel_hi:[0,1]
	s_mov_b32 s2, 0
	s_wait_kmcnt 0x0
	v_lshl_add_u64 v[4:5], v[2:3], 2, s[0:1]
	global_store_b64 v[4:5], v[6:7], off
.LBB66_21:
	s_and_not1_b32 vcc_lo, exec_lo, s2
	s_cbranch_vccnz .LBB66_23
; %bb.22:
	v_ashrrev_i32_e32 v3, 31, v2
	v_pk_mul_f32 v[0:1], s[14:15], v[0:1] op_sel_hi:[0,1]
	s_wait_kmcnt 0x0
	s_delay_alu instid0(VALU_DEP_2)
	v_lshl_add_u64 v[2:3], v[2:3], 2, s[0:1]
	global_load_b64 v[4:5], v[2:3], off
	s_wait_loadcnt 0x0
	v_pk_fma_f32 v[0:1], s[12:13], v[4:5], v[0:1] op_sel_hi:[0,1,1]
	global_store_b64 v[2:3], v[0:1], off
.LBB66_23:
	s_endpgm
	.section	.rodata,"a",@progbits
	.p2align	6, 0x0
	.amdhsa_kernel _ZN9rocsparseL19gebsrmvn_2xn_kernelILj128ELj15ELj8EfEEvi20rocsparse_direction_NS_24const_host_device_scalarIT2_EEPKiS6_PKS3_S8_S4_PS3_21rocsparse_index_base_b
		.amdhsa_group_segment_fixed_size 0
		.amdhsa_private_segment_fixed_size 0
		.amdhsa_kernarg_size 72
		.amdhsa_user_sgpr_count 2
		.amdhsa_user_sgpr_dispatch_ptr 0
		.amdhsa_user_sgpr_queue_ptr 0
		.amdhsa_user_sgpr_kernarg_segment_ptr 1
		.amdhsa_user_sgpr_dispatch_id 0
		.amdhsa_user_sgpr_kernarg_preload_length 0
		.amdhsa_user_sgpr_kernarg_preload_offset 0
		.amdhsa_user_sgpr_private_segment_size 0
		.amdhsa_wavefront_size32 1
		.amdhsa_uses_dynamic_stack 0
		.amdhsa_enable_private_segment 0
		.amdhsa_system_sgpr_workgroup_id_x 1
		.amdhsa_system_sgpr_workgroup_id_y 0
		.amdhsa_system_sgpr_workgroup_id_z 0
		.amdhsa_system_sgpr_workgroup_info 0
		.amdhsa_system_vgpr_workitem_id 0
		.amdhsa_next_free_vgpr 64
		.amdhsa_next_free_sgpr 18
		.amdhsa_named_barrier_count 0
		.amdhsa_reserve_vcc 1
		.amdhsa_float_round_mode_32 0
		.amdhsa_float_round_mode_16_64 0
		.amdhsa_float_denorm_mode_32 3
		.amdhsa_float_denorm_mode_16_64 3
		.amdhsa_fp16_overflow 0
		.amdhsa_memory_ordered 1
		.amdhsa_forward_progress 1
		.amdhsa_inst_pref_size 22
		.amdhsa_round_robin_scheduling 0
		.amdhsa_exception_fp_ieee_invalid_op 0
		.amdhsa_exception_fp_denorm_src 0
		.amdhsa_exception_fp_ieee_div_zero 0
		.amdhsa_exception_fp_ieee_overflow 0
		.amdhsa_exception_fp_ieee_underflow 0
		.amdhsa_exception_fp_ieee_inexact 0
		.amdhsa_exception_int_div_zero 0
	.end_amdhsa_kernel
	.section	.text._ZN9rocsparseL19gebsrmvn_2xn_kernelILj128ELj15ELj8EfEEvi20rocsparse_direction_NS_24const_host_device_scalarIT2_EEPKiS6_PKS3_S8_S4_PS3_21rocsparse_index_base_b,"axG",@progbits,_ZN9rocsparseL19gebsrmvn_2xn_kernelILj128ELj15ELj8EfEEvi20rocsparse_direction_NS_24const_host_device_scalarIT2_EEPKiS6_PKS3_S8_S4_PS3_21rocsparse_index_base_b,comdat
.Lfunc_end66:
	.size	_ZN9rocsparseL19gebsrmvn_2xn_kernelILj128ELj15ELj8EfEEvi20rocsparse_direction_NS_24const_host_device_scalarIT2_EEPKiS6_PKS3_S8_S4_PS3_21rocsparse_index_base_b, .Lfunc_end66-_ZN9rocsparseL19gebsrmvn_2xn_kernelILj128ELj15ELj8EfEEvi20rocsparse_direction_NS_24const_host_device_scalarIT2_EEPKiS6_PKS3_S8_S4_PS3_21rocsparse_index_base_b
                                        ; -- End function
	.set _ZN9rocsparseL19gebsrmvn_2xn_kernelILj128ELj15ELj8EfEEvi20rocsparse_direction_NS_24const_host_device_scalarIT2_EEPKiS6_PKS3_S8_S4_PS3_21rocsparse_index_base_b.num_vgpr, 64
	.set _ZN9rocsparseL19gebsrmvn_2xn_kernelILj128ELj15ELj8EfEEvi20rocsparse_direction_NS_24const_host_device_scalarIT2_EEPKiS6_PKS3_S8_S4_PS3_21rocsparse_index_base_b.num_agpr, 0
	.set _ZN9rocsparseL19gebsrmvn_2xn_kernelILj128ELj15ELj8EfEEvi20rocsparse_direction_NS_24const_host_device_scalarIT2_EEPKiS6_PKS3_S8_S4_PS3_21rocsparse_index_base_b.numbered_sgpr, 18
	.set _ZN9rocsparseL19gebsrmvn_2xn_kernelILj128ELj15ELj8EfEEvi20rocsparse_direction_NS_24const_host_device_scalarIT2_EEPKiS6_PKS3_S8_S4_PS3_21rocsparse_index_base_b.num_named_barrier, 0
	.set _ZN9rocsparseL19gebsrmvn_2xn_kernelILj128ELj15ELj8EfEEvi20rocsparse_direction_NS_24const_host_device_scalarIT2_EEPKiS6_PKS3_S8_S4_PS3_21rocsparse_index_base_b.private_seg_size, 0
	.set _ZN9rocsparseL19gebsrmvn_2xn_kernelILj128ELj15ELj8EfEEvi20rocsparse_direction_NS_24const_host_device_scalarIT2_EEPKiS6_PKS3_S8_S4_PS3_21rocsparse_index_base_b.uses_vcc, 1
	.set _ZN9rocsparseL19gebsrmvn_2xn_kernelILj128ELj15ELj8EfEEvi20rocsparse_direction_NS_24const_host_device_scalarIT2_EEPKiS6_PKS3_S8_S4_PS3_21rocsparse_index_base_b.uses_flat_scratch, 0
	.set _ZN9rocsparseL19gebsrmvn_2xn_kernelILj128ELj15ELj8EfEEvi20rocsparse_direction_NS_24const_host_device_scalarIT2_EEPKiS6_PKS3_S8_S4_PS3_21rocsparse_index_base_b.has_dyn_sized_stack, 0
	.set _ZN9rocsparseL19gebsrmvn_2xn_kernelILj128ELj15ELj8EfEEvi20rocsparse_direction_NS_24const_host_device_scalarIT2_EEPKiS6_PKS3_S8_S4_PS3_21rocsparse_index_base_b.has_recursion, 0
	.set _ZN9rocsparseL19gebsrmvn_2xn_kernelILj128ELj15ELj8EfEEvi20rocsparse_direction_NS_24const_host_device_scalarIT2_EEPKiS6_PKS3_S8_S4_PS3_21rocsparse_index_base_b.has_indirect_call, 0
	.section	.AMDGPU.csdata,"",@progbits
; Kernel info:
; codeLenInByte = 2768
; TotalNumSgprs: 20
; NumVgprs: 64
; ScratchSize: 0
; MemoryBound: 0
; FloatMode: 240
; IeeeMode: 1
; LDSByteSize: 0 bytes/workgroup (compile time only)
; SGPRBlocks: 0
; VGPRBlocks: 3
; NumSGPRsForWavesPerEU: 20
; NumVGPRsForWavesPerEU: 64
; NamedBarCnt: 0
; Occupancy: 16
; WaveLimiterHint : 1
; COMPUTE_PGM_RSRC2:SCRATCH_EN: 0
; COMPUTE_PGM_RSRC2:USER_SGPR: 2
; COMPUTE_PGM_RSRC2:TRAP_HANDLER: 0
; COMPUTE_PGM_RSRC2:TGID_X_EN: 1
; COMPUTE_PGM_RSRC2:TGID_Y_EN: 0
; COMPUTE_PGM_RSRC2:TGID_Z_EN: 0
; COMPUTE_PGM_RSRC2:TIDIG_COMP_CNT: 0
	.section	.text._ZN9rocsparseL19gebsrmvn_2xn_kernelILj128ELj15ELj16EfEEvi20rocsparse_direction_NS_24const_host_device_scalarIT2_EEPKiS6_PKS3_S8_S4_PS3_21rocsparse_index_base_b,"axG",@progbits,_ZN9rocsparseL19gebsrmvn_2xn_kernelILj128ELj15ELj16EfEEvi20rocsparse_direction_NS_24const_host_device_scalarIT2_EEPKiS6_PKS3_S8_S4_PS3_21rocsparse_index_base_b,comdat
	.globl	_ZN9rocsparseL19gebsrmvn_2xn_kernelILj128ELj15ELj16EfEEvi20rocsparse_direction_NS_24const_host_device_scalarIT2_EEPKiS6_PKS3_S8_S4_PS3_21rocsparse_index_base_b ; -- Begin function _ZN9rocsparseL19gebsrmvn_2xn_kernelILj128ELj15ELj16EfEEvi20rocsparse_direction_NS_24const_host_device_scalarIT2_EEPKiS6_PKS3_S8_S4_PS3_21rocsparse_index_base_b
	.p2align	8
	.type	_ZN9rocsparseL19gebsrmvn_2xn_kernelILj128ELj15ELj16EfEEvi20rocsparse_direction_NS_24const_host_device_scalarIT2_EEPKiS6_PKS3_S8_S4_PS3_21rocsparse_index_base_b,@function
_ZN9rocsparseL19gebsrmvn_2xn_kernelILj128ELj15ELj16EfEEvi20rocsparse_direction_NS_24const_host_device_scalarIT2_EEPKiS6_PKS3_S8_S4_PS3_21rocsparse_index_base_b: ; @_ZN9rocsparseL19gebsrmvn_2xn_kernelILj128ELj15ELj16EfEEvi20rocsparse_direction_NS_24const_host_device_scalarIT2_EEPKiS6_PKS3_S8_S4_PS3_21rocsparse_index_base_b
; %bb.0:
	s_clause 0x2
	s_load_b64 s[16:17], s[0:1], 0x40
	s_load_b64 s[14:15], s[0:1], 0x8
	s_load_b64 s[12:13], s[0:1], 0x30
	s_wait_kmcnt 0x0
	s_bitcmp1_b32 s17, 0
	s_cselect_b32 s2, -1, 0
	s_delay_alu instid0(SALU_CYCLE_1)
	s_and_b32 vcc_lo, exec_lo, s2
	s_xor_b32 s2, s2, -1
	s_cbranch_vccnz .LBB67_2
; %bb.1:
	s_load_b32 s14, s[14:15], 0x0
.LBB67_2:
	s_and_not1_b32 vcc_lo, exec_lo, s2
	s_cbranch_vccnz .LBB67_4
; %bb.3:
	s_load_b32 s12, s[12:13], 0x0
.LBB67_4:
	s_wait_kmcnt 0x0
	s_cmp_eq_f32 s14, 0
	s_cselect_b32 s2, -1, 0
	s_cmp_eq_f32 s12, 1.0
	s_cselect_b32 s3, -1, 0
	s_delay_alu instid0(SALU_CYCLE_1) | instskip(NEXT) | instid1(SALU_CYCLE_1)
	s_and_b32 s2, s2, s3
	s_and_b32 vcc_lo, exec_lo, s2
	s_cbranch_vccnz .LBB67_23
; %bb.5:
	s_load_b64 s[2:3], s[0:1], 0x0
	s_bfe_u32 s4, ttmp6, 0x4000c
	s_and_b32 s5, ttmp6, 15
	s_add_co_i32 s4, s4, 1
	s_getreg_b32 s6, hwreg(HW_REG_IB_STS2, 6, 4)
	s_mul_i32 s4, ttmp9, s4
	v_lshrrev_b32_e32 v1, 4, v0
	s_add_co_i32 s5, s5, s4
	s_cmp_eq_u32 s6, 0
	s_cselect_b32 s4, ttmp9, s5
	s_delay_alu instid0(VALU_DEP_1) | instid1(SALU_CYCLE_1)
	v_lshl_or_b32 v2, s4, 3, v1
	s_wait_kmcnt 0x0
	s_delay_alu instid0(VALU_DEP_1)
	v_cmp_gt_i32_e32 vcc_lo, s2, v2
	s_and_saveexec_b32 s2, vcc_lo
	s_cbranch_execz .LBB67_23
; %bb.6:
	s_load_b256 s[4:11], s[0:1], 0x10
	v_ashrrev_i32_e32 v3, 31, v2
	s_cmp_lg_u32 s3, 0
	s_wait_kmcnt 0x0
	s_delay_alu instid0(VALU_DEP_1)
	v_lshl_add_u64 v[4:5], v[2:3], 2, s[4:5]
	v_and_b32_e32 v3, 15, v0
	global_load_b64 v[4:5], v[4:5], off
	s_wait_loadcnt 0x0
	v_subrev_nc_u32_e32 v0, s16, v4
	v_subrev_nc_u32_e32 v8, s16, v5
	s_delay_alu instid0(VALU_DEP_2) | instskip(NEXT) | instid1(VALU_DEP_1)
	v_add_nc_u32_e32 v9, v0, v3
	v_cmp_lt_i32_e64 s2, v9, v8
	s_cbranch_scc0 .LBB67_12
; %bb.7:
	v_mov_b32_e32 v1, 0
	s_delay_alu instid0(VALU_DEP_1)
	v_mov_b32_e32 v0, v1
	s_and_saveexec_b32 s3, s2
	s_cbranch_execz .LBB67_11
; %bb.8:
	v_mad_u32 v4, v9, 30, 28
	v_dual_mov_b32 v7, 0 :: v_dual_mov_b32 v10, v9
	s_mov_b32 s4, 0
	s_delay_alu instid0(VALU_DEP_1)
	v_dual_mov_b32 v0, v7 :: v_dual_mov_b32 v1, v7
.LBB67_9:                               ; =>This Inner Loop Header: Depth=1
	global_load_b32 v11, v10, s[6:7] scale_offset
	v_subrev_nc_u32_e32 v6, 28, v4
	s_wait_xcnt 0x0
	v_dual_mov_b32 v5, v7 :: v_dual_add_nc_u32 v10, 16, v10
	s_delay_alu instid0(VALU_DEP_2) | instskip(SKIP_1) | instid1(VALU_DEP_3)
	v_lshl_add_u64 v[12:13], v[6:7], 2, s[8:9]
	v_subrev_nc_u32_e32 v6, 26, v4
	v_cmp_ge_i32_e32 vcc_lo, v10, v8
	global_load_b64 v[12:13], v[12:13], off
	v_lshl_add_u64 v[14:15], v[6:7], 2, s[8:9]
	v_subrev_nc_u32_e32 v6, 24, v4
	s_or_b32 s4, vcc_lo, s4
	global_load_b64 v[14:15], v[14:15], off
	v_lshl_add_u64 v[16:17], v[6:7], 2, s[8:9]
	v_subrev_nc_u32_e32 v6, 22, v4
	global_load_b64 v[16:17], v[16:17], off
	v_lshl_add_u64 v[18:19], v[6:7], 2, s[8:9]
	v_subrev_nc_u32_e32 v6, 20, v4
	;; [unrolled: 3-line block ×3, first 2 shown]
	global_load_b64 v[20:21], v[20:21], off
	v_lshl_add_u64 v[22:23], v[6:7], 2, s[8:9]
	v_add_nc_u32_e32 v6, -16, v4
	global_load_b64 v[22:23], v[22:23], off
	v_lshl_add_u64 v[24:25], v[6:7], 2, s[8:9]
	v_add_nc_u32_e32 v6, -14, v4
	global_load_b64 v[24:25], v[24:25], off
	v_lshl_add_u64 v[26:27], v[6:7], 2, s[8:9]
	global_load_b64 v[26:27], v[26:27], off
	s_wait_loadcnt 0x8
	v_subrev_nc_u32_e32 v6, s16, v11
	s_delay_alu instid0(VALU_DEP_1)
	v_mul_lo_u32 v11, v6, 15
	global_load_b32 v28, v11, s[10:11] scale_offset
	v_dual_add_nc_u32 v6, 1, v11 :: v_dual_add_nc_u32 v31, 3, v11
	v_dual_add_nc_u32 v29, 2, v11 :: v_dual_add_nc_u32 v35, 13, v11
	s_clause 0x1
	global_load_b32 v36, v31, s[10:11] scale_offset
	global_load_b32 v30, v6, s[10:11] scale_offset
	s_wait_xcnt 0x1
	v_add_nc_u32_e32 v31, 7, v11
	s_clause 0x1
	global_load_b32 v34, v29, s[10:11] scale_offset
	global_load_b32 v48, v31, s[10:11] scale_offset
	s_wait_xcnt 0x0
	v_dual_add_nc_u32 v6, -12, v4 :: v_dual_add_nc_u32 v31, 11, v11
	s_delay_alu instid0(VALU_DEP_1)
	v_lshl_add_u64 v[32:33], v[6:7], 2, s[8:9]
	v_add_nc_u32_e32 v6, -10, v4
	global_load_b64 v[32:33], v[32:33], off
	v_lshl_add_u64 v[38:39], v[6:7], 2, s[8:9]
	v_add_nc_u32_e32 v6, 5, v11
	global_load_b64 v[38:39], v[38:39], off
	global_load_b32 v42, v6, s[10:11] scale_offset
	s_wait_xcnt 0x0
	v_dual_add_nc_u32 v6, -8, v4 :: v_dual_add_nc_u32 v29, 4, v11
	s_delay_alu instid0(VALU_DEP_1)
	v_lshl_add_u64 v[44:45], v[6:7], 2, s[8:9]
	v_add_nc_u32_e32 v6, -6, v4
	global_load_b32 v40, v29, s[10:11] scale_offset
	global_load_b64 v[44:45], v[44:45], off
	v_lshl_add_u64 v[50:51], v[6:7], 2, s[8:9]
	v_add_nc_u32_e32 v6, 9, v11
	global_load_b32 v54, v6, s[10:11] scale_offset
	s_wait_xcnt 0x0
	v_dual_add_nc_u32 v29, 6, v11 :: v_dual_add_nc_u32 v6, -4, v4
	global_load_b32 v46, v29, s[10:11] scale_offset
	s_wait_xcnt 0x0
	v_add_nc_u32_e32 v29, 8, v11
	global_load_b32 v52, v29, s[10:11] scale_offset
	s_wait_xcnt 0x0
	v_add_nc_u32_e32 v29, 10, v11
	global_load_b32 v58, v29, s[10:11] scale_offset
	global_load_b64 v[60:61], v[50:51], off
	s_wait_xcnt 0x1
	v_add_nc_u32_e32 v29, 12, v11
	v_lshl_add_u64 v[56:57], v[6:7], 2, s[8:9]
	v_add_nc_u32_e32 v6, -2, v4
	global_load_b64 v[50:51], v[56:57], off
	s_wait_loadcnt 0xf
	v_pk_fma_f32 v[0:1], v[12:13], v[28:29], v[0:1] op_sel_hi:[1,0,1]
	v_lshl_add_u64 v[12:13], v[6:7], 2, s[8:9]
	global_load_b32 v6, v29, s[10:11] scale_offset
	global_load_b64 v[12:13], v[12:13], off
	global_load_b32 v56, v31, s[10:11] scale_offset
	s_wait_loadcnt 0x10
	v_pk_fma_f32 v[0:1], v[14:15], v[30:31], v[0:1] op_sel_hi:[1,0,1]
	v_lshl_add_u64 v[14:15], v[4:5], 2, s[8:9]
	v_add_nc_u32_e32 v5, 14, v11
	global_load_b32 v28, v35, s[10:11] scale_offset
	global_load_b64 v[30:31], v[14:15], off
	global_load_b32 v62, v5, s[10:11] scale_offset
	s_wait_loadcnt 0x12
	v_pk_fma_f32 v[0:1], v[16:17], v[34:35], v[0:1] op_sel_hi:[1,0,1]
	v_add_nc_u32_e32 v4, 0x1e0, v4
	s_delay_alu instid0(VALU_DEP_2) | instskip(SKIP_1) | instid1(VALU_DEP_1)
	v_pk_fma_f32 v[0:1], v[18:19], v[36:37], v[0:1] op_sel_hi:[1,0,1]
	s_wait_loadcnt 0xd
	v_pk_fma_f32 v[0:1], v[20:21], v[40:41], v[0:1] op_sel_hi:[1,0,1]
	s_delay_alu instid0(VALU_DEP_1) | instskip(SKIP_1) | instid1(VALU_DEP_1)
	v_pk_fma_f32 v[0:1], v[22:23], v[42:43], v[0:1] op_sel_hi:[1,0,1]
	s_wait_loadcnt 0xa
	v_pk_fma_f32 v[0:1], v[24:25], v[46:47], v[0:1] op_sel_hi:[1,0,1]
	s_delay_alu instid0(VALU_DEP_1) | instskip(SKIP_1) | instid1(VALU_DEP_1)
	;; [unrolled: 4-line block ×3, first 2 shown]
	v_pk_fma_f32 v[0:1], v[38:39], v[54:55], v[0:1] op_sel_hi:[1,0,1]
	s_wait_loadcnt 0x8
	v_pk_fma_f32 v[0:1], v[44:45], v[58:59], v[0:1] op_sel_hi:[1,0,1]
	s_wait_loadcnt 0x3
	s_delay_alu instid0(VALU_DEP_1) | instskip(NEXT) | instid1(VALU_DEP_1)
	v_pk_fma_f32 v[0:1], v[60:61], v[56:57], v[0:1] op_sel_hi:[1,0,1]
	v_pk_fma_f32 v[0:1], v[50:51], v[6:7], v[0:1] op_sel_hi:[1,0,1]
	s_wait_loadcnt 0x2
	s_delay_alu instid0(VALU_DEP_1) | instskip(SKIP_1) | instid1(VALU_DEP_1)
	v_pk_fma_f32 v[0:1], v[12:13], v[28:29], v[0:1] op_sel_hi:[1,0,1]
	s_wait_loadcnt 0x0
	v_pk_fma_f32 v[0:1], v[30:31], v[62:63], v[0:1] op_sel_hi:[1,0,1]
	s_and_not1_b32 exec_lo, exec_lo, s4
	s_cbranch_execnz .LBB67_9
; %bb.10:
	s_or_b32 exec_lo, exec_lo, s4
.LBB67_11:
	s_delay_alu instid0(SALU_CYCLE_1)
	s_or_b32 exec_lo, exec_lo, s3
	s_cbranch_execz .LBB67_13
	s_branch .LBB67_18
.LBB67_12:
                                        ; implicit-def: $vgpr1
.LBB67_13:
	v_mov_b32_e32 v1, 0
	s_delay_alu instid0(VALU_DEP_1)
	v_mov_b32_e32 v0, v1
	s_and_saveexec_b32 s3, s2
	s_cbranch_execz .LBB67_17
; %bb.14:
	v_mad_u32 v6, v9, 30, 29
	v_mov_b32_e32 v5, 0
	s_mov_b32 s2, 0
	s_delay_alu instid0(VALU_DEP_1)
	v_dual_mov_b32 v0, v5 :: v_dual_mov_b32 v1, v5
.LBB67_15:                              ; =>This Inner Loop Header: Depth=1
	global_load_b32 v7, v9, s[6:7] scale_offset
	v_subrev_nc_u32_e32 v4, 29, v6
	v_dual_add_nc_u32 v12, -14, v6 :: v_dual_add_nc_u32 v16, -13, v6
	v_subrev_nc_u32_e32 v20, 27, v6
	v_dual_add_nc_u32 v21, -12, v6 :: v_dual_add_nc_u32 v25, -11, v6
	s_delay_alu instid0(VALU_DEP_4)
	v_lshl_add_u64 v[10:11], v[4:5], 2, s[8:9]
	v_subrev_nc_u32_e32 v24, 26, v6
	s_clause 0x2
	global_load_b32 v13, v16, s[8:9] scale_offset
	global_load_b64 v[14:15], v[10:11], off
	global_load_b32 v17, v12, s[8:9] scale_offset
	v_subrev_nc_u32_e32 v28, 25, v6
	v_dual_add_nc_u32 v29, -10, v6 :: v_dual_add_nc_u32 v34, -9, v6
	v_subrev_nc_u32_e32 v33, 24, v6
	v_subrev_nc_u32_e32 v35, 23, v6
	v_dual_add_nc_u32 v38, -8, v6 :: v_dual_add_nc_u32 v40, -7, v6
	v_subrev_nc_u32_e32 v39, 22, v6
	;; [unrolled: 3-line block ×4, first 2 shown]
	v_subrev_nc_u32_e32 v54, 17, v6
	s_wait_xcnt 0x3
	v_add_nc_u32_e32 v9, 16, v9
	s_delay_alu instid0(VALU_DEP_1) | instskip(SKIP_3) | instid1(VALU_DEP_1)
	v_cmp_ge_i32_e32 vcc_lo, v9, v8
	s_or_b32 s2, vcc_lo, s2
	s_wait_loadcnt 0x3
	v_subrev_nc_u32_e32 v4, s16, v7
	v_mul_lo_u32 v7, v4, 15
	s_wait_xcnt 0x0
	s_delay_alu instid0(VALU_DEP_1)
	v_dual_add_nc_u32 v12, -2, v6 :: v_dual_add_nc_u32 v16, 3, v7
	global_load_b32 v4, v7, s[10:11] scale_offset
	v_dual_add_nc_u32 v10, 1, v7 :: v_dual_add_nc_u32 v11, 2, v7
	global_load_b32 v10, v10, s[10:11] scale_offset
	s_clause 0x1
	global_load_b32 v18, v20, s[8:9] scale_offset
	global_load_b32 v19, v21, s[8:9] scale_offset
	;; [unrolled: 1-line block ×3, first 2 shown]
	s_clause 0x1
	global_load_b32 v22, v24, s[8:9] scale_offset
	global_load_b32 v23, v25, s[8:9] scale_offset
	;; [unrolled: 1-line block ×3, first 2 shown]
	v_dual_add_nc_u32 v11, -16, v6 :: v_dual_add_nc_u32 v21, 4, v7
	s_clause 0x1
	global_load_b32 v26, v28, s[8:9] scale_offset
	global_load_b32 v27, v29, s[8:9] scale_offset
	s_wait_xcnt 0x2
	v_dual_add_nc_u32 v25, -1, v6 :: v_dual_add_nc_u32 v16, 5, v7
	global_load_b32 v28, v21, s[10:11] scale_offset
	s_clause 0x2
	global_load_b32 v30, v33, s[8:9] scale_offset
	global_load_b32 v31, v34, s[8:9] scale_offset
	global_load_b32 v32, v35, s[8:9] scale_offset
	s_wait_xcnt 0x3
	v_add_nc_u32_e32 v21, 6, v7
	global_load_b32 v34, v16, s[10:11] scale_offset
	s_clause 0x2
	global_load_b32 v33, v38, s[8:9] scale_offset
	global_load_b32 v36, v39, s[8:9] scale_offset
	global_load_b32 v37, v40, s[8:9] scale_offset
	s_wait_xcnt 0x3
	v_add_nc_u32_e32 v16, 7, v7
	;; [unrolled: 7-line block ×3, first 2 shown]
	global_load_b32 v44, v16, s[10:11] scale_offset
	s_clause 0x1
	global_load_b32 v43, v47, s[8:9] scale_offset
	global_load_b32 v46, v48, s[8:9] scale_offset
	s_wait_xcnt 0x2
	v_add_nc_u32_e32 v16, 9, v7
	global_load_b32 v48, v21, s[10:11] scale_offset
	global_load_b32 v47, v49, s[8:9] scale_offset
	s_wait_xcnt 0x1
	v_dual_add_nc_u32 v21, 10, v7 :: v_dual_add_nc_u32 v29, 11, v7
	global_load_b32 v50, v16, s[10:11] scale_offset
	s_wait_loadcnt 0x1d
	s_wait_xcnt 0x0
	v_mov_b32_e32 v16, v14
	s_wait_loadcnt 0x1b
	s_delay_alu instid0(VALU_DEP_1)
	v_pk_fma_f32 v[0:1], v[16:17], v[4:5], v[0:1] op_sel_hi:[1,0,1]
	global_load_b32 v4, v21, s[10:11] scale_offset
	s_clause 0x2
	global_load_b32 v16, v51, s[8:9] scale_offset
	global_load_b32 v17, v53, s[8:9] scale_offset
	;; [unrolled: 1-line block ×3, first 2 shown]
	s_wait_xcnt 0x3
	v_add_nc_u32_e32 v21, 12, v7
	global_load_b32 v14, v29, s[10:11] scale_offset
	s_clause 0x1
	global_load_b32 v53, v12, s[8:9] scale_offset
	global_load_b32 v54, v11, s[8:9] scale_offset
	global_load_b32 v56, v21, s[10:11] scale_offset
	global_load_b32 v55, v25, s[8:9] scale_offset
	s_wait_xcnt 0x2
	v_dual_mov_b32 v12, v15 :: v_dual_add_nc_u32 v11, 13, v7
	v_dual_add_nc_u32 v15, -15, v6 :: v_dual_add_nc_u32 v7, 14, v7
	s_wait_loadcnt 0x23
	s_delay_alu instid0(VALU_DEP_2)
	v_pk_fma_f32 v[0:1], v[12:13], v[10:11], v[0:1] op_sel_hi:[1,0,1]
	global_load_b32 v10, v11, s[10:11] scale_offset
	s_clause 0x1
	global_load_b32 v13, v6, s[8:9] scale_offset
	global_load_b32 v12, v15, s[8:9] scale_offset
	;; [unrolled: 1-line block ×3, first 2 shown]
	s_wait_xcnt 0x2
	v_add_nc_u32_e32 v6, 0x1e0, v6
	s_wait_loadcnt 0x24
	v_pk_fma_f32 v[0:1], v[18:19], v[20:21], v[0:1] op_sel_hi:[1,0,1]
	s_wait_loadcnt 0x21
	s_delay_alu instid0(VALU_DEP_1) | instskip(SKIP_1) | instid1(VALU_DEP_1)
	v_pk_fma_f32 v[0:1], v[22:23], v[24:25], v[0:1] op_sel_hi:[1,0,1]
	s_wait_loadcnt 0x1e
	v_pk_fma_f32 v[0:1], v[26:27], v[28:29], v[0:1] op_sel_hi:[1,0,1]
	s_wait_loadcnt 0x1a
	s_delay_alu instid0(VALU_DEP_1) | instskip(SKIP_1) | instid1(VALU_DEP_1)
	v_pk_fma_f32 v[0:1], v[30:31], v[34:35], v[0:1] op_sel_hi:[1,0,1]
	;; [unrolled: 5-line block ×6, first 2 shown]
	s_wait_loadcnt 0x0
	v_pk_fma_f32 v[0:1], v[12:13], v[58:59], v[0:1] op_sel_hi:[1,0,1]
	s_and_not1_b32 exec_lo, exec_lo, s2
	s_cbranch_execnz .LBB67_15
; %bb.16:
	s_or_b32 exec_lo, exec_lo, s2
.LBB67_17:
	s_delay_alu instid0(SALU_CYCLE_1)
	s_or_b32 exec_lo, exec_lo, s3
.LBB67_18:
	v_mbcnt_lo_u32_b32 v6, -1, 0
	s_mov_b32 s2, -1
	s_delay_alu instid0(VALU_DEP_1) | instskip(SKIP_1) | instid1(VALU_DEP_1)
	v_xor_b32_e32 v7, 4, v6
	v_xor_b32_e32 v4, 8, v6
	v_cmp_gt_i32_e32 vcc_lo, 32, v4
	v_cndmask_b32_e32 v4, v6, v4, vcc_lo
	s_delay_alu instid0(VALU_DEP_4) | instskip(SKIP_1) | instid1(VALU_DEP_1)
	v_cmp_gt_i32_e32 vcc_lo, 32, v7
	v_cndmask_b32_e32 v7, v6, v7, vcc_lo
	v_dual_lshlrev_b32 v7, 2, v7 :: v_dual_lshlrev_b32 v5, 2, v4
	ds_bpermute_b32 v4, v5, v0
	ds_bpermute_b32 v5, v5, v1
	s_wait_dscnt 0x0
	v_pk_add_f32 v[0:1], v[0:1], v[4:5]
	ds_bpermute_b32 v4, v7, v0
	ds_bpermute_b32 v5, v7, v1
	v_xor_b32_e32 v7, 2, v6
	s_delay_alu instid0(VALU_DEP_1) | instskip(SKIP_1) | instid1(VALU_DEP_1)
	v_cmp_gt_i32_e32 vcc_lo, 32, v7
	v_cndmask_b32_e32 v7, v6, v7, vcc_lo
	v_lshlrev_b32_e32 v7, 2, v7
	s_wait_dscnt 0x0
	v_pk_add_f32 v[0:1], v[0:1], v[4:5]
	ds_bpermute_b32 v4, v7, v0
	ds_bpermute_b32 v5, v7, v1
	v_xor_b32_e32 v7, 1, v6
	s_delay_alu instid0(VALU_DEP_1) | instskip(SKIP_2) | instid1(VALU_DEP_2)
	v_cmp_gt_i32_e32 vcc_lo, 32, v7
	v_cndmask_b32_e32 v6, v6, v7, vcc_lo
	v_cmp_eq_u32_e32 vcc_lo, 15, v3
	v_lshlrev_b32_e32 v6, 2, v6
	s_wait_dscnt 0x0
	v_pk_add_f32 v[0:1], v[0:1], v[4:5]
	ds_bpermute_b32 v4, v6, v0
	ds_bpermute_b32 v5, v6, v1
	s_and_b32 exec_lo, exec_lo, vcc_lo
	s_cbranch_execz .LBB67_23
; %bb.19:
	s_load_b64 s[0:1], s[0:1], 0x38
	s_wait_dscnt 0x0
	v_pk_add_f32 v[0:1], v[0:1], v[4:5]
	v_lshlrev_b32_e32 v2, 1, v2
	s_cmp_eq_f32 s12, 0
	s_cbranch_scc0 .LBB67_21
; %bb.20:
	s_delay_alu instid0(VALU_DEP_1) | instskip(SKIP_3) | instid1(VALU_DEP_2)
	v_ashrrev_i32_e32 v3, 31, v2
	v_pk_mul_f32 v[6:7], s[14:15], v[0:1] op_sel_hi:[0,1]
	s_mov_b32 s2, 0
	s_wait_kmcnt 0x0
	v_lshl_add_u64 v[4:5], v[2:3], 2, s[0:1]
	global_store_b64 v[4:5], v[6:7], off
.LBB67_21:
	s_and_not1_b32 vcc_lo, exec_lo, s2
	s_cbranch_vccnz .LBB67_23
; %bb.22:
	v_ashrrev_i32_e32 v3, 31, v2
	v_pk_mul_f32 v[0:1], s[14:15], v[0:1] op_sel_hi:[0,1]
	s_wait_kmcnt 0x0
	s_delay_alu instid0(VALU_DEP_2)
	v_lshl_add_u64 v[2:3], v[2:3], 2, s[0:1]
	global_load_b64 v[4:5], v[2:3], off
	s_wait_loadcnt 0x0
	v_pk_fma_f32 v[0:1], s[12:13], v[4:5], v[0:1] op_sel_hi:[0,1,1]
	global_store_b64 v[2:3], v[0:1], off
.LBB67_23:
	s_endpgm
	.section	.rodata,"a",@progbits
	.p2align	6, 0x0
	.amdhsa_kernel _ZN9rocsparseL19gebsrmvn_2xn_kernelILj128ELj15ELj16EfEEvi20rocsparse_direction_NS_24const_host_device_scalarIT2_EEPKiS6_PKS3_S8_S4_PS3_21rocsparse_index_base_b
		.amdhsa_group_segment_fixed_size 0
		.amdhsa_private_segment_fixed_size 0
		.amdhsa_kernarg_size 72
		.amdhsa_user_sgpr_count 2
		.amdhsa_user_sgpr_dispatch_ptr 0
		.amdhsa_user_sgpr_queue_ptr 0
		.amdhsa_user_sgpr_kernarg_segment_ptr 1
		.amdhsa_user_sgpr_dispatch_id 0
		.amdhsa_user_sgpr_kernarg_preload_length 0
		.amdhsa_user_sgpr_kernarg_preload_offset 0
		.amdhsa_user_sgpr_private_segment_size 0
		.amdhsa_wavefront_size32 1
		.amdhsa_uses_dynamic_stack 0
		.amdhsa_enable_private_segment 0
		.amdhsa_system_sgpr_workgroup_id_x 1
		.amdhsa_system_sgpr_workgroup_id_y 0
		.amdhsa_system_sgpr_workgroup_id_z 0
		.amdhsa_system_sgpr_workgroup_info 0
		.amdhsa_system_vgpr_workitem_id 0
		.amdhsa_next_free_vgpr 64
		.amdhsa_next_free_sgpr 18
		.amdhsa_named_barrier_count 0
		.amdhsa_reserve_vcc 1
		.amdhsa_float_round_mode_32 0
		.amdhsa_float_round_mode_16_64 0
		.amdhsa_float_denorm_mode_32 3
		.amdhsa_float_denorm_mode_16_64 3
		.amdhsa_fp16_overflow 0
		.amdhsa_memory_ordered 1
		.amdhsa_forward_progress 1
		.amdhsa_inst_pref_size 22
		.amdhsa_round_robin_scheduling 0
		.amdhsa_exception_fp_ieee_invalid_op 0
		.amdhsa_exception_fp_denorm_src 0
		.amdhsa_exception_fp_ieee_div_zero 0
		.amdhsa_exception_fp_ieee_overflow 0
		.amdhsa_exception_fp_ieee_underflow 0
		.amdhsa_exception_fp_ieee_inexact 0
		.amdhsa_exception_int_div_zero 0
	.end_amdhsa_kernel
	.section	.text._ZN9rocsparseL19gebsrmvn_2xn_kernelILj128ELj15ELj16EfEEvi20rocsparse_direction_NS_24const_host_device_scalarIT2_EEPKiS6_PKS3_S8_S4_PS3_21rocsparse_index_base_b,"axG",@progbits,_ZN9rocsparseL19gebsrmvn_2xn_kernelILj128ELj15ELj16EfEEvi20rocsparse_direction_NS_24const_host_device_scalarIT2_EEPKiS6_PKS3_S8_S4_PS3_21rocsparse_index_base_b,comdat
.Lfunc_end67:
	.size	_ZN9rocsparseL19gebsrmvn_2xn_kernelILj128ELj15ELj16EfEEvi20rocsparse_direction_NS_24const_host_device_scalarIT2_EEPKiS6_PKS3_S8_S4_PS3_21rocsparse_index_base_b, .Lfunc_end67-_ZN9rocsparseL19gebsrmvn_2xn_kernelILj128ELj15ELj16EfEEvi20rocsparse_direction_NS_24const_host_device_scalarIT2_EEPKiS6_PKS3_S8_S4_PS3_21rocsparse_index_base_b
                                        ; -- End function
	.set _ZN9rocsparseL19gebsrmvn_2xn_kernelILj128ELj15ELj16EfEEvi20rocsparse_direction_NS_24const_host_device_scalarIT2_EEPKiS6_PKS3_S8_S4_PS3_21rocsparse_index_base_b.num_vgpr, 64
	.set _ZN9rocsparseL19gebsrmvn_2xn_kernelILj128ELj15ELj16EfEEvi20rocsparse_direction_NS_24const_host_device_scalarIT2_EEPKiS6_PKS3_S8_S4_PS3_21rocsparse_index_base_b.num_agpr, 0
	.set _ZN9rocsparseL19gebsrmvn_2xn_kernelILj128ELj15ELj16EfEEvi20rocsparse_direction_NS_24const_host_device_scalarIT2_EEPKiS6_PKS3_S8_S4_PS3_21rocsparse_index_base_b.numbered_sgpr, 18
	.set _ZN9rocsparseL19gebsrmvn_2xn_kernelILj128ELj15ELj16EfEEvi20rocsparse_direction_NS_24const_host_device_scalarIT2_EEPKiS6_PKS3_S8_S4_PS3_21rocsparse_index_base_b.num_named_barrier, 0
	.set _ZN9rocsparseL19gebsrmvn_2xn_kernelILj128ELj15ELj16EfEEvi20rocsparse_direction_NS_24const_host_device_scalarIT2_EEPKiS6_PKS3_S8_S4_PS3_21rocsparse_index_base_b.private_seg_size, 0
	.set _ZN9rocsparseL19gebsrmvn_2xn_kernelILj128ELj15ELj16EfEEvi20rocsparse_direction_NS_24const_host_device_scalarIT2_EEPKiS6_PKS3_S8_S4_PS3_21rocsparse_index_base_b.uses_vcc, 1
	.set _ZN9rocsparseL19gebsrmvn_2xn_kernelILj128ELj15ELj16EfEEvi20rocsparse_direction_NS_24const_host_device_scalarIT2_EEPKiS6_PKS3_S8_S4_PS3_21rocsparse_index_base_b.uses_flat_scratch, 0
	.set _ZN9rocsparseL19gebsrmvn_2xn_kernelILj128ELj15ELj16EfEEvi20rocsparse_direction_NS_24const_host_device_scalarIT2_EEPKiS6_PKS3_S8_S4_PS3_21rocsparse_index_base_b.has_dyn_sized_stack, 0
	.set _ZN9rocsparseL19gebsrmvn_2xn_kernelILj128ELj15ELj16EfEEvi20rocsparse_direction_NS_24const_host_device_scalarIT2_EEPKiS6_PKS3_S8_S4_PS3_21rocsparse_index_base_b.has_recursion, 0
	.set _ZN9rocsparseL19gebsrmvn_2xn_kernelILj128ELj15ELj16EfEEvi20rocsparse_direction_NS_24const_host_device_scalarIT2_EEPKiS6_PKS3_S8_S4_PS3_21rocsparse_index_base_b.has_indirect_call, 0
	.section	.AMDGPU.csdata,"",@progbits
; Kernel info:
; codeLenInByte = 2816
; TotalNumSgprs: 20
; NumVgprs: 64
; ScratchSize: 0
; MemoryBound: 0
; FloatMode: 240
; IeeeMode: 1
; LDSByteSize: 0 bytes/workgroup (compile time only)
; SGPRBlocks: 0
; VGPRBlocks: 3
; NumSGPRsForWavesPerEU: 20
; NumVGPRsForWavesPerEU: 64
; NamedBarCnt: 0
; Occupancy: 16
; WaveLimiterHint : 1
; COMPUTE_PGM_RSRC2:SCRATCH_EN: 0
; COMPUTE_PGM_RSRC2:USER_SGPR: 2
; COMPUTE_PGM_RSRC2:TRAP_HANDLER: 0
; COMPUTE_PGM_RSRC2:TGID_X_EN: 1
; COMPUTE_PGM_RSRC2:TGID_Y_EN: 0
; COMPUTE_PGM_RSRC2:TGID_Z_EN: 0
; COMPUTE_PGM_RSRC2:TIDIG_COMP_CNT: 0
	.section	.text._ZN9rocsparseL19gebsrmvn_2xn_kernelILj128ELj15ELj32EfEEvi20rocsparse_direction_NS_24const_host_device_scalarIT2_EEPKiS6_PKS3_S8_S4_PS3_21rocsparse_index_base_b,"axG",@progbits,_ZN9rocsparseL19gebsrmvn_2xn_kernelILj128ELj15ELj32EfEEvi20rocsparse_direction_NS_24const_host_device_scalarIT2_EEPKiS6_PKS3_S8_S4_PS3_21rocsparse_index_base_b,comdat
	.globl	_ZN9rocsparseL19gebsrmvn_2xn_kernelILj128ELj15ELj32EfEEvi20rocsparse_direction_NS_24const_host_device_scalarIT2_EEPKiS6_PKS3_S8_S4_PS3_21rocsparse_index_base_b ; -- Begin function _ZN9rocsparseL19gebsrmvn_2xn_kernelILj128ELj15ELj32EfEEvi20rocsparse_direction_NS_24const_host_device_scalarIT2_EEPKiS6_PKS3_S8_S4_PS3_21rocsparse_index_base_b
	.p2align	8
	.type	_ZN9rocsparseL19gebsrmvn_2xn_kernelILj128ELj15ELj32EfEEvi20rocsparse_direction_NS_24const_host_device_scalarIT2_EEPKiS6_PKS3_S8_S4_PS3_21rocsparse_index_base_b,@function
_ZN9rocsparseL19gebsrmvn_2xn_kernelILj128ELj15ELj32EfEEvi20rocsparse_direction_NS_24const_host_device_scalarIT2_EEPKiS6_PKS3_S8_S4_PS3_21rocsparse_index_base_b: ; @_ZN9rocsparseL19gebsrmvn_2xn_kernelILj128ELj15ELj32EfEEvi20rocsparse_direction_NS_24const_host_device_scalarIT2_EEPKiS6_PKS3_S8_S4_PS3_21rocsparse_index_base_b
; %bb.0:
	s_clause 0x2
	s_load_b64 s[16:17], s[0:1], 0x40
	s_load_b64 s[14:15], s[0:1], 0x8
	;; [unrolled: 1-line block ×3, first 2 shown]
	s_wait_kmcnt 0x0
	s_bitcmp1_b32 s17, 0
	s_cselect_b32 s2, -1, 0
	s_delay_alu instid0(SALU_CYCLE_1)
	s_and_b32 vcc_lo, exec_lo, s2
	s_xor_b32 s2, s2, -1
	s_cbranch_vccnz .LBB68_2
; %bb.1:
	s_load_b32 s14, s[14:15], 0x0
.LBB68_2:
	s_and_not1_b32 vcc_lo, exec_lo, s2
	s_cbranch_vccnz .LBB68_4
; %bb.3:
	s_load_b32 s12, s[12:13], 0x0
.LBB68_4:
	s_wait_kmcnt 0x0
	s_cmp_eq_f32 s14, 0
	s_cselect_b32 s2, -1, 0
	s_cmp_eq_f32 s12, 1.0
	s_cselect_b32 s3, -1, 0
	s_delay_alu instid0(SALU_CYCLE_1) | instskip(NEXT) | instid1(SALU_CYCLE_1)
	s_and_b32 s2, s2, s3
	s_and_b32 vcc_lo, exec_lo, s2
	s_cbranch_vccnz .LBB68_23
; %bb.5:
	s_load_b64 s[2:3], s[0:1], 0x0
	s_bfe_u32 s4, ttmp6, 0x4000c
	s_and_b32 s5, ttmp6, 15
	s_add_co_i32 s4, s4, 1
	s_getreg_b32 s6, hwreg(HW_REG_IB_STS2, 6, 4)
	s_mul_i32 s4, ttmp9, s4
	v_lshrrev_b32_e32 v1, 5, v0
	s_add_co_i32 s5, s5, s4
	s_cmp_eq_u32 s6, 0
	s_cselect_b32 s4, ttmp9, s5
	s_delay_alu instid0(VALU_DEP_1) | instid1(SALU_CYCLE_1)
	v_lshl_or_b32 v2, s4, 2, v1
	s_wait_kmcnt 0x0
	s_delay_alu instid0(VALU_DEP_1)
	v_cmp_gt_i32_e32 vcc_lo, s2, v2
	s_and_saveexec_b32 s2, vcc_lo
	s_cbranch_execz .LBB68_23
; %bb.6:
	s_load_b256 s[4:11], s[0:1], 0x10
	v_ashrrev_i32_e32 v3, 31, v2
	s_cmp_lg_u32 s3, 0
	s_wait_kmcnt 0x0
	s_delay_alu instid0(VALU_DEP_1)
	v_lshl_add_u64 v[4:5], v[2:3], 2, s[4:5]
	v_and_b32_e32 v3, 31, v0
	global_load_b64 v[4:5], v[4:5], off
	s_wait_loadcnt 0x0
	v_subrev_nc_u32_e32 v0, s16, v4
	v_subrev_nc_u32_e32 v8, s16, v5
	s_delay_alu instid0(VALU_DEP_2) | instskip(NEXT) | instid1(VALU_DEP_1)
	v_add_nc_u32_e32 v9, v0, v3
	v_cmp_lt_i32_e64 s2, v9, v8
	s_cbranch_scc0 .LBB68_12
; %bb.7:
	v_mov_b32_e32 v1, 0
	s_delay_alu instid0(VALU_DEP_1)
	v_mov_b32_e32 v0, v1
	s_and_saveexec_b32 s3, s2
	s_cbranch_execz .LBB68_11
; %bb.8:
	v_mad_u32 v4, v9, 30, 28
	v_dual_mov_b32 v7, 0 :: v_dual_mov_b32 v10, v9
	s_mov_b32 s4, 0
	s_delay_alu instid0(VALU_DEP_1)
	v_dual_mov_b32 v0, v7 :: v_dual_mov_b32 v1, v7
.LBB68_9:                               ; =>This Inner Loop Header: Depth=1
	global_load_b32 v11, v10, s[6:7] scale_offset
	v_subrev_nc_u32_e32 v6, 28, v4
	s_wait_xcnt 0x0
	v_dual_mov_b32 v5, v7 :: v_dual_add_nc_u32 v10, 32, v10
	s_delay_alu instid0(VALU_DEP_2) | instskip(SKIP_1) | instid1(VALU_DEP_3)
	v_lshl_add_u64 v[12:13], v[6:7], 2, s[8:9]
	v_subrev_nc_u32_e32 v6, 26, v4
	v_cmp_ge_i32_e32 vcc_lo, v10, v8
	global_load_b64 v[12:13], v[12:13], off
	v_lshl_add_u64 v[14:15], v[6:7], 2, s[8:9]
	v_subrev_nc_u32_e32 v6, 24, v4
	s_or_b32 s4, vcc_lo, s4
	global_load_b64 v[14:15], v[14:15], off
	v_lshl_add_u64 v[16:17], v[6:7], 2, s[8:9]
	v_subrev_nc_u32_e32 v6, 22, v4
	global_load_b64 v[16:17], v[16:17], off
	v_lshl_add_u64 v[18:19], v[6:7], 2, s[8:9]
	v_subrev_nc_u32_e32 v6, 20, v4
	;; [unrolled: 3-line block ×3, first 2 shown]
	global_load_b64 v[20:21], v[20:21], off
	v_lshl_add_u64 v[22:23], v[6:7], 2, s[8:9]
	v_add_nc_u32_e32 v6, -16, v4
	global_load_b64 v[22:23], v[22:23], off
	v_lshl_add_u64 v[24:25], v[6:7], 2, s[8:9]
	v_add_nc_u32_e32 v6, -14, v4
	global_load_b64 v[24:25], v[24:25], off
	v_lshl_add_u64 v[26:27], v[6:7], 2, s[8:9]
	global_load_b64 v[26:27], v[26:27], off
	s_wait_loadcnt 0x8
	v_subrev_nc_u32_e32 v6, s16, v11
	s_delay_alu instid0(VALU_DEP_1)
	v_mul_lo_u32 v11, v6, 15
	global_load_b32 v28, v11, s[10:11] scale_offset
	v_dual_add_nc_u32 v6, 1, v11 :: v_dual_add_nc_u32 v31, 3, v11
	v_dual_add_nc_u32 v29, 2, v11 :: v_dual_add_nc_u32 v35, 13, v11
	s_clause 0x1
	global_load_b32 v36, v31, s[10:11] scale_offset
	global_load_b32 v30, v6, s[10:11] scale_offset
	s_wait_xcnt 0x1
	v_add_nc_u32_e32 v31, 7, v11
	s_clause 0x1
	global_load_b32 v34, v29, s[10:11] scale_offset
	global_load_b32 v48, v31, s[10:11] scale_offset
	s_wait_xcnt 0x0
	v_dual_add_nc_u32 v6, -12, v4 :: v_dual_add_nc_u32 v31, 11, v11
	s_delay_alu instid0(VALU_DEP_1)
	v_lshl_add_u64 v[32:33], v[6:7], 2, s[8:9]
	v_add_nc_u32_e32 v6, -10, v4
	global_load_b64 v[32:33], v[32:33], off
	v_lshl_add_u64 v[38:39], v[6:7], 2, s[8:9]
	v_add_nc_u32_e32 v6, 5, v11
	global_load_b64 v[38:39], v[38:39], off
	global_load_b32 v42, v6, s[10:11] scale_offset
	s_wait_xcnt 0x0
	v_dual_add_nc_u32 v6, -8, v4 :: v_dual_add_nc_u32 v29, 4, v11
	s_delay_alu instid0(VALU_DEP_1)
	v_lshl_add_u64 v[44:45], v[6:7], 2, s[8:9]
	v_add_nc_u32_e32 v6, -6, v4
	global_load_b32 v40, v29, s[10:11] scale_offset
	global_load_b64 v[44:45], v[44:45], off
	v_lshl_add_u64 v[50:51], v[6:7], 2, s[8:9]
	v_add_nc_u32_e32 v6, 9, v11
	global_load_b32 v54, v6, s[10:11] scale_offset
	s_wait_xcnt 0x0
	v_dual_add_nc_u32 v29, 6, v11 :: v_dual_add_nc_u32 v6, -4, v4
	global_load_b32 v46, v29, s[10:11] scale_offset
	s_wait_xcnt 0x0
	v_add_nc_u32_e32 v29, 8, v11
	global_load_b32 v52, v29, s[10:11] scale_offset
	s_wait_xcnt 0x0
	v_add_nc_u32_e32 v29, 10, v11
	global_load_b32 v58, v29, s[10:11] scale_offset
	global_load_b64 v[60:61], v[50:51], off
	s_wait_xcnt 0x1
	v_add_nc_u32_e32 v29, 12, v11
	v_lshl_add_u64 v[56:57], v[6:7], 2, s[8:9]
	v_add_nc_u32_e32 v6, -2, v4
	global_load_b64 v[50:51], v[56:57], off
	s_wait_loadcnt 0xf
	v_pk_fma_f32 v[0:1], v[12:13], v[28:29], v[0:1] op_sel_hi:[1,0,1]
	v_lshl_add_u64 v[12:13], v[6:7], 2, s[8:9]
	global_load_b32 v6, v29, s[10:11] scale_offset
	global_load_b64 v[12:13], v[12:13], off
	global_load_b32 v56, v31, s[10:11] scale_offset
	s_wait_loadcnt 0x10
	v_pk_fma_f32 v[0:1], v[14:15], v[30:31], v[0:1] op_sel_hi:[1,0,1]
	v_lshl_add_u64 v[14:15], v[4:5], 2, s[8:9]
	v_add_nc_u32_e32 v5, 14, v11
	global_load_b32 v28, v35, s[10:11] scale_offset
	global_load_b64 v[30:31], v[14:15], off
	global_load_b32 v62, v5, s[10:11] scale_offset
	s_wait_loadcnt 0x12
	v_pk_fma_f32 v[0:1], v[16:17], v[34:35], v[0:1] op_sel_hi:[1,0,1]
	v_add_nc_u32_e32 v4, 0x3c0, v4
	s_delay_alu instid0(VALU_DEP_2) | instskip(SKIP_1) | instid1(VALU_DEP_1)
	v_pk_fma_f32 v[0:1], v[18:19], v[36:37], v[0:1] op_sel_hi:[1,0,1]
	s_wait_loadcnt 0xd
	v_pk_fma_f32 v[0:1], v[20:21], v[40:41], v[0:1] op_sel_hi:[1,0,1]
	s_delay_alu instid0(VALU_DEP_1) | instskip(SKIP_1) | instid1(VALU_DEP_1)
	v_pk_fma_f32 v[0:1], v[22:23], v[42:43], v[0:1] op_sel_hi:[1,0,1]
	s_wait_loadcnt 0xa
	v_pk_fma_f32 v[0:1], v[24:25], v[46:47], v[0:1] op_sel_hi:[1,0,1]
	s_delay_alu instid0(VALU_DEP_1) | instskip(SKIP_1) | instid1(VALU_DEP_1)
	v_pk_fma_f32 v[0:1], v[26:27], v[48:49], v[0:1] op_sel_hi:[1,0,1]
	s_wait_loadcnt 0x9
	v_pk_fma_f32 v[0:1], v[32:33], v[52:53], v[0:1] op_sel_hi:[1,0,1]
	s_delay_alu instid0(VALU_DEP_1) | instskip(SKIP_1) | instid1(VALU_DEP_1)
	v_pk_fma_f32 v[0:1], v[38:39], v[54:55], v[0:1] op_sel_hi:[1,0,1]
	s_wait_loadcnt 0x8
	v_pk_fma_f32 v[0:1], v[44:45], v[58:59], v[0:1] op_sel_hi:[1,0,1]
	s_wait_loadcnt 0x3
	s_delay_alu instid0(VALU_DEP_1) | instskip(NEXT) | instid1(VALU_DEP_1)
	v_pk_fma_f32 v[0:1], v[60:61], v[56:57], v[0:1] op_sel_hi:[1,0,1]
	v_pk_fma_f32 v[0:1], v[50:51], v[6:7], v[0:1] op_sel_hi:[1,0,1]
	s_wait_loadcnt 0x2
	s_delay_alu instid0(VALU_DEP_1) | instskip(SKIP_1) | instid1(VALU_DEP_1)
	v_pk_fma_f32 v[0:1], v[12:13], v[28:29], v[0:1] op_sel_hi:[1,0,1]
	s_wait_loadcnt 0x0
	v_pk_fma_f32 v[0:1], v[30:31], v[62:63], v[0:1] op_sel_hi:[1,0,1]
	s_and_not1_b32 exec_lo, exec_lo, s4
	s_cbranch_execnz .LBB68_9
; %bb.10:
	s_or_b32 exec_lo, exec_lo, s4
.LBB68_11:
	s_delay_alu instid0(SALU_CYCLE_1)
	s_or_b32 exec_lo, exec_lo, s3
	s_cbranch_execz .LBB68_13
	s_branch .LBB68_18
.LBB68_12:
                                        ; implicit-def: $vgpr1
.LBB68_13:
	v_mov_b32_e32 v1, 0
	s_delay_alu instid0(VALU_DEP_1)
	v_mov_b32_e32 v0, v1
	s_and_saveexec_b32 s3, s2
	s_cbranch_execz .LBB68_17
; %bb.14:
	v_mad_u32 v6, v9, 30, 29
	v_mov_b32_e32 v5, 0
	s_mov_b32 s2, 0
	s_delay_alu instid0(VALU_DEP_1)
	v_dual_mov_b32 v0, v5 :: v_dual_mov_b32 v1, v5
.LBB68_15:                              ; =>This Inner Loop Header: Depth=1
	global_load_b32 v7, v9, s[6:7] scale_offset
	v_subrev_nc_u32_e32 v4, 29, v6
	v_dual_add_nc_u32 v12, -14, v6 :: v_dual_add_nc_u32 v16, -13, v6
	v_subrev_nc_u32_e32 v20, 27, v6
	v_dual_add_nc_u32 v21, -12, v6 :: v_dual_add_nc_u32 v25, -11, v6
	s_delay_alu instid0(VALU_DEP_4)
	v_lshl_add_u64 v[10:11], v[4:5], 2, s[8:9]
	v_subrev_nc_u32_e32 v24, 26, v6
	s_clause 0x2
	global_load_b32 v13, v16, s[8:9] scale_offset
	global_load_b64 v[14:15], v[10:11], off
	global_load_b32 v17, v12, s[8:9] scale_offset
	v_subrev_nc_u32_e32 v28, 25, v6
	v_dual_add_nc_u32 v29, -10, v6 :: v_dual_add_nc_u32 v34, -9, v6
	v_subrev_nc_u32_e32 v33, 24, v6
	v_subrev_nc_u32_e32 v35, 23, v6
	v_dual_add_nc_u32 v38, -8, v6 :: v_dual_add_nc_u32 v40, -7, v6
	v_subrev_nc_u32_e32 v39, 22, v6
	v_subrev_nc_u32_e32 v43, 21, v6
	v_dual_add_nc_u32 v44, -6, v6 :: v_dual_add_nc_u32 v47, -5, v6
	v_subrev_nc_u32_e32 v45, 20, v6
	v_subrev_nc_u32_e32 v48, 19, v6
	v_dual_add_nc_u32 v49, -4, v6 :: v_dual_add_nc_u32 v53, -3, v6
	v_subrev_nc_u32_e32 v51, 18, v6
	v_subrev_nc_u32_e32 v54, 17, v6
	s_wait_xcnt 0x3
	v_add_nc_u32_e32 v9, 32, v9
	s_delay_alu instid0(VALU_DEP_1) | instskip(SKIP_3) | instid1(VALU_DEP_1)
	v_cmp_ge_i32_e32 vcc_lo, v9, v8
	s_or_b32 s2, vcc_lo, s2
	s_wait_loadcnt 0x3
	v_subrev_nc_u32_e32 v4, s16, v7
	v_mul_lo_u32 v7, v4, 15
	s_wait_xcnt 0x0
	s_delay_alu instid0(VALU_DEP_1)
	v_dual_add_nc_u32 v12, -2, v6 :: v_dual_add_nc_u32 v16, 3, v7
	global_load_b32 v4, v7, s[10:11] scale_offset
	v_dual_add_nc_u32 v10, 1, v7 :: v_dual_add_nc_u32 v11, 2, v7
	global_load_b32 v10, v10, s[10:11] scale_offset
	s_clause 0x1
	global_load_b32 v18, v20, s[8:9] scale_offset
	global_load_b32 v19, v21, s[8:9] scale_offset
	;; [unrolled: 1-line block ×3, first 2 shown]
	s_clause 0x1
	global_load_b32 v22, v24, s[8:9] scale_offset
	global_load_b32 v23, v25, s[8:9] scale_offset
	;; [unrolled: 1-line block ×3, first 2 shown]
	v_dual_add_nc_u32 v11, -16, v6 :: v_dual_add_nc_u32 v21, 4, v7
	s_clause 0x1
	global_load_b32 v26, v28, s[8:9] scale_offset
	global_load_b32 v27, v29, s[8:9] scale_offset
	s_wait_xcnt 0x2
	v_dual_add_nc_u32 v25, -1, v6 :: v_dual_add_nc_u32 v16, 5, v7
	global_load_b32 v28, v21, s[10:11] scale_offset
	s_clause 0x2
	global_load_b32 v30, v33, s[8:9] scale_offset
	global_load_b32 v31, v34, s[8:9] scale_offset
	global_load_b32 v32, v35, s[8:9] scale_offset
	s_wait_xcnt 0x3
	v_add_nc_u32_e32 v21, 6, v7
	global_load_b32 v34, v16, s[10:11] scale_offset
	s_clause 0x2
	global_load_b32 v33, v38, s[8:9] scale_offset
	global_load_b32 v36, v39, s[8:9] scale_offset
	global_load_b32 v37, v40, s[8:9] scale_offset
	s_wait_xcnt 0x3
	v_add_nc_u32_e32 v16, 7, v7
	;; [unrolled: 7-line block ×3, first 2 shown]
	global_load_b32 v44, v16, s[10:11] scale_offset
	s_clause 0x1
	global_load_b32 v43, v47, s[8:9] scale_offset
	global_load_b32 v46, v48, s[8:9] scale_offset
	s_wait_xcnt 0x2
	v_add_nc_u32_e32 v16, 9, v7
	global_load_b32 v48, v21, s[10:11] scale_offset
	global_load_b32 v47, v49, s[8:9] scale_offset
	s_wait_xcnt 0x1
	v_dual_add_nc_u32 v21, 10, v7 :: v_dual_add_nc_u32 v29, 11, v7
	global_load_b32 v50, v16, s[10:11] scale_offset
	s_wait_loadcnt 0x1d
	s_wait_xcnt 0x0
	v_mov_b32_e32 v16, v14
	s_wait_loadcnt 0x1b
	s_delay_alu instid0(VALU_DEP_1)
	v_pk_fma_f32 v[0:1], v[16:17], v[4:5], v[0:1] op_sel_hi:[1,0,1]
	global_load_b32 v4, v21, s[10:11] scale_offset
	s_clause 0x2
	global_load_b32 v16, v51, s[8:9] scale_offset
	global_load_b32 v17, v53, s[8:9] scale_offset
	;; [unrolled: 1-line block ×3, first 2 shown]
	s_wait_xcnt 0x3
	v_add_nc_u32_e32 v21, 12, v7
	global_load_b32 v14, v29, s[10:11] scale_offset
	s_clause 0x1
	global_load_b32 v53, v12, s[8:9] scale_offset
	global_load_b32 v54, v11, s[8:9] scale_offset
	global_load_b32 v56, v21, s[10:11] scale_offset
	global_load_b32 v55, v25, s[8:9] scale_offset
	s_wait_xcnt 0x2
	v_dual_mov_b32 v12, v15 :: v_dual_add_nc_u32 v11, 13, v7
	v_dual_add_nc_u32 v15, -15, v6 :: v_dual_add_nc_u32 v7, 14, v7
	s_wait_loadcnt 0x23
	s_delay_alu instid0(VALU_DEP_2)
	v_pk_fma_f32 v[0:1], v[12:13], v[10:11], v[0:1] op_sel_hi:[1,0,1]
	global_load_b32 v10, v11, s[10:11] scale_offset
	s_clause 0x1
	global_load_b32 v13, v6, s[8:9] scale_offset
	global_load_b32 v12, v15, s[8:9] scale_offset
	;; [unrolled: 1-line block ×3, first 2 shown]
	s_wait_xcnt 0x2
	v_add_nc_u32_e32 v6, 0x3c0, v6
	s_wait_loadcnt 0x24
	v_pk_fma_f32 v[0:1], v[18:19], v[20:21], v[0:1] op_sel_hi:[1,0,1]
	s_wait_loadcnt 0x21
	s_delay_alu instid0(VALU_DEP_1) | instskip(SKIP_1) | instid1(VALU_DEP_1)
	v_pk_fma_f32 v[0:1], v[22:23], v[24:25], v[0:1] op_sel_hi:[1,0,1]
	s_wait_loadcnt 0x1e
	v_pk_fma_f32 v[0:1], v[26:27], v[28:29], v[0:1] op_sel_hi:[1,0,1]
	s_wait_loadcnt 0x1a
	s_delay_alu instid0(VALU_DEP_1) | instskip(SKIP_1) | instid1(VALU_DEP_1)
	v_pk_fma_f32 v[0:1], v[30:31], v[34:35], v[0:1] op_sel_hi:[1,0,1]
	;; [unrolled: 5-line block ×6, first 2 shown]
	s_wait_loadcnt 0x0
	v_pk_fma_f32 v[0:1], v[12:13], v[58:59], v[0:1] op_sel_hi:[1,0,1]
	s_and_not1_b32 exec_lo, exec_lo, s2
	s_cbranch_execnz .LBB68_15
; %bb.16:
	s_or_b32 exec_lo, exec_lo, s2
.LBB68_17:
	s_delay_alu instid0(SALU_CYCLE_1)
	s_or_b32 exec_lo, exec_lo, s3
.LBB68_18:
	v_mbcnt_lo_u32_b32 v6, -1, 0
	s_mov_b32 s2, -1
	s_delay_alu instid0(VALU_DEP_1) | instskip(SKIP_1) | instid1(VALU_DEP_1)
	v_xor_b32_e32 v7, 8, v6
	v_xor_b32_e32 v4, 16, v6
	v_cmp_gt_i32_e32 vcc_lo, 32, v4
	v_cndmask_b32_e32 v4, v6, v4, vcc_lo
	s_delay_alu instid0(VALU_DEP_4) | instskip(SKIP_1) | instid1(VALU_DEP_1)
	v_cmp_gt_i32_e32 vcc_lo, 32, v7
	v_cndmask_b32_e32 v7, v6, v7, vcc_lo
	v_dual_lshlrev_b32 v7, 2, v7 :: v_dual_lshlrev_b32 v5, 2, v4
	ds_bpermute_b32 v4, v5, v0
	ds_bpermute_b32 v5, v5, v1
	s_wait_dscnt 0x0
	v_pk_add_f32 v[0:1], v[0:1], v[4:5]
	ds_bpermute_b32 v4, v7, v0
	ds_bpermute_b32 v5, v7, v1
	v_xor_b32_e32 v7, 4, v6
	s_delay_alu instid0(VALU_DEP_1) | instskip(SKIP_1) | instid1(VALU_DEP_1)
	v_cmp_gt_i32_e32 vcc_lo, 32, v7
	v_cndmask_b32_e32 v7, v6, v7, vcc_lo
	v_lshlrev_b32_e32 v7, 2, v7
	s_wait_dscnt 0x0
	v_pk_add_f32 v[0:1], v[0:1], v[4:5]
	ds_bpermute_b32 v4, v7, v0
	ds_bpermute_b32 v5, v7, v1
	v_xor_b32_e32 v7, 2, v6
	s_delay_alu instid0(VALU_DEP_1) | instskip(SKIP_1) | instid1(VALU_DEP_1)
	v_cmp_gt_i32_e32 vcc_lo, 32, v7
	v_cndmask_b32_e32 v7, v6, v7, vcc_lo
	v_lshlrev_b32_e32 v7, 2, v7
	s_wait_dscnt 0x0
	v_pk_add_f32 v[0:1], v[0:1], v[4:5]
	ds_bpermute_b32 v4, v7, v0
	ds_bpermute_b32 v5, v7, v1
	v_xor_b32_e32 v7, 1, v6
	s_delay_alu instid0(VALU_DEP_1) | instskip(SKIP_2) | instid1(VALU_DEP_2)
	v_cmp_gt_i32_e32 vcc_lo, 32, v7
	v_cndmask_b32_e32 v6, v6, v7, vcc_lo
	v_cmp_eq_u32_e32 vcc_lo, 31, v3
	v_lshlrev_b32_e32 v6, 2, v6
	s_wait_dscnt 0x0
	v_pk_add_f32 v[0:1], v[0:1], v[4:5]
	ds_bpermute_b32 v4, v6, v0
	ds_bpermute_b32 v5, v6, v1
	s_and_b32 exec_lo, exec_lo, vcc_lo
	s_cbranch_execz .LBB68_23
; %bb.19:
	s_load_b64 s[0:1], s[0:1], 0x38
	s_wait_dscnt 0x0
	v_pk_add_f32 v[0:1], v[0:1], v[4:5]
	v_lshlrev_b32_e32 v2, 1, v2
	s_cmp_eq_f32 s12, 0
	s_cbranch_scc0 .LBB68_21
; %bb.20:
	s_delay_alu instid0(VALU_DEP_1) | instskip(SKIP_3) | instid1(VALU_DEP_2)
	v_ashrrev_i32_e32 v3, 31, v2
	v_pk_mul_f32 v[6:7], s[14:15], v[0:1] op_sel_hi:[0,1]
	s_mov_b32 s2, 0
	s_wait_kmcnt 0x0
	v_lshl_add_u64 v[4:5], v[2:3], 2, s[0:1]
	global_store_b64 v[4:5], v[6:7], off
.LBB68_21:
	s_and_not1_b32 vcc_lo, exec_lo, s2
	s_cbranch_vccnz .LBB68_23
; %bb.22:
	v_ashrrev_i32_e32 v3, 31, v2
	v_pk_mul_f32 v[0:1], s[14:15], v[0:1] op_sel_hi:[0,1]
	s_wait_kmcnt 0x0
	s_delay_alu instid0(VALU_DEP_2)
	v_lshl_add_u64 v[2:3], v[2:3], 2, s[0:1]
	global_load_b64 v[4:5], v[2:3], off
	s_wait_loadcnt 0x0
	v_pk_fma_f32 v[0:1], s[12:13], v[4:5], v[0:1] op_sel_hi:[0,1,1]
	global_store_b64 v[2:3], v[0:1], off
.LBB68_23:
	s_endpgm
	.section	.rodata,"a",@progbits
	.p2align	6, 0x0
	.amdhsa_kernel _ZN9rocsparseL19gebsrmvn_2xn_kernelILj128ELj15ELj32EfEEvi20rocsparse_direction_NS_24const_host_device_scalarIT2_EEPKiS6_PKS3_S8_S4_PS3_21rocsparse_index_base_b
		.amdhsa_group_segment_fixed_size 0
		.amdhsa_private_segment_fixed_size 0
		.amdhsa_kernarg_size 72
		.amdhsa_user_sgpr_count 2
		.amdhsa_user_sgpr_dispatch_ptr 0
		.amdhsa_user_sgpr_queue_ptr 0
		.amdhsa_user_sgpr_kernarg_segment_ptr 1
		.amdhsa_user_sgpr_dispatch_id 0
		.amdhsa_user_sgpr_kernarg_preload_length 0
		.amdhsa_user_sgpr_kernarg_preload_offset 0
		.amdhsa_user_sgpr_private_segment_size 0
		.amdhsa_wavefront_size32 1
		.amdhsa_uses_dynamic_stack 0
		.amdhsa_enable_private_segment 0
		.amdhsa_system_sgpr_workgroup_id_x 1
		.amdhsa_system_sgpr_workgroup_id_y 0
		.amdhsa_system_sgpr_workgroup_id_z 0
		.amdhsa_system_sgpr_workgroup_info 0
		.amdhsa_system_vgpr_workitem_id 0
		.amdhsa_next_free_vgpr 64
		.amdhsa_next_free_sgpr 18
		.amdhsa_named_barrier_count 0
		.amdhsa_reserve_vcc 1
		.amdhsa_float_round_mode_32 0
		.amdhsa_float_round_mode_16_64 0
		.amdhsa_float_denorm_mode_32 3
		.amdhsa_float_denorm_mode_16_64 3
		.amdhsa_fp16_overflow 0
		.amdhsa_memory_ordered 1
		.amdhsa_forward_progress 1
		.amdhsa_inst_pref_size 23
		.amdhsa_round_robin_scheduling 0
		.amdhsa_exception_fp_ieee_invalid_op 0
		.amdhsa_exception_fp_denorm_src 0
		.amdhsa_exception_fp_ieee_div_zero 0
		.amdhsa_exception_fp_ieee_overflow 0
		.amdhsa_exception_fp_ieee_underflow 0
		.amdhsa_exception_fp_ieee_inexact 0
		.amdhsa_exception_int_div_zero 0
	.end_amdhsa_kernel
	.section	.text._ZN9rocsparseL19gebsrmvn_2xn_kernelILj128ELj15ELj32EfEEvi20rocsparse_direction_NS_24const_host_device_scalarIT2_EEPKiS6_PKS3_S8_S4_PS3_21rocsparse_index_base_b,"axG",@progbits,_ZN9rocsparseL19gebsrmvn_2xn_kernelILj128ELj15ELj32EfEEvi20rocsparse_direction_NS_24const_host_device_scalarIT2_EEPKiS6_PKS3_S8_S4_PS3_21rocsparse_index_base_b,comdat
.Lfunc_end68:
	.size	_ZN9rocsparseL19gebsrmvn_2xn_kernelILj128ELj15ELj32EfEEvi20rocsparse_direction_NS_24const_host_device_scalarIT2_EEPKiS6_PKS3_S8_S4_PS3_21rocsparse_index_base_b, .Lfunc_end68-_ZN9rocsparseL19gebsrmvn_2xn_kernelILj128ELj15ELj32EfEEvi20rocsparse_direction_NS_24const_host_device_scalarIT2_EEPKiS6_PKS3_S8_S4_PS3_21rocsparse_index_base_b
                                        ; -- End function
	.set _ZN9rocsparseL19gebsrmvn_2xn_kernelILj128ELj15ELj32EfEEvi20rocsparse_direction_NS_24const_host_device_scalarIT2_EEPKiS6_PKS3_S8_S4_PS3_21rocsparse_index_base_b.num_vgpr, 64
	.set _ZN9rocsparseL19gebsrmvn_2xn_kernelILj128ELj15ELj32EfEEvi20rocsparse_direction_NS_24const_host_device_scalarIT2_EEPKiS6_PKS3_S8_S4_PS3_21rocsparse_index_base_b.num_agpr, 0
	.set _ZN9rocsparseL19gebsrmvn_2xn_kernelILj128ELj15ELj32EfEEvi20rocsparse_direction_NS_24const_host_device_scalarIT2_EEPKiS6_PKS3_S8_S4_PS3_21rocsparse_index_base_b.numbered_sgpr, 18
	.set _ZN9rocsparseL19gebsrmvn_2xn_kernelILj128ELj15ELj32EfEEvi20rocsparse_direction_NS_24const_host_device_scalarIT2_EEPKiS6_PKS3_S8_S4_PS3_21rocsparse_index_base_b.num_named_barrier, 0
	.set _ZN9rocsparseL19gebsrmvn_2xn_kernelILj128ELj15ELj32EfEEvi20rocsparse_direction_NS_24const_host_device_scalarIT2_EEPKiS6_PKS3_S8_S4_PS3_21rocsparse_index_base_b.private_seg_size, 0
	.set _ZN9rocsparseL19gebsrmvn_2xn_kernelILj128ELj15ELj32EfEEvi20rocsparse_direction_NS_24const_host_device_scalarIT2_EEPKiS6_PKS3_S8_S4_PS3_21rocsparse_index_base_b.uses_vcc, 1
	.set _ZN9rocsparseL19gebsrmvn_2xn_kernelILj128ELj15ELj32EfEEvi20rocsparse_direction_NS_24const_host_device_scalarIT2_EEPKiS6_PKS3_S8_S4_PS3_21rocsparse_index_base_b.uses_flat_scratch, 0
	.set _ZN9rocsparseL19gebsrmvn_2xn_kernelILj128ELj15ELj32EfEEvi20rocsparse_direction_NS_24const_host_device_scalarIT2_EEPKiS6_PKS3_S8_S4_PS3_21rocsparse_index_base_b.has_dyn_sized_stack, 0
	.set _ZN9rocsparseL19gebsrmvn_2xn_kernelILj128ELj15ELj32EfEEvi20rocsparse_direction_NS_24const_host_device_scalarIT2_EEPKiS6_PKS3_S8_S4_PS3_21rocsparse_index_base_b.has_recursion, 0
	.set _ZN9rocsparseL19gebsrmvn_2xn_kernelILj128ELj15ELj32EfEEvi20rocsparse_direction_NS_24const_host_device_scalarIT2_EEPKiS6_PKS3_S8_S4_PS3_21rocsparse_index_base_b.has_indirect_call, 0
	.section	.AMDGPU.csdata,"",@progbits
; Kernel info:
; codeLenInByte = 2864
; TotalNumSgprs: 20
; NumVgprs: 64
; ScratchSize: 0
; MemoryBound: 0
; FloatMode: 240
; IeeeMode: 1
; LDSByteSize: 0 bytes/workgroup (compile time only)
; SGPRBlocks: 0
; VGPRBlocks: 3
; NumSGPRsForWavesPerEU: 20
; NumVGPRsForWavesPerEU: 64
; NamedBarCnt: 0
; Occupancy: 16
; WaveLimiterHint : 1
; COMPUTE_PGM_RSRC2:SCRATCH_EN: 0
; COMPUTE_PGM_RSRC2:USER_SGPR: 2
; COMPUTE_PGM_RSRC2:TRAP_HANDLER: 0
; COMPUTE_PGM_RSRC2:TGID_X_EN: 1
; COMPUTE_PGM_RSRC2:TGID_Y_EN: 0
; COMPUTE_PGM_RSRC2:TGID_Z_EN: 0
; COMPUTE_PGM_RSRC2:TIDIG_COMP_CNT: 0
	.section	.text._ZN9rocsparseL19gebsrmvn_2xn_kernelILj128ELj15ELj64EfEEvi20rocsparse_direction_NS_24const_host_device_scalarIT2_EEPKiS6_PKS3_S8_S4_PS3_21rocsparse_index_base_b,"axG",@progbits,_ZN9rocsparseL19gebsrmvn_2xn_kernelILj128ELj15ELj64EfEEvi20rocsparse_direction_NS_24const_host_device_scalarIT2_EEPKiS6_PKS3_S8_S4_PS3_21rocsparse_index_base_b,comdat
	.globl	_ZN9rocsparseL19gebsrmvn_2xn_kernelILj128ELj15ELj64EfEEvi20rocsparse_direction_NS_24const_host_device_scalarIT2_EEPKiS6_PKS3_S8_S4_PS3_21rocsparse_index_base_b ; -- Begin function _ZN9rocsparseL19gebsrmvn_2xn_kernelILj128ELj15ELj64EfEEvi20rocsparse_direction_NS_24const_host_device_scalarIT2_EEPKiS6_PKS3_S8_S4_PS3_21rocsparse_index_base_b
	.p2align	8
	.type	_ZN9rocsparseL19gebsrmvn_2xn_kernelILj128ELj15ELj64EfEEvi20rocsparse_direction_NS_24const_host_device_scalarIT2_EEPKiS6_PKS3_S8_S4_PS3_21rocsparse_index_base_b,@function
_ZN9rocsparseL19gebsrmvn_2xn_kernelILj128ELj15ELj64EfEEvi20rocsparse_direction_NS_24const_host_device_scalarIT2_EEPKiS6_PKS3_S8_S4_PS3_21rocsparse_index_base_b: ; @_ZN9rocsparseL19gebsrmvn_2xn_kernelILj128ELj15ELj64EfEEvi20rocsparse_direction_NS_24const_host_device_scalarIT2_EEPKiS6_PKS3_S8_S4_PS3_21rocsparse_index_base_b
; %bb.0:
	s_clause 0x2
	s_load_b64 s[16:17], s[0:1], 0x40
	s_load_b64 s[14:15], s[0:1], 0x8
	;; [unrolled: 1-line block ×3, first 2 shown]
	s_wait_kmcnt 0x0
	s_bitcmp1_b32 s17, 0
	s_cselect_b32 s2, -1, 0
	s_delay_alu instid0(SALU_CYCLE_1)
	s_and_b32 vcc_lo, exec_lo, s2
	s_xor_b32 s2, s2, -1
	s_cbranch_vccnz .LBB69_2
; %bb.1:
	s_load_b32 s14, s[14:15], 0x0
.LBB69_2:
	s_and_not1_b32 vcc_lo, exec_lo, s2
	s_cbranch_vccnz .LBB69_4
; %bb.3:
	s_load_b32 s12, s[12:13], 0x0
.LBB69_4:
	s_wait_kmcnt 0x0
	s_cmp_eq_f32 s14, 0
	s_cselect_b32 s2, -1, 0
	s_cmp_eq_f32 s12, 1.0
	s_cselect_b32 s3, -1, 0
	s_delay_alu instid0(SALU_CYCLE_1) | instskip(NEXT) | instid1(SALU_CYCLE_1)
	s_and_b32 s2, s2, s3
	s_and_b32 vcc_lo, exec_lo, s2
	s_cbranch_vccnz .LBB69_23
; %bb.5:
	s_load_b64 s[2:3], s[0:1], 0x0
	s_bfe_u32 s4, ttmp6, 0x4000c
	s_and_b32 s5, ttmp6, 15
	s_add_co_i32 s4, s4, 1
	s_getreg_b32 s6, hwreg(HW_REG_IB_STS2, 6, 4)
	s_mul_i32 s4, ttmp9, s4
	v_lshrrev_b32_e32 v1, 6, v0
	s_add_co_i32 s5, s5, s4
	s_cmp_eq_u32 s6, 0
	s_cselect_b32 s4, ttmp9, s5
	s_delay_alu instid0(VALU_DEP_1) | instid1(SALU_CYCLE_1)
	v_lshl_or_b32 v2, s4, 1, v1
	s_wait_kmcnt 0x0
	s_delay_alu instid0(VALU_DEP_1)
	v_cmp_gt_i32_e32 vcc_lo, s2, v2
	s_and_saveexec_b32 s2, vcc_lo
	s_cbranch_execz .LBB69_23
; %bb.6:
	s_load_b256 s[4:11], s[0:1], 0x10
	v_ashrrev_i32_e32 v3, 31, v2
	s_cmp_lg_u32 s3, 0
	s_wait_kmcnt 0x0
	s_delay_alu instid0(VALU_DEP_1)
	v_lshl_add_u64 v[4:5], v[2:3], 2, s[4:5]
	v_and_b32_e32 v3, 63, v0
	global_load_b64 v[4:5], v[4:5], off
	s_wait_loadcnt 0x0
	v_subrev_nc_u32_e32 v0, s16, v4
	v_subrev_nc_u32_e32 v8, s16, v5
	s_delay_alu instid0(VALU_DEP_2) | instskip(NEXT) | instid1(VALU_DEP_1)
	v_add_nc_u32_e32 v9, v0, v3
	v_cmp_lt_i32_e64 s2, v9, v8
	s_cbranch_scc0 .LBB69_12
; %bb.7:
	v_mov_b32_e32 v1, 0
	s_delay_alu instid0(VALU_DEP_1)
	v_mov_b32_e32 v0, v1
	s_and_saveexec_b32 s3, s2
	s_cbranch_execz .LBB69_11
; %bb.8:
	v_mad_u32 v4, v9, 30, 28
	v_dual_mov_b32 v7, 0 :: v_dual_mov_b32 v10, v9
	s_mov_b32 s4, 0
	s_delay_alu instid0(VALU_DEP_1)
	v_dual_mov_b32 v0, v7 :: v_dual_mov_b32 v1, v7
.LBB69_9:                               ; =>This Inner Loop Header: Depth=1
	global_load_b32 v11, v10, s[6:7] scale_offset
	v_subrev_nc_u32_e32 v6, 28, v4
	s_wait_xcnt 0x0
	v_dual_mov_b32 v5, v7 :: v_dual_add_nc_u32 v10, 64, v10
	s_delay_alu instid0(VALU_DEP_2) | instskip(SKIP_1) | instid1(VALU_DEP_3)
	v_lshl_add_u64 v[12:13], v[6:7], 2, s[8:9]
	v_subrev_nc_u32_e32 v6, 26, v4
	v_cmp_ge_i32_e32 vcc_lo, v10, v8
	global_load_b64 v[12:13], v[12:13], off
	v_lshl_add_u64 v[14:15], v[6:7], 2, s[8:9]
	v_subrev_nc_u32_e32 v6, 24, v4
	s_or_b32 s4, vcc_lo, s4
	global_load_b64 v[14:15], v[14:15], off
	v_lshl_add_u64 v[16:17], v[6:7], 2, s[8:9]
	v_subrev_nc_u32_e32 v6, 22, v4
	global_load_b64 v[16:17], v[16:17], off
	v_lshl_add_u64 v[18:19], v[6:7], 2, s[8:9]
	v_subrev_nc_u32_e32 v6, 20, v4
	;; [unrolled: 3-line block ×3, first 2 shown]
	global_load_b64 v[20:21], v[20:21], off
	v_lshl_add_u64 v[22:23], v[6:7], 2, s[8:9]
	v_add_nc_u32_e32 v6, -16, v4
	global_load_b64 v[22:23], v[22:23], off
	v_lshl_add_u64 v[24:25], v[6:7], 2, s[8:9]
	v_add_nc_u32_e32 v6, -14, v4
	global_load_b64 v[24:25], v[24:25], off
	v_lshl_add_u64 v[26:27], v[6:7], 2, s[8:9]
	global_load_b64 v[26:27], v[26:27], off
	s_wait_loadcnt 0x8
	v_subrev_nc_u32_e32 v6, s16, v11
	s_delay_alu instid0(VALU_DEP_1)
	v_mul_lo_u32 v11, v6, 15
	global_load_b32 v28, v11, s[10:11] scale_offset
	v_dual_add_nc_u32 v6, 1, v11 :: v_dual_add_nc_u32 v31, 3, v11
	v_dual_add_nc_u32 v29, 2, v11 :: v_dual_add_nc_u32 v35, 13, v11
	s_clause 0x1
	global_load_b32 v36, v31, s[10:11] scale_offset
	global_load_b32 v30, v6, s[10:11] scale_offset
	s_wait_xcnt 0x1
	v_add_nc_u32_e32 v31, 7, v11
	s_clause 0x1
	global_load_b32 v34, v29, s[10:11] scale_offset
	global_load_b32 v48, v31, s[10:11] scale_offset
	s_wait_xcnt 0x0
	v_dual_add_nc_u32 v6, -12, v4 :: v_dual_add_nc_u32 v31, 11, v11
	s_delay_alu instid0(VALU_DEP_1)
	v_lshl_add_u64 v[32:33], v[6:7], 2, s[8:9]
	v_add_nc_u32_e32 v6, -10, v4
	global_load_b64 v[32:33], v[32:33], off
	v_lshl_add_u64 v[38:39], v[6:7], 2, s[8:9]
	v_add_nc_u32_e32 v6, 5, v11
	global_load_b64 v[38:39], v[38:39], off
	global_load_b32 v42, v6, s[10:11] scale_offset
	s_wait_xcnt 0x0
	v_dual_add_nc_u32 v6, -8, v4 :: v_dual_add_nc_u32 v29, 4, v11
	s_delay_alu instid0(VALU_DEP_1)
	v_lshl_add_u64 v[44:45], v[6:7], 2, s[8:9]
	v_add_nc_u32_e32 v6, -6, v4
	global_load_b32 v40, v29, s[10:11] scale_offset
	global_load_b64 v[44:45], v[44:45], off
	v_lshl_add_u64 v[50:51], v[6:7], 2, s[8:9]
	v_add_nc_u32_e32 v6, 9, v11
	global_load_b32 v54, v6, s[10:11] scale_offset
	s_wait_xcnt 0x0
	v_dual_add_nc_u32 v29, 6, v11 :: v_dual_add_nc_u32 v6, -4, v4
	global_load_b32 v46, v29, s[10:11] scale_offset
	s_wait_xcnt 0x0
	v_add_nc_u32_e32 v29, 8, v11
	global_load_b32 v52, v29, s[10:11] scale_offset
	s_wait_xcnt 0x0
	v_add_nc_u32_e32 v29, 10, v11
	global_load_b32 v58, v29, s[10:11] scale_offset
	global_load_b64 v[60:61], v[50:51], off
	s_wait_xcnt 0x1
	v_add_nc_u32_e32 v29, 12, v11
	v_lshl_add_u64 v[56:57], v[6:7], 2, s[8:9]
	v_add_nc_u32_e32 v6, -2, v4
	global_load_b64 v[50:51], v[56:57], off
	s_wait_loadcnt 0xf
	v_pk_fma_f32 v[0:1], v[12:13], v[28:29], v[0:1] op_sel_hi:[1,0,1]
	v_lshl_add_u64 v[12:13], v[6:7], 2, s[8:9]
	global_load_b32 v6, v29, s[10:11] scale_offset
	global_load_b64 v[12:13], v[12:13], off
	global_load_b32 v56, v31, s[10:11] scale_offset
	s_wait_loadcnt 0x10
	v_pk_fma_f32 v[0:1], v[14:15], v[30:31], v[0:1] op_sel_hi:[1,0,1]
	v_lshl_add_u64 v[14:15], v[4:5], 2, s[8:9]
	v_add_nc_u32_e32 v5, 14, v11
	global_load_b32 v28, v35, s[10:11] scale_offset
	global_load_b64 v[30:31], v[14:15], off
	global_load_b32 v62, v5, s[10:11] scale_offset
	s_wait_loadcnt 0x12
	v_pk_fma_f32 v[0:1], v[16:17], v[34:35], v[0:1] op_sel_hi:[1,0,1]
	v_add_nc_u32_e32 v4, 0x780, v4
	s_delay_alu instid0(VALU_DEP_2) | instskip(SKIP_1) | instid1(VALU_DEP_1)
	v_pk_fma_f32 v[0:1], v[18:19], v[36:37], v[0:1] op_sel_hi:[1,0,1]
	s_wait_loadcnt 0xd
	v_pk_fma_f32 v[0:1], v[20:21], v[40:41], v[0:1] op_sel_hi:[1,0,1]
	s_delay_alu instid0(VALU_DEP_1) | instskip(SKIP_1) | instid1(VALU_DEP_1)
	v_pk_fma_f32 v[0:1], v[22:23], v[42:43], v[0:1] op_sel_hi:[1,0,1]
	s_wait_loadcnt 0xa
	v_pk_fma_f32 v[0:1], v[24:25], v[46:47], v[0:1] op_sel_hi:[1,0,1]
	s_delay_alu instid0(VALU_DEP_1) | instskip(SKIP_1) | instid1(VALU_DEP_1)
	;; [unrolled: 4-line block ×3, first 2 shown]
	v_pk_fma_f32 v[0:1], v[38:39], v[54:55], v[0:1] op_sel_hi:[1,0,1]
	s_wait_loadcnt 0x8
	v_pk_fma_f32 v[0:1], v[44:45], v[58:59], v[0:1] op_sel_hi:[1,0,1]
	s_wait_loadcnt 0x3
	s_delay_alu instid0(VALU_DEP_1) | instskip(NEXT) | instid1(VALU_DEP_1)
	v_pk_fma_f32 v[0:1], v[60:61], v[56:57], v[0:1] op_sel_hi:[1,0,1]
	v_pk_fma_f32 v[0:1], v[50:51], v[6:7], v[0:1] op_sel_hi:[1,0,1]
	s_wait_loadcnt 0x2
	s_delay_alu instid0(VALU_DEP_1) | instskip(SKIP_1) | instid1(VALU_DEP_1)
	v_pk_fma_f32 v[0:1], v[12:13], v[28:29], v[0:1] op_sel_hi:[1,0,1]
	s_wait_loadcnt 0x0
	v_pk_fma_f32 v[0:1], v[30:31], v[62:63], v[0:1] op_sel_hi:[1,0,1]
	s_and_not1_b32 exec_lo, exec_lo, s4
	s_cbranch_execnz .LBB69_9
; %bb.10:
	s_or_b32 exec_lo, exec_lo, s4
.LBB69_11:
	s_delay_alu instid0(SALU_CYCLE_1)
	s_or_b32 exec_lo, exec_lo, s3
	s_cbranch_execz .LBB69_13
	s_branch .LBB69_18
.LBB69_12:
                                        ; implicit-def: $vgpr1
.LBB69_13:
	v_mov_b32_e32 v1, 0
	s_delay_alu instid0(VALU_DEP_1)
	v_mov_b32_e32 v0, v1
	s_and_saveexec_b32 s3, s2
	s_cbranch_execz .LBB69_17
; %bb.14:
	v_mad_u32 v6, v9, 30, 29
	v_mov_b32_e32 v5, 0
	s_mov_b32 s2, 0
	s_delay_alu instid0(VALU_DEP_1)
	v_dual_mov_b32 v0, v5 :: v_dual_mov_b32 v1, v5
.LBB69_15:                              ; =>This Inner Loop Header: Depth=1
	global_load_b32 v7, v9, s[6:7] scale_offset
	v_subrev_nc_u32_e32 v4, 29, v6
	v_dual_add_nc_u32 v12, -14, v6 :: v_dual_add_nc_u32 v16, -13, v6
	v_subrev_nc_u32_e32 v20, 27, v6
	v_dual_add_nc_u32 v21, -12, v6 :: v_dual_add_nc_u32 v25, -11, v6
	s_delay_alu instid0(VALU_DEP_4)
	v_lshl_add_u64 v[10:11], v[4:5], 2, s[8:9]
	v_subrev_nc_u32_e32 v24, 26, v6
	s_clause 0x2
	global_load_b32 v13, v16, s[8:9] scale_offset
	global_load_b64 v[14:15], v[10:11], off
	global_load_b32 v17, v12, s[8:9] scale_offset
	v_subrev_nc_u32_e32 v28, 25, v6
	v_dual_add_nc_u32 v29, -10, v6 :: v_dual_add_nc_u32 v34, -9, v6
	v_subrev_nc_u32_e32 v33, 24, v6
	v_subrev_nc_u32_e32 v35, 23, v6
	v_dual_add_nc_u32 v38, -8, v6 :: v_dual_add_nc_u32 v40, -7, v6
	v_subrev_nc_u32_e32 v39, 22, v6
	;; [unrolled: 3-line block ×4, first 2 shown]
	v_subrev_nc_u32_e32 v54, 17, v6
	s_wait_xcnt 0x3
	v_add_nc_u32_e32 v9, 64, v9
	s_delay_alu instid0(VALU_DEP_1) | instskip(SKIP_3) | instid1(VALU_DEP_1)
	v_cmp_ge_i32_e32 vcc_lo, v9, v8
	s_or_b32 s2, vcc_lo, s2
	s_wait_loadcnt 0x3
	v_subrev_nc_u32_e32 v4, s16, v7
	v_mul_lo_u32 v7, v4, 15
	s_wait_xcnt 0x0
	s_delay_alu instid0(VALU_DEP_1)
	v_dual_add_nc_u32 v12, -2, v6 :: v_dual_add_nc_u32 v16, 3, v7
	global_load_b32 v4, v7, s[10:11] scale_offset
	v_dual_add_nc_u32 v10, 1, v7 :: v_dual_add_nc_u32 v11, 2, v7
	global_load_b32 v10, v10, s[10:11] scale_offset
	s_clause 0x1
	global_load_b32 v18, v20, s[8:9] scale_offset
	global_load_b32 v19, v21, s[8:9] scale_offset
	;; [unrolled: 1-line block ×3, first 2 shown]
	s_clause 0x1
	global_load_b32 v22, v24, s[8:9] scale_offset
	global_load_b32 v23, v25, s[8:9] scale_offset
	;; [unrolled: 1-line block ×3, first 2 shown]
	v_dual_add_nc_u32 v11, -16, v6 :: v_dual_add_nc_u32 v21, 4, v7
	s_clause 0x1
	global_load_b32 v26, v28, s[8:9] scale_offset
	global_load_b32 v27, v29, s[8:9] scale_offset
	s_wait_xcnt 0x2
	v_dual_add_nc_u32 v25, -1, v6 :: v_dual_add_nc_u32 v16, 5, v7
	global_load_b32 v28, v21, s[10:11] scale_offset
	s_clause 0x2
	global_load_b32 v30, v33, s[8:9] scale_offset
	global_load_b32 v31, v34, s[8:9] scale_offset
	global_load_b32 v32, v35, s[8:9] scale_offset
	s_wait_xcnt 0x3
	v_add_nc_u32_e32 v21, 6, v7
	global_load_b32 v34, v16, s[10:11] scale_offset
	s_clause 0x2
	global_load_b32 v33, v38, s[8:9] scale_offset
	global_load_b32 v36, v39, s[8:9] scale_offset
	global_load_b32 v37, v40, s[8:9] scale_offset
	s_wait_xcnt 0x3
	v_add_nc_u32_e32 v16, 7, v7
	global_load_b32 v38, v21, s[10:11] scale_offset
	s_clause 0x2
	global_load_b32 v40, v43, s[8:9] scale_offset
	global_load_b32 v41, v44, s[8:9] scale_offset
	global_load_b32 v42, v45, s[8:9] scale_offset
	s_wait_xcnt 0x3
	v_add_nc_u32_e32 v21, 8, v7
	global_load_b32 v44, v16, s[10:11] scale_offset
	s_clause 0x1
	global_load_b32 v43, v47, s[8:9] scale_offset
	global_load_b32 v46, v48, s[8:9] scale_offset
	s_wait_xcnt 0x2
	v_add_nc_u32_e32 v16, 9, v7
	global_load_b32 v48, v21, s[10:11] scale_offset
	global_load_b32 v47, v49, s[8:9] scale_offset
	s_wait_xcnt 0x1
	v_dual_add_nc_u32 v21, 10, v7 :: v_dual_add_nc_u32 v29, 11, v7
	global_load_b32 v50, v16, s[10:11] scale_offset
	s_wait_loadcnt 0x1d
	s_wait_xcnt 0x0
	v_mov_b32_e32 v16, v14
	s_wait_loadcnt 0x1b
	s_delay_alu instid0(VALU_DEP_1)
	v_pk_fma_f32 v[0:1], v[16:17], v[4:5], v[0:1] op_sel_hi:[1,0,1]
	global_load_b32 v4, v21, s[10:11] scale_offset
	s_clause 0x2
	global_load_b32 v16, v51, s[8:9] scale_offset
	global_load_b32 v17, v53, s[8:9] scale_offset
	;; [unrolled: 1-line block ×3, first 2 shown]
	s_wait_xcnt 0x3
	v_add_nc_u32_e32 v21, 12, v7
	global_load_b32 v14, v29, s[10:11] scale_offset
	s_clause 0x1
	global_load_b32 v53, v12, s[8:9] scale_offset
	global_load_b32 v54, v11, s[8:9] scale_offset
	;; [unrolled: 1-line block ×4, first 2 shown]
	s_wait_xcnt 0x2
	v_dual_mov_b32 v12, v15 :: v_dual_add_nc_u32 v11, 13, v7
	v_dual_add_nc_u32 v15, -15, v6 :: v_dual_add_nc_u32 v7, 14, v7
	s_wait_loadcnt 0x23
	s_delay_alu instid0(VALU_DEP_2)
	v_pk_fma_f32 v[0:1], v[12:13], v[10:11], v[0:1] op_sel_hi:[1,0,1]
	global_load_b32 v10, v11, s[10:11] scale_offset
	s_clause 0x1
	global_load_b32 v13, v6, s[8:9] scale_offset
	global_load_b32 v12, v15, s[8:9] scale_offset
	;; [unrolled: 1-line block ×3, first 2 shown]
	s_wait_xcnt 0x2
	v_add_nc_u32_e32 v6, 0x780, v6
	s_wait_loadcnt 0x24
	v_pk_fma_f32 v[0:1], v[18:19], v[20:21], v[0:1] op_sel_hi:[1,0,1]
	s_wait_loadcnt 0x21
	s_delay_alu instid0(VALU_DEP_1) | instskip(SKIP_1) | instid1(VALU_DEP_1)
	v_pk_fma_f32 v[0:1], v[22:23], v[24:25], v[0:1] op_sel_hi:[1,0,1]
	s_wait_loadcnt 0x1e
	v_pk_fma_f32 v[0:1], v[26:27], v[28:29], v[0:1] op_sel_hi:[1,0,1]
	s_wait_loadcnt 0x1a
	s_delay_alu instid0(VALU_DEP_1) | instskip(SKIP_1) | instid1(VALU_DEP_1)
	v_pk_fma_f32 v[0:1], v[30:31], v[34:35], v[0:1] op_sel_hi:[1,0,1]
	;; [unrolled: 5-line block ×6, first 2 shown]
	s_wait_loadcnt 0x0
	v_pk_fma_f32 v[0:1], v[12:13], v[58:59], v[0:1] op_sel_hi:[1,0,1]
	s_and_not1_b32 exec_lo, exec_lo, s2
	s_cbranch_execnz .LBB69_15
; %bb.16:
	s_or_b32 exec_lo, exec_lo, s2
.LBB69_17:
	s_delay_alu instid0(SALU_CYCLE_1)
	s_or_b32 exec_lo, exec_lo, s3
.LBB69_18:
	v_mbcnt_lo_u32_b32 v6, -1, 0
	s_mov_b32 s2, -1
	s_delay_alu instid0(VALU_DEP_1) | instskip(SKIP_1) | instid1(VALU_DEP_1)
	v_xor_b32_e32 v7, 16, v6
	v_or_b32_e32 v4, 32, v6
	v_cmp_gt_i32_e32 vcc_lo, 32, v4
	v_cndmask_b32_e32 v4, v6, v4, vcc_lo
	s_delay_alu instid0(VALU_DEP_4) | instskip(SKIP_1) | instid1(VALU_DEP_1)
	v_cmp_gt_i32_e32 vcc_lo, 32, v7
	v_cndmask_b32_e32 v7, v6, v7, vcc_lo
	v_dual_lshlrev_b32 v7, 2, v7 :: v_dual_lshlrev_b32 v5, 2, v4
	ds_bpermute_b32 v4, v5, v0
	ds_bpermute_b32 v5, v5, v1
	s_wait_dscnt 0x0
	v_pk_add_f32 v[0:1], v[0:1], v[4:5]
	ds_bpermute_b32 v4, v7, v0
	ds_bpermute_b32 v5, v7, v1
	v_xor_b32_e32 v7, 8, v6
	s_delay_alu instid0(VALU_DEP_1) | instskip(SKIP_1) | instid1(VALU_DEP_1)
	v_cmp_gt_i32_e32 vcc_lo, 32, v7
	v_cndmask_b32_e32 v7, v6, v7, vcc_lo
	v_lshlrev_b32_e32 v7, 2, v7
	s_wait_dscnt 0x0
	v_pk_add_f32 v[0:1], v[0:1], v[4:5]
	ds_bpermute_b32 v4, v7, v0
	ds_bpermute_b32 v5, v7, v1
	v_xor_b32_e32 v7, 4, v6
	s_delay_alu instid0(VALU_DEP_1) | instskip(SKIP_1) | instid1(VALU_DEP_1)
	v_cmp_gt_i32_e32 vcc_lo, 32, v7
	v_cndmask_b32_e32 v7, v6, v7, vcc_lo
	v_lshlrev_b32_e32 v7, 2, v7
	;; [unrolled: 9-line block ×3, first 2 shown]
	s_wait_dscnt 0x0
	v_pk_add_f32 v[0:1], v[0:1], v[4:5]
	ds_bpermute_b32 v4, v7, v0
	ds_bpermute_b32 v5, v7, v1
	v_xor_b32_e32 v7, 1, v6
	s_delay_alu instid0(VALU_DEP_1) | instskip(SKIP_2) | instid1(VALU_DEP_2)
	v_cmp_gt_i32_e32 vcc_lo, 32, v7
	v_cndmask_b32_e32 v6, v6, v7, vcc_lo
	v_cmp_eq_u32_e32 vcc_lo, 63, v3
	v_lshlrev_b32_e32 v6, 2, v6
	s_wait_dscnt 0x0
	v_pk_add_f32 v[0:1], v[0:1], v[4:5]
	ds_bpermute_b32 v4, v6, v0
	ds_bpermute_b32 v5, v6, v1
	s_and_b32 exec_lo, exec_lo, vcc_lo
	s_cbranch_execz .LBB69_23
; %bb.19:
	s_load_b64 s[0:1], s[0:1], 0x38
	s_wait_dscnt 0x0
	v_pk_add_f32 v[0:1], v[0:1], v[4:5]
	v_lshlrev_b32_e32 v2, 1, v2
	s_cmp_eq_f32 s12, 0
	s_cbranch_scc0 .LBB69_21
; %bb.20:
	s_delay_alu instid0(VALU_DEP_1) | instskip(SKIP_3) | instid1(VALU_DEP_2)
	v_ashrrev_i32_e32 v3, 31, v2
	v_pk_mul_f32 v[6:7], s[14:15], v[0:1] op_sel_hi:[0,1]
	s_mov_b32 s2, 0
	s_wait_kmcnt 0x0
	v_lshl_add_u64 v[4:5], v[2:3], 2, s[0:1]
	global_store_b64 v[4:5], v[6:7], off
.LBB69_21:
	s_and_not1_b32 vcc_lo, exec_lo, s2
	s_cbranch_vccnz .LBB69_23
; %bb.22:
	v_ashrrev_i32_e32 v3, 31, v2
	v_pk_mul_f32 v[0:1], s[14:15], v[0:1] op_sel_hi:[0,1]
	s_wait_kmcnt 0x0
	s_delay_alu instid0(VALU_DEP_2)
	v_lshl_add_u64 v[2:3], v[2:3], 2, s[0:1]
	global_load_b64 v[4:5], v[2:3], off
	s_wait_loadcnt 0x0
	v_pk_fma_f32 v[0:1], s[12:13], v[4:5], v[0:1] op_sel_hi:[0,1,1]
	global_store_b64 v[2:3], v[0:1], off
.LBB69_23:
	s_endpgm
	.section	.rodata,"a",@progbits
	.p2align	6, 0x0
	.amdhsa_kernel _ZN9rocsparseL19gebsrmvn_2xn_kernelILj128ELj15ELj64EfEEvi20rocsparse_direction_NS_24const_host_device_scalarIT2_EEPKiS6_PKS3_S8_S4_PS3_21rocsparse_index_base_b
		.amdhsa_group_segment_fixed_size 0
		.amdhsa_private_segment_fixed_size 0
		.amdhsa_kernarg_size 72
		.amdhsa_user_sgpr_count 2
		.amdhsa_user_sgpr_dispatch_ptr 0
		.amdhsa_user_sgpr_queue_ptr 0
		.amdhsa_user_sgpr_kernarg_segment_ptr 1
		.amdhsa_user_sgpr_dispatch_id 0
		.amdhsa_user_sgpr_kernarg_preload_length 0
		.amdhsa_user_sgpr_kernarg_preload_offset 0
		.amdhsa_user_sgpr_private_segment_size 0
		.amdhsa_wavefront_size32 1
		.amdhsa_uses_dynamic_stack 0
		.amdhsa_enable_private_segment 0
		.amdhsa_system_sgpr_workgroup_id_x 1
		.amdhsa_system_sgpr_workgroup_id_y 0
		.amdhsa_system_sgpr_workgroup_id_z 0
		.amdhsa_system_sgpr_workgroup_info 0
		.amdhsa_system_vgpr_workitem_id 0
		.amdhsa_next_free_vgpr 64
		.amdhsa_next_free_sgpr 18
		.amdhsa_named_barrier_count 0
		.amdhsa_reserve_vcc 1
		.amdhsa_float_round_mode_32 0
		.amdhsa_float_round_mode_16_64 0
		.amdhsa_float_denorm_mode_32 3
		.amdhsa_float_denorm_mode_16_64 3
		.amdhsa_fp16_overflow 0
		.amdhsa_memory_ordered 1
		.amdhsa_forward_progress 1
		.amdhsa_inst_pref_size 23
		.amdhsa_round_robin_scheduling 0
		.amdhsa_exception_fp_ieee_invalid_op 0
		.amdhsa_exception_fp_denorm_src 0
		.amdhsa_exception_fp_ieee_div_zero 0
		.amdhsa_exception_fp_ieee_overflow 0
		.amdhsa_exception_fp_ieee_underflow 0
		.amdhsa_exception_fp_ieee_inexact 0
		.amdhsa_exception_int_div_zero 0
	.end_amdhsa_kernel
	.section	.text._ZN9rocsparseL19gebsrmvn_2xn_kernelILj128ELj15ELj64EfEEvi20rocsparse_direction_NS_24const_host_device_scalarIT2_EEPKiS6_PKS3_S8_S4_PS3_21rocsparse_index_base_b,"axG",@progbits,_ZN9rocsparseL19gebsrmvn_2xn_kernelILj128ELj15ELj64EfEEvi20rocsparse_direction_NS_24const_host_device_scalarIT2_EEPKiS6_PKS3_S8_S4_PS3_21rocsparse_index_base_b,comdat
.Lfunc_end69:
	.size	_ZN9rocsparseL19gebsrmvn_2xn_kernelILj128ELj15ELj64EfEEvi20rocsparse_direction_NS_24const_host_device_scalarIT2_EEPKiS6_PKS3_S8_S4_PS3_21rocsparse_index_base_b, .Lfunc_end69-_ZN9rocsparseL19gebsrmvn_2xn_kernelILj128ELj15ELj64EfEEvi20rocsparse_direction_NS_24const_host_device_scalarIT2_EEPKiS6_PKS3_S8_S4_PS3_21rocsparse_index_base_b
                                        ; -- End function
	.set _ZN9rocsparseL19gebsrmvn_2xn_kernelILj128ELj15ELj64EfEEvi20rocsparse_direction_NS_24const_host_device_scalarIT2_EEPKiS6_PKS3_S8_S4_PS3_21rocsparse_index_base_b.num_vgpr, 64
	.set _ZN9rocsparseL19gebsrmvn_2xn_kernelILj128ELj15ELj64EfEEvi20rocsparse_direction_NS_24const_host_device_scalarIT2_EEPKiS6_PKS3_S8_S4_PS3_21rocsparse_index_base_b.num_agpr, 0
	.set _ZN9rocsparseL19gebsrmvn_2xn_kernelILj128ELj15ELj64EfEEvi20rocsparse_direction_NS_24const_host_device_scalarIT2_EEPKiS6_PKS3_S8_S4_PS3_21rocsparse_index_base_b.numbered_sgpr, 18
	.set _ZN9rocsparseL19gebsrmvn_2xn_kernelILj128ELj15ELj64EfEEvi20rocsparse_direction_NS_24const_host_device_scalarIT2_EEPKiS6_PKS3_S8_S4_PS3_21rocsparse_index_base_b.num_named_barrier, 0
	.set _ZN9rocsparseL19gebsrmvn_2xn_kernelILj128ELj15ELj64EfEEvi20rocsparse_direction_NS_24const_host_device_scalarIT2_EEPKiS6_PKS3_S8_S4_PS3_21rocsparse_index_base_b.private_seg_size, 0
	.set _ZN9rocsparseL19gebsrmvn_2xn_kernelILj128ELj15ELj64EfEEvi20rocsparse_direction_NS_24const_host_device_scalarIT2_EEPKiS6_PKS3_S8_S4_PS3_21rocsparse_index_base_b.uses_vcc, 1
	.set _ZN9rocsparseL19gebsrmvn_2xn_kernelILj128ELj15ELj64EfEEvi20rocsparse_direction_NS_24const_host_device_scalarIT2_EEPKiS6_PKS3_S8_S4_PS3_21rocsparse_index_base_b.uses_flat_scratch, 0
	.set _ZN9rocsparseL19gebsrmvn_2xn_kernelILj128ELj15ELj64EfEEvi20rocsparse_direction_NS_24const_host_device_scalarIT2_EEPKiS6_PKS3_S8_S4_PS3_21rocsparse_index_base_b.has_dyn_sized_stack, 0
	.set _ZN9rocsparseL19gebsrmvn_2xn_kernelILj128ELj15ELj64EfEEvi20rocsparse_direction_NS_24const_host_device_scalarIT2_EEPKiS6_PKS3_S8_S4_PS3_21rocsparse_index_base_b.has_recursion, 0
	.set _ZN9rocsparseL19gebsrmvn_2xn_kernelILj128ELj15ELj64EfEEvi20rocsparse_direction_NS_24const_host_device_scalarIT2_EEPKiS6_PKS3_S8_S4_PS3_21rocsparse_index_base_b.has_indirect_call, 0
	.section	.AMDGPU.csdata,"",@progbits
; Kernel info:
; codeLenInByte = 2912
; TotalNumSgprs: 20
; NumVgprs: 64
; ScratchSize: 0
; MemoryBound: 0
; FloatMode: 240
; IeeeMode: 1
; LDSByteSize: 0 bytes/workgroup (compile time only)
; SGPRBlocks: 0
; VGPRBlocks: 3
; NumSGPRsForWavesPerEU: 20
; NumVGPRsForWavesPerEU: 64
; NamedBarCnt: 0
; Occupancy: 16
; WaveLimiterHint : 1
; COMPUTE_PGM_RSRC2:SCRATCH_EN: 0
; COMPUTE_PGM_RSRC2:USER_SGPR: 2
; COMPUTE_PGM_RSRC2:TRAP_HANDLER: 0
; COMPUTE_PGM_RSRC2:TGID_X_EN: 1
; COMPUTE_PGM_RSRC2:TGID_Y_EN: 0
; COMPUTE_PGM_RSRC2:TGID_Z_EN: 0
; COMPUTE_PGM_RSRC2:TIDIG_COMP_CNT: 0
	.section	.text._ZN9rocsparseL19gebsrmvn_2xn_kernelILj128ELj16ELj4EfEEvi20rocsparse_direction_NS_24const_host_device_scalarIT2_EEPKiS6_PKS3_S8_S4_PS3_21rocsparse_index_base_b,"axG",@progbits,_ZN9rocsparseL19gebsrmvn_2xn_kernelILj128ELj16ELj4EfEEvi20rocsparse_direction_NS_24const_host_device_scalarIT2_EEPKiS6_PKS3_S8_S4_PS3_21rocsparse_index_base_b,comdat
	.globl	_ZN9rocsparseL19gebsrmvn_2xn_kernelILj128ELj16ELj4EfEEvi20rocsparse_direction_NS_24const_host_device_scalarIT2_EEPKiS6_PKS3_S8_S4_PS3_21rocsparse_index_base_b ; -- Begin function _ZN9rocsparseL19gebsrmvn_2xn_kernelILj128ELj16ELj4EfEEvi20rocsparse_direction_NS_24const_host_device_scalarIT2_EEPKiS6_PKS3_S8_S4_PS3_21rocsparse_index_base_b
	.p2align	8
	.type	_ZN9rocsparseL19gebsrmvn_2xn_kernelILj128ELj16ELj4EfEEvi20rocsparse_direction_NS_24const_host_device_scalarIT2_EEPKiS6_PKS3_S8_S4_PS3_21rocsparse_index_base_b,@function
_ZN9rocsparseL19gebsrmvn_2xn_kernelILj128ELj16ELj4EfEEvi20rocsparse_direction_NS_24const_host_device_scalarIT2_EEPKiS6_PKS3_S8_S4_PS3_21rocsparse_index_base_b: ; @_ZN9rocsparseL19gebsrmvn_2xn_kernelILj128ELj16ELj4EfEEvi20rocsparse_direction_NS_24const_host_device_scalarIT2_EEPKiS6_PKS3_S8_S4_PS3_21rocsparse_index_base_b
; %bb.0:
	s_clause 0x2
	s_load_b64 s[16:17], s[0:1], 0x40
	s_load_b64 s[14:15], s[0:1], 0x8
	;; [unrolled: 1-line block ×3, first 2 shown]
	s_wait_kmcnt 0x0
	s_bitcmp1_b32 s17, 0
	s_cselect_b32 s2, -1, 0
	s_delay_alu instid0(SALU_CYCLE_1)
	s_and_b32 vcc_lo, exec_lo, s2
	s_xor_b32 s2, s2, -1
	s_cbranch_vccnz .LBB70_2
; %bb.1:
	s_load_b32 s14, s[14:15], 0x0
.LBB70_2:
	s_and_not1_b32 vcc_lo, exec_lo, s2
	s_cbranch_vccnz .LBB70_4
; %bb.3:
	s_load_b32 s12, s[12:13], 0x0
.LBB70_4:
	s_wait_kmcnt 0x0
	s_cmp_eq_f32 s14, 0
	s_cselect_b32 s2, -1, 0
	s_cmp_eq_f32 s12, 1.0
	s_cselect_b32 s3, -1, 0
	s_delay_alu instid0(SALU_CYCLE_1) | instskip(NEXT) | instid1(SALU_CYCLE_1)
	s_and_b32 s2, s2, s3
	s_and_b32 vcc_lo, exec_lo, s2
	s_cbranch_vccnz .LBB70_23
; %bb.5:
	s_load_b64 s[2:3], s[0:1], 0x0
	s_bfe_u32 s4, ttmp6, 0x4000c
	s_and_b32 s5, ttmp6, 15
	s_add_co_i32 s4, s4, 1
	s_getreg_b32 s6, hwreg(HW_REG_IB_STS2, 6, 4)
	s_mul_i32 s4, ttmp9, s4
	v_lshrrev_b32_e32 v1, 2, v0
	s_add_co_i32 s5, s5, s4
	s_cmp_eq_u32 s6, 0
	s_cselect_b32 s4, ttmp9, s5
	s_delay_alu instid0(VALU_DEP_1) | instid1(SALU_CYCLE_1)
	v_lshl_or_b32 v2, s4, 5, v1
	s_wait_kmcnt 0x0
	s_delay_alu instid0(VALU_DEP_1)
	v_cmp_gt_i32_e32 vcc_lo, s2, v2
	s_and_saveexec_b32 s2, vcc_lo
	s_cbranch_execz .LBB70_23
; %bb.6:
	s_load_b256 s[4:11], s[0:1], 0x10
	v_ashrrev_i32_e32 v3, 31, v2
	s_cmp_lg_u32 s3, 0
	s_wait_kmcnt 0x0
	s_delay_alu instid0(VALU_DEP_1)
	v_lshl_add_u64 v[4:5], v[2:3], 2, s[4:5]
	v_and_b32_e32 v3, 3, v0
	global_load_b64 v[4:5], v[4:5], off
	s_wait_loadcnt 0x0
	v_subrev_nc_u32_e32 v0, s16, v4
	v_subrev_nc_u32_e32 v6, s16, v5
	s_delay_alu instid0(VALU_DEP_2) | instskip(NEXT) | instid1(VALU_DEP_1)
	v_add_nc_u32_e32 v7, v0, v3
	v_cmp_lt_i32_e64 s2, v7, v6
	s_cbranch_scc0 .LBB70_12
; %bb.7:
	v_mov_b32_e32 v1, 0
	s_delay_alu instid0(VALU_DEP_1)
	v_mov_b32_e32 v0, v1
	s_and_saveexec_b32 s3, s2
	s_cbranch_execz .LBB70_11
; %bb.8:
	v_dual_mov_b32 v5, 0 :: v_dual_lshlrev_b32 v4, 5, v7
	v_mov_b32_e32 v8, v7
	s_mov_b32 s4, 0
	s_delay_alu instid0(VALU_DEP_2)
	v_dual_mov_b32 v0, v5 :: v_dual_mov_b32 v1, v5
.LBB70_9:                               ; =>This Inner Loop Header: Depth=1
	global_load_b32 v9, v8, s[6:7] scale_offset
	v_lshl_add_u64 v[58:59], v[4:5], 2, s[8:9]
	v_add_nc_u32_e32 v4, 0x80, v4
	s_wait_xcnt 0x0
	v_add_nc_u32_e32 v8, 4, v8
	s_delay_alu instid0(VALU_DEP_1) | instskip(SKIP_3) | instid1(VALU_DEP_1)
	v_cmp_ge_i32_e32 vcc_lo, v8, v6
	s_or_b32 s4, vcc_lo, s4
	s_wait_loadcnt 0x0
	v_subrev_nc_u32_e32 v9, s16, v9
	v_dual_mov_b32 v11, v5 :: v_dual_lshlrev_b32 v10, 4, v9
	s_delay_alu instid0(VALU_DEP_1)
	v_lshl_add_u64 v[60:61], v[10:11], 2, s[10:11]
	s_clause 0x1
	global_load_b128 v[10:13], v[58:59], off offset:16
	global_load_b128 v[14:17], v[58:59], off
	s_clause 0x1
	global_load_b128 v[18:21], v[60:61], off
	global_load_b128 v[22:25], v[60:61], off offset:16
	s_clause 0x3
	global_load_b128 v[26:29], v[58:59], off offset:32
	global_load_b128 v[30:33], v[58:59], off offset:48
	global_load_b128 v[34:37], v[58:59], off offset:80
	global_load_b128 v[38:41], v[58:59], off offset:64
	s_clause 0x1
	global_load_b128 v[42:45], v[60:61], off offset:32
	global_load_b128 v[46:49], v[60:61], off offset:48
	s_clause 0x1
	global_load_b128 v[50:53], v[58:59], off offset:96
	global_load_b128 v[54:57], v[58:59], off offset:112
	s_wait_loadcnt 0x9
	v_pk_fma_f32 v[0:1], v[14:15], v[18:19], v[0:1] op_sel_hi:[1,0,1]
	v_mov_b32_e32 v14, v21
	s_delay_alu instid0(VALU_DEP_2) | instskip(NEXT) | instid1(VALU_DEP_1)
	v_pk_fma_f32 v[0:1], v[16:17], v[18:19], v[0:1] op_sel:[0,1,0]
	v_pk_fma_f32 v[0:1], v[10:11], v[20:21], v[0:1] op_sel_hi:[1,0,1]
	s_wait_loadcnt 0x8
	v_mov_b32_e32 v10, v25
	s_delay_alu instid0(VALU_DEP_2) | instskip(SKIP_1) | instid1(VALU_DEP_1)
	v_pk_fma_f32 v[0:1], v[12:13], v[14:15], v[0:1] op_sel_hi:[1,0,1]
	s_wait_loadcnt 0x7
	v_pk_fma_f32 v[0:1], v[26:27], v[22:23], v[0:1] op_sel_hi:[1,0,1]
	s_delay_alu instid0(VALU_DEP_1) | instskip(SKIP_1) | instid1(VALU_DEP_1)
	v_pk_fma_f32 v[0:1], v[28:29], v[22:23], v[0:1] op_sel:[0,1,0]
	s_wait_loadcnt 0x6
	v_pk_fma_f32 v[0:1], v[30:31], v[24:25], v[0:1] op_sel_hi:[1,0,1]
	s_delay_alu instid0(VALU_DEP_1) | instskip(SKIP_2) | instid1(VALU_DEP_2)
	v_pk_fma_f32 v[0:1], v[32:33], v[10:11], v[0:1] op_sel_hi:[1,0,1]
	s_wait_loadcnt 0x3
	v_mov_b32_e32 v10, v45
	v_pk_fma_f32 v[0:1], v[38:39], v[42:43], v[0:1] op_sel_hi:[1,0,1]
	s_delay_alu instid0(VALU_DEP_1) | instskip(NEXT) | instid1(VALU_DEP_1)
	v_pk_fma_f32 v[0:1], v[40:41], v[42:43], v[0:1] op_sel:[0,1,0]
	v_pk_fma_f32 v[0:1], v[34:35], v[44:45], v[0:1] op_sel_hi:[1,0,1]
	s_delay_alu instid0(VALU_DEP_1) | instskip(SKIP_3) | instid1(VALU_DEP_2)
	v_pk_fma_f32 v[0:1], v[36:37], v[10:11], v[0:1] op_sel_hi:[1,0,1]
	s_wait_loadcnt 0x2
	v_mov_b32_e32 v10, v49
	s_wait_loadcnt 0x1
	v_pk_fma_f32 v[0:1], v[50:51], v[46:47], v[0:1] op_sel_hi:[1,0,1]
	s_delay_alu instid0(VALU_DEP_1) | instskip(SKIP_1) | instid1(VALU_DEP_1)
	v_pk_fma_f32 v[0:1], v[52:53], v[46:47], v[0:1] op_sel:[0,1,0]
	s_wait_loadcnt 0x0
	v_pk_fma_f32 v[0:1], v[54:55], v[48:49], v[0:1] op_sel_hi:[1,0,1]
	s_delay_alu instid0(VALU_DEP_1)
	v_pk_fma_f32 v[0:1], v[56:57], v[10:11], v[0:1] op_sel_hi:[1,0,1]
	s_and_not1_b32 exec_lo, exec_lo, s4
	s_cbranch_execnz .LBB70_9
; %bb.10:
	s_or_b32 exec_lo, exec_lo, s4
.LBB70_11:
	s_delay_alu instid0(SALU_CYCLE_1)
	s_or_b32 exec_lo, exec_lo, s3
	s_cbranch_execz .LBB70_13
	s_branch .LBB70_18
.LBB70_12:
                                        ; implicit-def: $vgpr1
.LBB70_13:
	v_mov_b32_e32 v1, 0
	s_delay_alu instid0(VALU_DEP_1)
	v_mov_b32_e32 v0, v1
	s_and_saveexec_b32 s3, s2
	s_cbranch_execz .LBB70_17
; %bb.14:
	v_dual_mov_b32 v5, 0 :: v_dual_lshlrev_b32 v4, 5, v7
	s_mov_b32 s2, 0
	s_delay_alu instid0(VALU_DEP_1)
	v_dual_mov_b32 v0, v5 :: v_dual_mov_b32 v1, v5
.LBB70_15:                              ; =>This Inner Loop Header: Depth=1
	global_load_b32 v8, v7, s[6:7] scale_offset
	v_lshl_add_u64 v[56:57], v[4:5], 2, s[8:9]
	v_add_nc_u32_e32 v4, 0x80, v4
	s_wait_loadcnt 0x0
	v_subrev_nc_u32_e32 v8, s16, v8
	s_delay_alu instid0(VALU_DEP_1)
	v_dual_mov_b32 v25, v5 :: v_dual_lshlrev_b32 v24, 4, v8
	s_clause 0x3
	global_load_b128 v[8:11], v[56:57], off offset:16
	global_load_b128 v[12:15], v[56:57], off
	global_load_b128 v[16:19], v[56:57], off offset:80
	global_load_b128 v[20:23], v[56:57], off offset:64
	v_lshl_add_u64 v[58:59], v[24:25], 2, s[10:11]
	s_clause 0x1
	global_load_b128 v[24:27], v[58:59], off
	global_load_b128 v[28:31], v[58:59], off offset:16
	s_clause 0x3
	global_load_b128 v[32:35], v[56:57], off offset:32
	global_load_b128 v[36:39], v[56:57], off offset:96
	;; [unrolled: 1-line block ×4, first 2 shown]
	s_clause 0x1
	global_load_b128 v[48:51], v[58:59], off offset:32
	global_load_b128 v[52:55], v[58:59], off offset:48
	s_wait_loadcnt 0xa
	s_wait_xcnt 0x2
	v_dual_mov_b32 v56, v12 :: v_dual_add_nc_u32 v7, 4, v7
	s_wait_loadcnt 0x8
	v_dual_mov_b32 v12, v14 :: v_dual_mov_b32 v57, v20
	v_dual_mov_b32 v20, v13 :: v_dual_mov_b32 v13, v22
	s_wait_loadcnt 0x7
	v_dual_mov_b32 v22, v15 :: v_dual_mov_b32 v14, v27
	s_delay_alu instid0(VALU_DEP_3) | instskip(NEXT) | instid1(VALU_DEP_1)
	v_pk_fma_f32 v[0:1], v[56:57], v[24:25], v[0:1] op_sel_hi:[1,0,1]
	v_pk_fma_f32 v[0:1], v[20:21], v[24:25], v[0:1] op_sel:[0,1,0]
	s_delay_alu instid0(VALU_DEP_1) | instskip(SKIP_3) | instid1(VALU_DEP_4)
	v_pk_fma_f32 v[0:1], v[12:13], v[26:27], v[0:1] op_sel_hi:[1,0,1]
	v_dual_mov_b32 v12, v8 :: v_dual_mov_b32 v13, v16
	v_dual_mov_b32 v16, v9 :: v_dual_mov_b32 v8, v10
	v_mov_b32_e32 v9, v18
	v_pk_fma_f32 v[0:1], v[22:23], v[14:15], v[0:1] op_sel_hi:[1,0,1]
	s_wait_loadcnt 0x6
	v_dual_mov_b32 v18, v11 :: v_dual_mov_b32 v10, v31
	s_delay_alu instid0(VALU_DEP_2) | instskip(NEXT) | instid1(VALU_DEP_1)
	v_pk_fma_f32 v[0:1], v[12:13], v[28:29], v[0:1] op_sel_hi:[1,0,1]
	v_pk_fma_f32 v[0:1], v[16:17], v[28:29], v[0:1] op_sel:[0,1,0]
	s_delay_alu instid0(VALU_DEP_1) | instskip(SKIP_3) | instid1(VALU_DEP_3)
	v_pk_fma_f32 v[0:1], v[8:9], v[30:31], v[0:1] op_sel_hi:[1,0,1]
	s_wait_loadcnt 0x4
	v_dual_mov_b32 v8, v32 :: v_dual_mov_b32 v9, v36
	v_mov_b32_e32 v36, v33
	v_pk_fma_f32 v[0:1], v[18:19], v[10:11], v[0:1] op_sel_hi:[1,0,1]
	s_wait_loadcnt 0x1
	v_mov_b32_e32 v10, v51
	s_delay_alu instid0(VALU_DEP_2) | instskip(SKIP_2) | instid1(VALU_DEP_3)
	v_pk_fma_f32 v[0:1], v[8:9], v[48:49], v[0:1] op_sel_hi:[1,0,1]
	v_dual_mov_b32 v8, v34 :: v_dual_mov_b32 v9, v38
	v_mov_b32_e32 v38, v35
	v_pk_fma_f32 v[0:1], v[36:37], v[48:49], v[0:1] op_sel:[0,1,0]
	s_delay_alu instid0(VALU_DEP_1) | instskip(SKIP_2) | instid1(VALU_DEP_3)
	v_pk_fma_f32 v[0:1], v[8:9], v[50:51], v[0:1] op_sel_hi:[1,0,1]
	v_dual_mov_b32 v8, v40 :: v_dual_mov_b32 v9, v44
	v_mov_b32_e32 v44, v41
	v_pk_fma_f32 v[0:1], v[38:39], v[10:11], v[0:1] op_sel_hi:[1,0,1]
	s_wait_loadcnt 0x0
	v_mov_b32_e32 v10, v55
	s_delay_alu instid0(VALU_DEP_2) | instskip(SKIP_3) | instid1(VALU_DEP_4)
	v_pk_fma_f32 v[0:1], v[8:9], v[52:53], v[0:1] op_sel_hi:[1,0,1]
	v_dual_mov_b32 v8, v42 :: v_dual_mov_b32 v9, v46
	v_mov_b32_e32 v46, v43
	v_cmp_ge_i32_e32 vcc_lo, v7, v6
	v_pk_fma_f32 v[0:1], v[44:45], v[52:53], v[0:1] op_sel:[0,1,0]
	s_or_b32 s2, vcc_lo, s2
	s_delay_alu instid0(VALU_DEP_1) | instskip(NEXT) | instid1(VALU_DEP_1)
	v_pk_fma_f32 v[0:1], v[8:9], v[54:55], v[0:1] op_sel_hi:[1,0,1]
	v_pk_fma_f32 v[0:1], v[46:47], v[10:11], v[0:1] op_sel_hi:[1,0,1]
	s_and_not1_b32 exec_lo, exec_lo, s2
	s_cbranch_execnz .LBB70_15
; %bb.16:
	s_or_b32 exec_lo, exec_lo, s2
.LBB70_17:
	s_delay_alu instid0(SALU_CYCLE_1)
	s_or_b32 exec_lo, exec_lo, s3
.LBB70_18:
	v_mbcnt_lo_u32_b32 v6, -1, 0
	s_mov_b32 s2, -1
	s_delay_alu instid0(VALU_DEP_1) | instskip(SKIP_1) | instid1(VALU_DEP_1)
	v_xor_b32_e32 v7, 1, v6
	v_xor_b32_e32 v4, 2, v6
	v_cmp_gt_i32_e32 vcc_lo, 32, v4
	v_cndmask_b32_e32 v4, v6, v4, vcc_lo
	s_delay_alu instid0(VALU_DEP_4) | instskip(SKIP_2) | instid1(VALU_DEP_2)
	v_cmp_gt_i32_e32 vcc_lo, 32, v7
	v_cndmask_b32_e32 v6, v6, v7, vcc_lo
	v_cmp_eq_u32_e32 vcc_lo, 3, v3
	v_dual_lshlrev_b32 v6, 2, v6 :: v_dual_lshlrev_b32 v5, 2, v4
	ds_bpermute_b32 v4, v5, v0
	ds_bpermute_b32 v5, v5, v1
	s_wait_dscnt 0x0
	v_pk_add_f32 v[0:1], v[0:1], v[4:5]
	ds_bpermute_b32 v4, v6, v0
	ds_bpermute_b32 v5, v6, v1
	s_and_b32 exec_lo, exec_lo, vcc_lo
	s_cbranch_execz .LBB70_23
; %bb.19:
	s_load_b64 s[0:1], s[0:1], 0x38
	s_wait_dscnt 0x0
	v_pk_add_f32 v[0:1], v[0:1], v[4:5]
	v_lshlrev_b32_e32 v2, 1, v2
	s_cmp_eq_f32 s12, 0
	s_cbranch_scc0 .LBB70_21
; %bb.20:
	s_delay_alu instid0(VALU_DEP_1) | instskip(SKIP_3) | instid1(VALU_DEP_2)
	v_ashrrev_i32_e32 v3, 31, v2
	v_pk_mul_f32 v[6:7], s[14:15], v[0:1] op_sel_hi:[0,1]
	s_mov_b32 s2, 0
	s_wait_kmcnt 0x0
	v_lshl_add_u64 v[4:5], v[2:3], 2, s[0:1]
	global_store_b64 v[4:5], v[6:7], off
.LBB70_21:
	s_and_not1_b32 vcc_lo, exec_lo, s2
	s_cbranch_vccnz .LBB70_23
; %bb.22:
	v_ashrrev_i32_e32 v3, 31, v2
	v_pk_mul_f32 v[0:1], s[14:15], v[0:1] op_sel_hi:[0,1]
	s_wait_kmcnt 0x0
	s_delay_alu instid0(VALU_DEP_2)
	v_lshl_add_u64 v[2:3], v[2:3], 2, s[0:1]
	global_load_b64 v[4:5], v[2:3], off
	s_wait_loadcnt 0x0
	v_pk_fma_f32 v[0:1], s[12:13], v[4:5], v[0:1] op_sel_hi:[0,1,1]
	global_store_b64 v[2:3], v[0:1], off
.LBB70_23:
	s_endpgm
	.section	.rodata,"a",@progbits
	.p2align	6, 0x0
	.amdhsa_kernel _ZN9rocsparseL19gebsrmvn_2xn_kernelILj128ELj16ELj4EfEEvi20rocsparse_direction_NS_24const_host_device_scalarIT2_EEPKiS6_PKS3_S8_S4_PS3_21rocsparse_index_base_b
		.amdhsa_group_segment_fixed_size 0
		.amdhsa_private_segment_fixed_size 0
		.amdhsa_kernarg_size 72
		.amdhsa_user_sgpr_count 2
		.amdhsa_user_sgpr_dispatch_ptr 0
		.amdhsa_user_sgpr_queue_ptr 0
		.amdhsa_user_sgpr_kernarg_segment_ptr 1
		.amdhsa_user_sgpr_dispatch_id 0
		.amdhsa_user_sgpr_kernarg_preload_length 0
		.amdhsa_user_sgpr_kernarg_preload_offset 0
		.amdhsa_user_sgpr_private_segment_size 0
		.amdhsa_wavefront_size32 1
		.amdhsa_uses_dynamic_stack 0
		.amdhsa_enable_private_segment 0
		.amdhsa_system_sgpr_workgroup_id_x 1
		.amdhsa_system_sgpr_workgroup_id_y 0
		.amdhsa_system_sgpr_workgroup_id_z 0
		.amdhsa_system_sgpr_workgroup_info 0
		.amdhsa_system_vgpr_workitem_id 0
		.amdhsa_next_free_vgpr 62
		.amdhsa_next_free_sgpr 18
		.amdhsa_named_barrier_count 0
		.amdhsa_reserve_vcc 1
		.amdhsa_float_round_mode_32 0
		.amdhsa_float_round_mode_16_64 0
		.amdhsa_float_denorm_mode_32 3
		.amdhsa_float_denorm_mode_16_64 3
		.amdhsa_fp16_overflow 0
		.amdhsa_memory_ordered 1
		.amdhsa_forward_progress 1
		.amdhsa_inst_pref_size 14
		.amdhsa_round_robin_scheduling 0
		.amdhsa_exception_fp_ieee_invalid_op 0
		.amdhsa_exception_fp_denorm_src 0
		.amdhsa_exception_fp_ieee_div_zero 0
		.amdhsa_exception_fp_ieee_overflow 0
		.amdhsa_exception_fp_ieee_underflow 0
		.amdhsa_exception_fp_ieee_inexact 0
		.amdhsa_exception_int_div_zero 0
	.end_amdhsa_kernel
	.section	.text._ZN9rocsparseL19gebsrmvn_2xn_kernelILj128ELj16ELj4EfEEvi20rocsparse_direction_NS_24const_host_device_scalarIT2_EEPKiS6_PKS3_S8_S4_PS3_21rocsparse_index_base_b,"axG",@progbits,_ZN9rocsparseL19gebsrmvn_2xn_kernelILj128ELj16ELj4EfEEvi20rocsparse_direction_NS_24const_host_device_scalarIT2_EEPKiS6_PKS3_S8_S4_PS3_21rocsparse_index_base_b,comdat
.Lfunc_end70:
	.size	_ZN9rocsparseL19gebsrmvn_2xn_kernelILj128ELj16ELj4EfEEvi20rocsparse_direction_NS_24const_host_device_scalarIT2_EEPKiS6_PKS3_S8_S4_PS3_21rocsparse_index_base_b, .Lfunc_end70-_ZN9rocsparseL19gebsrmvn_2xn_kernelILj128ELj16ELj4EfEEvi20rocsparse_direction_NS_24const_host_device_scalarIT2_EEPKiS6_PKS3_S8_S4_PS3_21rocsparse_index_base_b
                                        ; -- End function
	.set _ZN9rocsparseL19gebsrmvn_2xn_kernelILj128ELj16ELj4EfEEvi20rocsparse_direction_NS_24const_host_device_scalarIT2_EEPKiS6_PKS3_S8_S4_PS3_21rocsparse_index_base_b.num_vgpr, 62
	.set _ZN9rocsparseL19gebsrmvn_2xn_kernelILj128ELj16ELj4EfEEvi20rocsparse_direction_NS_24const_host_device_scalarIT2_EEPKiS6_PKS3_S8_S4_PS3_21rocsparse_index_base_b.num_agpr, 0
	.set _ZN9rocsparseL19gebsrmvn_2xn_kernelILj128ELj16ELj4EfEEvi20rocsparse_direction_NS_24const_host_device_scalarIT2_EEPKiS6_PKS3_S8_S4_PS3_21rocsparse_index_base_b.numbered_sgpr, 18
	.set _ZN9rocsparseL19gebsrmvn_2xn_kernelILj128ELj16ELj4EfEEvi20rocsparse_direction_NS_24const_host_device_scalarIT2_EEPKiS6_PKS3_S8_S4_PS3_21rocsparse_index_base_b.num_named_barrier, 0
	.set _ZN9rocsparseL19gebsrmvn_2xn_kernelILj128ELj16ELj4EfEEvi20rocsparse_direction_NS_24const_host_device_scalarIT2_EEPKiS6_PKS3_S8_S4_PS3_21rocsparse_index_base_b.private_seg_size, 0
	.set _ZN9rocsparseL19gebsrmvn_2xn_kernelILj128ELj16ELj4EfEEvi20rocsparse_direction_NS_24const_host_device_scalarIT2_EEPKiS6_PKS3_S8_S4_PS3_21rocsparse_index_base_b.uses_vcc, 1
	.set _ZN9rocsparseL19gebsrmvn_2xn_kernelILj128ELj16ELj4EfEEvi20rocsparse_direction_NS_24const_host_device_scalarIT2_EEPKiS6_PKS3_S8_S4_PS3_21rocsparse_index_base_b.uses_flat_scratch, 0
	.set _ZN9rocsparseL19gebsrmvn_2xn_kernelILj128ELj16ELj4EfEEvi20rocsparse_direction_NS_24const_host_device_scalarIT2_EEPKiS6_PKS3_S8_S4_PS3_21rocsparse_index_base_b.has_dyn_sized_stack, 0
	.set _ZN9rocsparseL19gebsrmvn_2xn_kernelILj128ELj16ELj4EfEEvi20rocsparse_direction_NS_24const_host_device_scalarIT2_EEPKiS6_PKS3_S8_S4_PS3_21rocsparse_index_base_b.has_recursion, 0
	.set _ZN9rocsparseL19gebsrmvn_2xn_kernelILj128ELj16ELj4EfEEvi20rocsparse_direction_NS_24const_host_device_scalarIT2_EEPKiS6_PKS3_S8_S4_PS3_21rocsparse_index_base_b.has_indirect_call, 0
	.section	.AMDGPU.csdata,"",@progbits
; Kernel info:
; codeLenInByte = 1672
; TotalNumSgprs: 20
; NumVgprs: 62
; ScratchSize: 0
; MemoryBound: 0
; FloatMode: 240
; IeeeMode: 1
; LDSByteSize: 0 bytes/workgroup (compile time only)
; SGPRBlocks: 0
; VGPRBlocks: 3
; NumSGPRsForWavesPerEU: 20
; NumVGPRsForWavesPerEU: 62
; NamedBarCnt: 0
; Occupancy: 16
; WaveLimiterHint : 1
; COMPUTE_PGM_RSRC2:SCRATCH_EN: 0
; COMPUTE_PGM_RSRC2:USER_SGPR: 2
; COMPUTE_PGM_RSRC2:TRAP_HANDLER: 0
; COMPUTE_PGM_RSRC2:TGID_X_EN: 1
; COMPUTE_PGM_RSRC2:TGID_Y_EN: 0
; COMPUTE_PGM_RSRC2:TGID_Z_EN: 0
; COMPUTE_PGM_RSRC2:TIDIG_COMP_CNT: 0
	.section	.text._ZN9rocsparseL19gebsrmvn_2xn_kernelILj128ELj16ELj8EfEEvi20rocsparse_direction_NS_24const_host_device_scalarIT2_EEPKiS6_PKS3_S8_S4_PS3_21rocsparse_index_base_b,"axG",@progbits,_ZN9rocsparseL19gebsrmvn_2xn_kernelILj128ELj16ELj8EfEEvi20rocsparse_direction_NS_24const_host_device_scalarIT2_EEPKiS6_PKS3_S8_S4_PS3_21rocsparse_index_base_b,comdat
	.globl	_ZN9rocsparseL19gebsrmvn_2xn_kernelILj128ELj16ELj8EfEEvi20rocsparse_direction_NS_24const_host_device_scalarIT2_EEPKiS6_PKS3_S8_S4_PS3_21rocsparse_index_base_b ; -- Begin function _ZN9rocsparseL19gebsrmvn_2xn_kernelILj128ELj16ELj8EfEEvi20rocsparse_direction_NS_24const_host_device_scalarIT2_EEPKiS6_PKS3_S8_S4_PS3_21rocsparse_index_base_b
	.p2align	8
	.type	_ZN9rocsparseL19gebsrmvn_2xn_kernelILj128ELj16ELj8EfEEvi20rocsparse_direction_NS_24const_host_device_scalarIT2_EEPKiS6_PKS3_S8_S4_PS3_21rocsparse_index_base_b,@function
_ZN9rocsparseL19gebsrmvn_2xn_kernelILj128ELj16ELj8EfEEvi20rocsparse_direction_NS_24const_host_device_scalarIT2_EEPKiS6_PKS3_S8_S4_PS3_21rocsparse_index_base_b: ; @_ZN9rocsparseL19gebsrmvn_2xn_kernelILj128ELj16ELj8EfEEvi20rocsparse_direction_NS_24const_host_device_scalarIT2_EEPKiS6_PKS3_S8_S4_PS3_21rocsparse_index_base_b
; %bb.0:
	s_clause 0x2
	s_load_b64 s[16:17], s[0:1], 0x40
	s_load_b64 s[14:15], s[0:1], 0x8
	;; [unrolled: 1-line block ×3, first 2 shown]
	s_wait_kmcnt 0x0
	s_bitcmp1_b32 s17, 0
	s_cselect_b32 s2, -1, 0
	s_delay_alu instid0(SALU_CYCLE_1)
	s_and_b32 vcc_lo, exec_lo, s2
	s_xor_b32 s2, s2, -1
	s_cbranch_vccnz .LBB71_2
; %bb.1:
	s_load_b32 s14, s[14:15], 0x0
.LBB71_2:
	s_and_not1_b32 vcc_lo, exec_lo, s2
	s_cbranch_vccnz .LBB71_4
; %bb.3:
	s_load_b32 s12, s[12:13], 0x0
.LBB71_4:
	s_wait_kmcnt 0x0
	s_cmp_eq_f32 s14, 0
	s_cselect_b32 s2, -1, 0
	s_cmp_eq_f32 s12, 1.0
	s_cselect_b32 s3, -1, 0
	s_delay_alu instid0(SALU_CYCLE_1) | instskip(NEXT) | instid1(SALU_CYCLE_1)
	s_and_b32 s2, s2, s3
	s_and_b32 vcc_lo, exec_lo, s2
	s_cbranch_vccnz .LBB71_23
; %bb.5:
	s_load_b64 s[2:3], s[0:1], 0x0
	s_bfe_u32 s4, ttmp6, 0x4000c
	s_and_b32 s5, ttmp6, 15
	s_add_co_i32 s4, s4, 1
	s_getreg_b32 s6, hwreg(HW_REG_IB_STS2, 6, 4)
	s_mul_i32 s4, ttmp9, s4
	v_lshrrev_b32_e32 v1, 3, v0
	s_add_co_i32 s5, s5, s4
	s_cmp_eq_u32 s6, 0
	s_cselect_b32 s4, ttmp9, s5
	s_delay_alu instid0(VALU_DEP_1) | instid1(SALU_CYCLE_1)
	v_lshl_or_b32 v2, s4, 4, v1
	s_wait_kmcnt 0x0
	s_delay_alu instid0(VALU_DEP_1)
	v_cmp_gt_i32_e32 vcc_lo, s2, v2
	s_and_saveexec_b32 s2, vcc_lo
	s_cbranch_execz .LBB71_23
; %bb.6:
	s_load_b256 s[4:11], s[0:1], 0x10
	v_ashrrev_i32_e32 v3, 31, v2
	s_cmp_lg_u32 s3, 0
	s_wait_kmcnt 0x0
	s_delay_alu instid0(VALU_DEP_1)
	v_lshl_add_u64 v[4:5], v[2:3], 2, s[4:5]
	v_and_b32_e32 v3, 7, v0
	global_load_b64 v[4:5], v[4:5], off
	s_wait_loadcnt 0x0
	v_subrev_nc_u32_e32 v0, s16, v4
	v_subrev_nc_u32_e32 v6, s16, v5
	s_delay_alu instid0(VALU_DEP_2) | instskip(NEXT) | instid1(VALU_DEP_1)
	v_add_nc_u32_e32 v7, v0, v3
	v_cmp_lt_i32_e64 s2, v7, v6
	s_cbranch_scc0 .LBB71_12
; %bb.7:
	v_mov_b32_e32 v1, 0
	s_delay_alu instid0(VALU_DEP_1)
	v_mov_b32_e32 v0, v1
	s_and_saveexec_b32 s3, s2
	s_cbranch_execz .LBB71_11
; %bb.8:
	v_dual_mov_b32 v5, 0 :: v_dual_lshlrev_b32 v4, 5, v7
	v_mov_b32_e32 v8, v7
	s_mov_b32 s4, 0
	s_delay_alu instid0(VALU_DEP_2)
	v_dual_mov_b32 v0, v5 :: v_dual_mov_b32 v1, v5
.LBB71_9:                               ; =>This Inner Loop Header: Depth=1
	global_load_b32 v9, v8, s[6:7] scale_offset
	v_lshl_add_u64 v[58:59], v[4:5], 2, s[8:9]
	v_add_nc_u32_e32 v4, 0x100, v4
	s_wait_xcnt 0x0
	v_add_nc_u32_e32 v8, 8, v8
	s_delay_alu instid0(VALU_DEP_1) | instskip(SKIP_3) | instid1(VALU_DEP_1)
	v_cmp_ge_i32_e32 vcc_lo, v8, v6
	s_or_b32 s4, vcc_lo, s4
	s_wait_loadcnt 0x0
	v_subrev_nc_u32_e32 v9, s16, v9
	v_dual_mov_b32 v11, v5 :: v_dual_lshlrev_b32 v10, 4, v9
	s_delay_alu instid0(VALU_DEP_1)
	v_lshl_add_u64 v[60:61], v[10:11], 2, s[10:11]
	s_clause 0x1
	global_load_b128 v[10:13], v[58:59], off offset:16
	global_load_b128 v[14:17], v[58:59], off
	s_clause 0x1
	global_load_b128 v[18:21], v[60:61], off
	global_load_b128 v[22:25], v[60:61], off offset:16
	s_clause 0x3
	global_load_b128 v[26:29], v[58:59], off offset:32
	global_load_b128 v[30:33], v[58:59], off offset:48
	;; [unrolled: 1-line block ×4, first 2 shown]
	s_clause 0x1
	global_load_b128 v[42:45], v[60:61], off offset:32
	global_load_b128 v[46:49], v[60:61], off offset:48
	s_clause 0x1
	global_load_b128 v[50:53], v[58:59], off offset:96
	global_load_b128 v[54:57], v[58:59], off offset:112
	s_wait_loadcnt 0x9
	v_pk_fma_f32 v[0:1], v[14:15], v[18:19], v[0:1] op_sel_hi:[1,0,1]
	v_mov_b32_e32 v14, v21
	s_delay_alu instid0(VALU_DEP_2) | instskip(NEXT) | instid1(VALU_DEP_1)
	v_pk_fma_f32 v[0:1], v[16:17], v[18:19], v[0:1] op_sel:[0,1,0]
	v_pk_fma_f32 v[0:1], v[10:11], v[20:21], v[0:1] op_sel_hi:[1,0,1]
	s_wait_loadcnt 0x8
	v_mov_b32_e32 v10, v25
	s_delay_alu instid0(VALU_DEP_2) | instskip(SKIP_1) | instid1(VALU_DEP_1)
	v_pk_fma_f32 v[0:1], v[12:13], v[14:15], v[0:1] op_sel_hi:[1,0,1]
	s_wait_loadcnt 0x7
	v_pk_fma_f32 v[0:1], v[26:27], v[22:23], v[0:1] op_sel_hi:[1,0,1]
	s_delay_alu instid0(VALU_DEP_1) | instskip(SKIP_1) | instid1(VALU_DEP_1)
	v_pk_fma_f32 v[0:1], v[28:29], v[22:23], v[0:1] op_sel:[0,1,0]
	s_wait_loadcnt 0x6
	v_pk_fma_f32 v[0:1], v[30:31], v[24:25], v[0:1] op_sel_hi:[1,0,1]
	s_delay_alu instid0(VALU_DEP_1) | instskip(SKIP_2) | instid1(VALU_DEP_2)
	v_pk_fma_f32 v[0:1], v[32:33], v[10:11], v[0:1] op_sel_hi:[1,0,1]
	s_wait_loadcnt 0x3
	v_mov_b32_e32 v10, v45
	v_pk_fma_f32 v[0:1], v[38:39], v[42:43], v[0:1] op_sel_hi:[1,0,1]
	s_delay_alu instid0(VALU_DEP_1) | instskip(NEXT) | instid1(VALU_DEP_1)
	v_pk_fma_f32 v[0:1], v[40:41], v[42:43], v[0:1] op_sel:[0,1,0]
	v_pk_fma_f32 v[0:1], v[34:35], v[44:45], v[0:1] op_sel_hi:[1,0,1]
	s_delay_alu instid0(VALU_DEP_1) | instskip(SKIP_3) | instid1(VALU_DEP_2)
	v_pk_fma_f32 v[0:1], v[36:37], v[10:11], v[0:1] op_sel_hi:[1,0,1]
	s_wait_loadcnt 0x2
	v_mov_b32_e32 v10, v49
	s_wait_loadcnt 0x1
	v_pk_fma_f32 v[0:1], v[50:51], v[46:47], v[0:1] op_sel_hi:[1,0,1]
	s_delay_alu instid0(VALU_DEP_1) | instskip(SKIP_1) | instid1(VALU_DEP_1)
	v_pk_fma_f32 v[0:1], v[52:53], v[46:47], v[0:1] op_sel:[0,1,0]
	s_wait_loadcnt 0x0
	v_pk_fma_f32 v[0:1], v[54:55], v[48:49], v[0:1] op_sel_hi:[1,0,1]
	s_delay_alu instid0(VALU_DEP_1)
	v_pk_fma_f32 v[0:1], v[56:57], v[10:11], v[0:1] op_sel_hi:[1,0,1]
	s_and_not1_b32 exec_lo, exec_lo, s4
	s_cbranch_execnz .LBB71_9
; %bb.10:
	s_or_b32 exec_lo, exec_lo, s4
.LBB71_11:
	s_delay_alu instid0(SALU_CYCLE_1)
	s_or_b32 exec_lo, exec_lo, s3
	s_cbranch_execz .LBB71_13
	s_branch .LBB71_18
.LBB71_12:
                                        ; implicit-def: $vgpr1
.LBB71_13:
	v_mov_b32_e32 v1, 0
	s_delay_alu instid0(VALU_DEP_1)
	v_mov_b32_e32 v0, v1
	s_and_saveexec_b32 s3, s2
	s_cbranch_execz .LBB71_17
; %bb.14:
	v_dual_mov_b32 v5, 0 :: v_dual_lshlrev_b32 v4, 5, v7
	s_mov_b32 s2, 0
	s_delay_alu instid0(VALU_DEP_1)
	v_dual_mov_b32 v0, v5 :: v_dual_mov_b32 v1, v5
.LBB71_15:                              ; =>This Inner Loop Header: Depth=1
	global_load_b32 v8, v7, s[6:7] scale_offset
	v_lshl_add_u64 v[56:57], v[4:5], 2, s[8:9]
	v_add_nc_u32_e32 v4, 0x100, v4
	s_wait_loadcnt 0x0
	v_subrev_nc_u32_e32 v8, s16, v8
	s_delay_alu instid0(VALU_DEP_1)
	v_dual_mov_b32 v25, v5 :: v_dual_lshlrev_b32 v24, 4, v8
	s_clause 0x3
	global_load_b128 v[8:11], v[56:57], off offset:16
	global_load_b128 v[12:15], v[56:57], off
	global_load_b128 v[16:19], v[56:57], off offset:80
	global_load_b128 v[20:23], v[56:57], off offset:64
	v_lshl_add_u64 v[58:59], v[24:25], 2, s[10:11]
	s_clause 0x1
	global_load_b128 v[24:27], v[58:59], off
	global_load_b128 v[28:31], v[58:59], off offset:16
	s_clause 0x3
	global_load_b128 v[32:35], v[56:57], off offset:32
	global_load_b128 v[36:39], v[56:57], off offset:96
	;; [unrolled: 1-line block ×4, first 2 shown]
	s_clause 0x1
	global_load_b128 v[48:51], v[58:59], off offset:32
	global_load_b128 v[52:55], v[58:59], off offset:48
	s_wait_loadcnt 0xa
	s_wait_xcnt 0x2
	v_dual_mov_b32 v56, v12 :: v_dual_add_nc_u32 v7, 8, v7
	s_wait_loadcnt 0x8
	v_dual_mov_b32 v12, v14 :: v_dual_mov_b32 v57, v20
	v_dual_mov_b32 v20, v13 :: v_dual_mov_b32 v13, v22
	s_wait_loadcnt 0x7
	v_dual_mov_b32 v22, v15 :: v_dual_mov_b32 v14, v27
	s_delay_alu instid0(VALU_DEP_3) | instskip(NEXT) | instid1(VALU_DEP_1)
	v_pk_fma_f32 v[0:1], v[56:57], v[24:25], v[0:1] op_sel_hi:[1,0,1]
	v_pk_fma_f32 v[0:1], v[20:21], v[24:25], v[0:1] op_sel:[0,1,0]
	s_delay_alu instid0(VALU_DEP_1) | instskip(SKIP_3) | instid1(VALU_DEP_4)
	v_pk_fma_f32 v[0:1], v[12:13], v[26:27], v[0:1] op_sel_hi:[1,0,1]
	v_dual_mov_b32 v12, v8 :: v_dual_mov_b32 v13, v16
	v_dual_mov_b32 v16, v9 :: v_dual_mov_b32 v8, v10
	v_mov_b32_e32 v9, v18
	v_pk_fma_f32 v[0:1], v[22:23], v[14:15], v[0:1] op_sel_hi:[1,0,1]
	s_wait_loadcnt 0x6
	v_dual_mov_b32 v18, v11 :: v_dual_mov_b32 v10, v31
	s_delay_alu instid0(VALU_DEP_2) | instskip(NEXT) | instid1(VALU_DEP_1)
	v_pk_fma_f32 v[0:1], v[12:13], v[28:29], v[0:1] op_sel_hi:[1,0,1]
	v_pk_fma_f32 v[0:1], v[16:17], v[28:29], v[0:1] op_sel:[0,1,0]
	s_delay_alu instid0(VALU_DEP_1) | instskip(SKIP_3) | instid1(VALU_DEP_3)
	v_pk_fma_f32 v[0:1], v[8:9], v[30:31], v[0:1] op_sel_hi:[1,0,1]
	s_wait_loadcnt 0x4
	v_dual_mov_b32 v8, v32 :: v_dual_mov_b32 v9, v36
	v_mov_b32_e32 v36, v33
	v_pk_fma_f32 v[0:1], v[18:19], v[10:11], v[0:1] op_sel_hi:[1,0,1]
	s_wait_loadcnt 0x1
	v_mov_b32_e32 v10, v51
	s_delay_alu instid0(VALU_DEP_2) | instskip(SKIP_2) | instid1(VALU_DEP_3)
	v_pk_fma_f32 v[0:1], v[8:9], v[48:49], v[0:1] op_sel_hi:[1,0,1]
	v_dual_mov_b32 v8, v34 :: v_dual_mov_b32 v9, v38
	v_mov_b32_e32 v38, v35
	v_pk_fma_f32 v[0:1], v[36:37], v[48:49], v[0:1] op_sel:[0,1,0]
	s_delay_alu instid0(VALU_DEP_1) | instskip(SKIP_2) | instid1(VALU_DEP_3)
	v_pk_fma_f32 v[0:1], v[8:9], v[50:51], v[0:1] op_sel_hi:[1,0,1]
	v_dual_mov_b32 v8, v40 :: v_dual_mov_b32 v9, v44
	v_mov_b32_e32 v44, v41
	v_pk_fma_f32 v[0:1], v[38:39], v[10:11], v[0:1] op_sel_hi:[1,0,1]
	s_wait_loadcnt 0x0
	v_mov_b32_e32 v10, v55
	s_delay_alu instid0(VALU_DEP_2) | instskip(SKIP_3) | instid1(VALU_DEP_4)
	v_pk_fma_f32 v[0:1], v[8:9], v[52:53], v[0:1] op_sel_hi:[1,0,1]
	v_dual_mov_b32 v8, v42 :: v_dual_mov_b32 v9, v46
	v_mov_b32_e32 v46, v43
	v_cmp_ge_i32_e32 vcc_lo, v7, v6
	v_pk_fma_f32 v[0:1], v[44:45], v[52:53], v[0:1] op_sel:[0,1,0]
	s_or_b32 s2, vcc_lo, s2
	s_delay_alu instid0(VALU_DEP_1) | instskip(NEXT) | instid1(VALU_DEP_1)
	v_pk_fma_f32 v[0:1], v[8:9], v[54:55], v[0:1] op_sel_hi:[1,0,1]
	v_pk_fma_f32 v[0:1], v[46:47], v[10:11], v[0:1] op_sel_hi:[1,0,1]
	s_and_not1_b32 exec_lo, exec_lo, s2
	s_cbranch_execnz .LBB71_15
; %bb.16:
	s_or_b32 exec_lo, exec_lo, s2
.LBB71_17:
	s_delay_alu instid0(SALU_CYCLE_1)
	s_or_b32 exec_lo, exec_lo, s3
.LBB71_18:
	v_mbcnt_lo_u32_b32 v6, -1, 0
	s_mov_b32 s2, -1
	s_delay_alu instid0(VALU_DEP_1) | instskip(SKIP_1) | instid1(VALU_DEP_1)
	v_xor_b32_e32 v7, 2, v6
	v_xor_b32_e32 v4, 4, v6
	v_cmp_gt_i32_e32 vcc_lo, 32, v4
	v_cndmask_b32_e32 v4, v6, v4, vcc_lo
	s_delay_alu instid0(VALU_DEP_4) | instskip(SKIP_1) | instid1(VALU_DEP_1)
	v_cmp_gt_i32_e32 vcc_lo, 32, v7
	v_cndmask_b32_e32 v7, v6, v7, vcc_lo
	v_dual_lshlrev_b32 v7, 2, v7 :: v_dual_lshlrev_b32 v5, 2, v4
	ds_bpermute_b32 v4, v5, v0
	ds_bpermute_b32 v5, v5, v1
	s_wait_dscnt 0x0
	v_pk_add_f32 v[0:1], v[0:1], v[4:5]
	ds_bpermute_b32 v4, v7, v0
	ds_bpermute_b32 v5, v7, v1
	v_xor_b32_e32 v7, 1, v6
	s_delay_alu instid0(VALU_DEP_1) | instskip(SKIP_2) | instid1(VALU_DEP_2)
	v_cmp_gt_i32_e32 vcc_lo, 32, v7
	v_cndmask_b32_e32 v6, v6, v7, vcc_lo
	v_cmp_eq_u32_e32 vcc_lo, 7, v3
	v_lshlrev_b32_e32 v6, 2, v6
	s_wait_dscnt 0x0
	v_pk_add_f32 v[0:1], v[0:1], v[4:5]
	ds_bpermute_b32 v4, v6, v0
	ds_bpermute_b32 v5, v6, v1
	s_and_b32 exec_lo, exec_lo, vcc_lo
	s_cbranch_execz .LBB71_23
; %bb.19:
	s_load_b64 s[0:1], s[0:1], 0x38
	s_wait_dscnt 0x0
	v_pk_add_f32 v[0:1], v[0:1], v[4:5]
	v_lshlrev_b32_e32 v2, 1, v2
	s_cmp_eq_f32 s12, 0
	s_cbranch_scc0 .LBB71_21
; %bb.20:
	s_delay_alu instid0(VALU_DEP_1) | instskip(SKIP_3) | instid1(VALU_DEP_2)
	v_ashrrev_i32_e32 v3, 31, v2
	v_pk_mul_f32 v[6:7], s[14:15], v[0:1] op_sel_hi:[0,1]
	s_mov_b32 s2, 0
	s_wait_kmcnt 0x0
	v_lshl_add_u64 v[4:5], v[2:3], 2, s[0:1]
	global_store_b64 v[4:5], v[6:7], off
.LBB71_21:
	s_and_not1_b32 vcc_lo, exec_lo, s2
	s_cbranch_vccnz .LBB71_23
; %bb.22:
	v_ashrrev_i32_e32 v3, 31, v2
	v_pk_mul_f32 v[0:1], s[14:15], v[0:1] op_sel_hi:[0,1]
	s_wait_kmcnt 0x0
	s_delay_alu instid0(VALU_DEP_2)
	v_lshl_add_u64 v[2:3], v[2:3], 2, s[0:1]
	global_load_b64 v[4:5], v[2:3], off
	s_wait_loadcnt 0x0
	v_pk_fma_f32 v[0:1], s[12:13], v[4:5], v[0:1] op_sel_hi:[0,1,1]
	global_store_b64 v[2:3], v[0:1], off
.LBB71_23:
	s_endpgm
	.section	.rodata,"a",@progbits
	.p2align	6, 0x0
	.amdhsa_kernel _ZN9rocsparseL19gebsrmvn_2xn_kernelILj128ELj16ELj8EfEEvi20rocsparse_direction_NS_24const_host_device_scalarIT2_EEPKiS6_PKS3_S8_S4_PS3_21rocsparse_index_base_b
		.amdhsa_group_segment_fixed_size 0
		.amdhsa_private_segment_fixed_size 0
		.amdhsa_kernarg_size 72
		.amdhsa_user_sgpr_count 2
		.amdhsa_user_sgpr_dispatch_ptr 0
		.amdhsa_user_sgpr_queue_ptr 0
		.amdhsa_user_sgpr_kernarg_segment_ptr 1
		.amdhsa_user_sgpr_dispatch_id 0
		.amdhsa_user_sgpr_kernarg_preload_length 0
		.amdhsa_user_sgpr_kernarg_preload_offset 0
		.amdhsa_user_sgpr_private_segment_size 0
		.amdhsa_wavefront_size32 1
		.amdhsa_uses_dynamic_stack 0
		.amdhsa_enable_private_segment 0
		.amdhsa_system_sgpr_workgroup_id_x 1
		.amdhsa_system_sgpr_workgroup_id_y 0
		.amdhsa_system_sgpr_workgroup_id_z 0
		.amdhsa_system_sgpr_workgroup_info 0
		.amdhsa_system_vgpr_workitem_id 0
		.amdhsa_next_free_vgpr 62
		.amdhsa_next_free_sgpr 18
		.amdhsa_named_barrier_count 0
		.amdhsa_reserve_vcc 1
		.amdhsa_float_round_mode_32 0
		.amdhsa_float_round_mode_16_64 0
		.amdhsa_float_denorm_mode_32 3
		.amdhsa_float_denorm_mode_16_64 3
		.amdhsa_fp16_overflow 0
		.amdhsa_memory_ordered 1
		.amdhsa_forward_progress 1
		.amdhsa_inst_pref_size 14
		.amdhsa_round_robin_scheduling 0
		.amdhsa_exception_fp_ieee_invalid_op 0
		.amdhsa_exception_fp_denorm_src 0
		.amdhsa_exception_fp_ieee_div_zero 0
		.amdhsa_exception_fp_ieee_overflow 0
		.amdhsa_exception_fp_ieee_underflow 0
		.amdhsa_exception_fp_ieee_inexact 0
		.amdhsa_exception_int_div_zero 0
	.end_amdhsa_kernel
	.section	.text._ZN9rocsparseL19gebsrmvn_2xn_kernelILj128ELj16ELj8EfEEvi20rocsparse_direction_NS_24const_host_device_scalarIT2_EEPKiS6_PKS3_S8_S4_PS3_21rocsparse_index_base_b,"axG",@progbits,_ZN9rocsparseL19gebsrmvn_2xn_kernelILj128ELj16ELj8EfEEvi20rocsparse_direction_NS_24const_host_device_scalarIT2_EEPKiS6_PKS3_S8_S4_PS3_21rocsparse_index_base_b,comdat
.Lfunc_end71:
	.size	_ZN9rocsparseL19gebsrmvn_2xn_kernelILj128ELj16ELj8EfEEvi20rocsparse_direction_NS_24const_host_device_scalarIT2_EEPKiS6_PKS3_S8_S4_PS3_21rocsparse_index_base_b, .Lfunc_end71-_ZN9rocsparseL19gebsrmvn_2xn_kernelILj128ELj16ELj8EfEEvi20rocsparse_direction_NS_24const_host_device_scalarIT2_EEPKiS6_PKS3_S8_S4_PS3_21rocsparse_index_base_b
                                        ; -- End function
	.set _ZN9rocsparseL19gebsrmvn_2xn_kernelILj128ELj16ELj8EfEEvi20rocsparse_direction_NS_24const_host_device_scalarIT2_EEPKiS6_PKS3_S8_S4_PS3_21rocsparse_index_base_b.num_vgpr, 62
	.set _ZN9rocsparseL19gebsrmvn_2xn_kernelILj128ELj16ELj8EfEEvi20rocsparse_direction_NS_24const_host_device_scalarIT2_EEPKiS6_PKS3_S8_S4_PS3_21rocsparse_index_base_b.num_agpr, 0
	.set _ZN9rocsparseL19gebsrmvn_2xn_kernelILj128ELj16ELj8EfEEvi20rocsparse_direction_NS_24const_host_device_scalarIT2_EEPKiS6_PKS3_S8_S4_PS3_21rocsparse_index_base_b.numbered_sgpr, 18
	.set _ZN9rocsparseL19gebsrmvn_2xn_kernelILj128ELj16ELj8EfEEvi20rocsparse_direction_NS_24const_host_device_scalarIT2_EEPKiS6_PKS3_S8_S4_PS3_21rocsparse_index_base_b.num_named_barrier, 0
	.set _ZN9rocsparseL19gebsrmvn_2xn_kernelILj128ELj16ELj8EfEEvi20rocsparse_direction_NS_24const_host_device_scalarIT2_EEPKiS6_PKS3_S8_S4_PS3_21rocsparse_index_base_b.private_seg_size, 0
	.set _ZN9rocsparseL19gebsrmvn_2xn_kernelILj128ELj16ELj8EfEEvi20rocsparse_direction_NS_24const_host_device_scalarIT2_EEPKiS6_PKS3_S8_S4_PS3_21rocsparse_index_base_b.uses_vcc, 1
	.set _ZN9rocsparseL19gebsrmvn_2xn_kernelILj128ELj16ELj8EfEEvi20rocsparse_direction_NS_24const_host_device_scalarIT2_EEPKiS6_PKS3_S8_S4_PS3_21rocsparse_index_base_b.uses_flat_scratch, 0
	.set _ZN9rocsparseL19gebsrmvn_2xn_kernelILj128ELj16ELj8EfEEvi20rocsparse_direction_NS_24const_host_device_scalarIT2_EEPKiS6_PKS3_S8_S4_PS3_21rocsparse_index_base_b.has_dyn_sized_stack, 0
	.set _ZN9rocsparseL19gebsrmvn_2xn_kernelILj128ELj16ELj8EfEEvi20rocsparse_direction_NS_24const_host_device_scalarIT2_EEPKiS6_PKS3_S8_S4_PS3_21rocsparse_index_base_b.has_recursion, 0
	.set _ZN9rocsparseL19gebsrmvn_2xn_kernelILj128ELj16ELj8EfEEvi20rocsparse_direction_NS_24const_host_device_scalarIT2_EEPKiS6_PKS3_S8_S4_PS3_21rocsparse_index_base_b.has_indirect_call, 0
	.section	.AMDGPU.csdata,"",@progbits
; Kernel info:
; codeLenInByte = 1720
; TotalNumSgprs: 20
; NumVgprs: 62
; ScratchSize: 0
; MemoryBound: 0
; FloatMode: 240
; IeeeMode: 1
; LDSByteSize: 0 bytes/workgroup (compile time only)
; SGPRBlocks: 0
; VGPRBlocks: 3
; NumSGPRsForWavesPerEU: 20
; NumVGPRsForWavesPerEU: 62
; NamedBarCnt: 0
; Occupancy: 16
; WaveLimiterHint : 1
; COMPUTE_PGM_RSRC2:SCRATCH_EN: 0
; COMPUTE_PGM_RSRC2:USER_SGPR: 2
; COMPUTE_PGM_RSRC2:TRAP_HANDLER: 0
; COMPUTE_PGM_RSRC2:TGID_X_EN: 1
; COMPUTE_PGM_RSRC2:TGID_Y_EN: 0
; COMPUTE_PGM_RSRC2:TGID_Z_EN: 0
; COMPUTE_PGM_RSRC2:TIDIG_COMP_CNT: 0
	.section	.text._ZN9rocsparseL19gebsrmvn_2xn_kernelILj128ELj16ELj16EfEEvi20rocsparse_direction_NS_24const_host_device_scalarIT2_EEPKiS6_PKS3_S8_S4_PS3_21rocsparse_index_base_b,"axG",@progbits,_ZN9rocsparseL19gebsrmvn_2xn_kernelILj128ELj16ELj16EfEEvi20rocsparse_direction_NS_24const_host_device_scalarIT2_EEPKiS6_PKS3_S8_S4_PS3_21rocsparse_index_base_b,comdat
	.globl	_ZN9rocsparseL19gebsrmvn_2xn_kernelILj128ELj16ELj16EfEEvi20rocsparse_direction_NS_24const_host_device_scalarIT2_EEPKiS6_PKS3_S8_S4_PS3_21rocsparse_index_base_b ; -- Begin function _ZN9rocsparseL19gebsrmvn_2xn_kernelILj128ELj16ELj16EfEEvi20rocsparse_direction_NS_24const_host_device_scalarIT2_EEPKiS6_PKS3_S8_S4_PS3_21rocsparse_index_base_b
	.p2align	8
	.type	_ZN9rocsparseL19gebsrmvn_2xn_kernelILj128ELj16ELj16EfEEvi20rocsparse_direction_NS_24const_host_device_scalarIT2_EEPKiS6_PKS3_S8_S4_PS3_21rocsparse_index_base_b,@function
_ZN9rocsparseL19gebsrmvn_2xn_kernelILj128ELj16ELj16EfEEvi20rocsparse_direction_NS_24const_host_device_scalarIT2_EEPKiS6_PKS3_S8_S4_PS3_21rocsparse_index_base_b: ; @_ZN9rocsparseL19gebsrmvn_2xn_kernelILj128ELj16ELj16EfEEvi20rocsparse_direction_NS_24const_host_device_scalarIT2_EEPKiS6_PKS3_S8_S4_PS3_21rocsparse_index_base_b
; %bb.0:
	s_clause 0x2
	s_load_b64 s[16:17], s[0:1], 0x40
	s_load_b64 s[14:15], s[0:1], 0x8
	;; [unrolled: 1-line block ×3, first 2 shown]
	s_wait_kmcnt 0x0
	s_bitcmp1_b32 s17, 0
	s_cselect_b32 s2, -1, 0
	s_delay_alu instid0(SALU_CYCLE_1)
	s_and_b32 vcc_lo, exec_lo, s2
	s_xor_b32 s2, s2, -1
	s_cbranch_vccnz .LBB72_2
; %bb.1:
	s_load_b32 s14, s[14:15], 0x0
.LBB72_2:
	s_and_not1_b32 vcc_lo, exec_lo, s2
	s_cbranch_vccnz .LBB72_4
; %bb.3:
	s_load_b32 s12, s[12:13], 0x0
.LBB72_4:
	s_wait_kmcnt 0x0
	s_cmp_eq_f32 s14, 0
	s_cselect_b32 s2, -1, 0
	s_cmp_eq_f32 s12, 1.0
	s_cselect_b32 s3, -1, 0
	s_delay_alu instid0(SALU_CYCLE_1) | instskip(NEXT) | instid1(SALU_CYCLE_1)
	s_and_b32 s2, s2, s3
	s_and_b32 vcc_lo, exec_lo, s2
	s_cbranch_vccnz .LBB72_23
; %bb.5:
	s_load_b64 s[2:3], s[0:1], 0x0
	s_bfe_u32 s4, ttmp6, 0x4000c
	s_and_b32 s5, ttmp6, 15
	s_add_co_i32 s4, s4, 1
	s_getreg_b32 s6, hwreg(HW_REG_IB_STS2, 6, 4)
	s_mul_i32 s4, ttmp9, s4
	v_lshrrev_b32_e32 v1, 4, v0
	s_add_co_i32 s5, s5, s4
	s_cmp_eq_u32 s6, 0
	s_cselect_b32 s4, ttmp9, s5
	s_delay_alu instid0(VALU_DEP_1) | instid1(SALU_CYCLE_1)
	v_lshl_or_b32 v2, s4, 3, v1
	s_wait_kmcnt 0x0
	s_delay_alu instid0(VALU_DEP_1)
	v_cmp_gt_i32_e32 vcc_lo, s2, v2
	s_and_saveexec_b32 s2, vcc_lo
	s_cbranch_execz .LBB72_23
; %bb.6:
	s_load_b256 s[4:11], s[0:1], 0x10
	v_ashrrev_i32_e32 v3, 31, v2
	s_cmp_lg_u32 s3, 0
	s_wait_kmcnt 0x0
	s_delay_alu instid0(VALU_DEP_1)
	v_lshl_add_u64 v[4:5], v[2:3], 2, s[4:5]
	v_and_b32_e32 v3, 15, v0
	global_load_b64 v[4:5], v[4:5], off
	s_wait_loadcnt 0x0
	v_subrev_nc_u32_e32 v0, s16, v4
	v_subrev_nc_u32_e32 v6, s16, v5
	s_delay_alu instid0(VALU_DEP_2) | instskip(NEXT) | instid1(VALU_DEP_1)
	v_add_nc_u32_e32 v7, v0, v3
	v_cmp_lt_i32_e64 s2, v7, v6
	s_cbranch_scc0 .LBB72_12
; %bb.7:
	v_mov_b32_e32 v1, 0
	s_delay_alu instid0(VALU_DEP_1)
	v_mov_b32_e32 v0, v1
	s_and_saveexec_b32 s3, s2
	s_cbranch_execz .LBB72_11
; %bb.8:
	v_dual_mov_b32 v5, 0 :: v_dual_lshlrev_b32 v4, 5, v7
	v_mov_b32_e32 v8, v7
	s_mov_b32 s4, 0
	s_delay_alu instid0(VALU_DEP_2)
	v_dual_mov_b32 v0, v5 :: v_dual_mov_b32 v1, v5
.LBB72_9:                               ; =>This Inner Loop Header: Depth=1
	global_load_b32 v9, v8, s[6:7] scale_offset
	v_lshl_add_u64 v[58:59], v[4:5], 2, s[8:9]
	v_add_nc_u32_e32 v4, 0x200, v4
	s_wait_xcnt 0x0
	v_add_nc_u32_e32 v8, 16, v8
	s_delay_alu instid0(VALU_DEP_1) | instskip(SKIP_3) | instid1(VALU_DEP_1)
	v_cmp_ge_i32_e32 vcc_lo, v8, v6
	s_or_b32 s4, vcc_lo, s4
	s_wait_loadcnt 0x0
	v_subrev_nc_u32_e32 v9, s16, v9
	v_dual_mov_b32 v11, v5 :: v_dual_lshlrev_b32 v10, 4, v9
	s_delay_alu instid0(VALU_DEP_1)
	v_lshl_add_u64 v[60:61], v[10:11], 2, s[10:11]
	s_clause 0x1
	global_load_b128 v[10:13], v[58:59], off offset:16
	global_load_b128 v[14:17], v[58:59], off
	s_clause 0x1
	global_load_b128 v[18:21], v[60:61], off
	global_load_b128 v[22:25], v[60:61], off offset:16
	s_clause 0x3
	global_load_b128 v[26:29], v[58:59], off offset:32
	global_load_b128 v[30:33], v[58:59], off offset:48
	global_load_b128 v[34:37], v[58:59], off offset:80
	global_load_b128 v[38:41], v[58:59], off offset:64
	s_clause 0x1
	global_load_b128 v[42:45], v[60:61], off offset:32
	global_load_b128 v[46:49], v[60:61], off offset:48
	s_clause 0x1
	global_load_b128 v[50:53], v[58:59], off offset:96
	global_load_b128 v[54:57], v[58:59], off offset:112
	s_wait_loadcnt 0x9
	v_pk_fma_f32 v[0:1], v[14:15], v[18:19], v[0:1] op_sel_hi:[1,0,1]
	v_mov_b32_e32 v14, v21
	s_delay_alu instid0(VALU_DEP_2) | instskip(NEXT) | instid1(VALU_DEP_1)
	v_pk_fma_f32 v[0:1], v[16:17], v[18:19], v[0:1] op_sel:[0,1,0]
	v_pk_fma_f32 v[0:1], v[10:11], v[20:21], v[0:1] op_sel_hi:[1,0,1]
	s_wait_loadcnt 0x8
	v_mov_b32_e32 v10, v25
	s_delay_alu instid0(VALU_DEP_2) | instskip(SKIP_1) | instid1(VALU_DEP_1)
	v_pk_fma_f32 v[0:1], v[12:13], v[14:15], v[0:1] op_sel_hi:[1,0,1]
	s_wait_loadcnt 0x7
	v_pk_fma_f32 v[0:1], v[26:27], v[22:23], v[0:1] op_sel_hi:[1,0,1]
	s_delay_alu instid0(VALU_DEP_1) | instskip(SKIP_1) | instid1(VALU_DEP_1)
	v_pk_fma_f32 v[0:1], v[28:29], v[22:23], v[0:1] op_sel:[0,1,0]
	s_wait_loadcnt 0x6
	v_pk_fma_f32 v[0:1], v[30:31], v[24:25], v[0:1] op_sel_hi:[1,0,1]
	s_delay_alu instid0(VALU_DEP_1) | instskip(SKIP_2) | instid1(VALU_DEP_2)
	v_pk_fma_f32 v[0:1], v[32:33], v[10:11], v[0:1] op_sel_hi:[1,0,1]
	s_wait_loadcnt 0x3
	v_mov_b32_e32 v10, v45
	v_pk_fma_f32 v[0:1], v[38:39], v[42:43], v[0:1] op_sel_hi:[1,0,1]
	s_delay_alu instid0(VALU_DEP_1) | instskip(NEXT) | instid1(VALU_DEP_1)
	v_pk_fma_f32 v[0:1], v[40:41], v[42:43], v[0:1] op_sel:[0,1,0]
	v_pk_fma_f32 v[0:1], v[34:35], v[44:45], v[0:1] op_sel_hi:[1,0,1]
	s_delay_alu instid0(VALU_DEP_1) | instskip(SKIP_3) | instid1(VALU_DEP_2)
	v_pk_fma_f32 v[0:1], v[36:37], v[10:11], v[0:1] op_sel_hi:[1,0,1]
	s_wait_loadcnt 0x2
	v_mov_b32_e32 v10, v49
	s_wait_loadcnt 0x1
	v_pk_fma_f32 v[0:1], v[50:51], v[46:47], v[0:1] op_sel_hi:[1,0,1]
	s_delay_alu instid0(VALU_DEP_1) | instskip(SKIP_1) | instid1(VALU_DEP_1)
	v_pk_fma_f32 v[0:1], v[52:53], v[46:47], v[0:1] op_sel:[0,1,0]
	s_wait_loadcnt 0x0
	v_pk_fma_f32 v[0:1], v[54:55], v[48:49], v[0:1] op_sel_hi:[1,0,1]
	s_delay_alu instid0(VALU_DEP_1)
	v_pk_fma_f32 v[0:1], v[56:57], v[10:11], v[0:1] op_sel_hi:[1,0,1]
	s_and_not1_b32 exec_lo, exec_lo, s4
	s_cbranch_execnz .LBB72_9
; %bb.10:
	s_or_b32 exec_lo, exec_lo, s4
.LBB72_11:
	s_delay_alu instid0(SALU_CYCLE_1)
	s_or_b32 exec_lo, exec_lo, s3
	s_cbranch_execz .LBB72_13
	s_branch .LBB72_18
.LBB72_12:
                                        ; implicit-def: $vgpr1
.LBB72_13:
	v_mov_b32_e32 v1, 0
	s_delay_alu instid0(VALU_DEP_1)
	v_mov_b32_e32 v0, v1
	s_and_saveexec_b32 s3, s2
	s_cbranch_execz .LBB72_17
; %bb.14:
	v_dual_mov_b32 v5, 0 :: v_dual_lshlrev_b32 v4, 5, v7
	s_mov_b32 s2, 0
	s_delay_alu instid0(VALU_DEP_1)
	v_dual_mov_b32 v0, v5 :: v_dual_mov_b32 v1, v5
.LBB72_15:                              ; =>This Inner Loop Header: Depth=1
	global_load_b32 v8, v7, s[6:7] scale_offset
	v_lshl_add_u64 v[56:57], v[4:5], 2, s[8:9]
	v_add_nc_u32_e32 v4, 0x200, v4
	s_wait_loadcnt 0x0
	v_subrev_nc_u32_e32 v8, s16, v8
	s_delay_alu instid0(VALU_DEP_1)
	v_dual_mov_b32 v25, v5 :: v_dual_lshlrev_b32 v24, 4, v8
	s_clause 0x3
	global_load_b128 v[8:11], v[56:57], off offset:16
	global_load_b128 v[12:15], v[56:57], off
	global_load_b128 v[16:19], v[56:57], off offset:80
	global_load_b128 v[20:23], v[56:57], off offset:64
	v_lshl_add_u64 v[58:59], v[24:25], 2, s[10:11]
	s_clause 0x1
	global_load_b128 v[24:27], v[58:59], off
	global_load_b128 v[28:31], v[58:59], off offset:16
	s_clause 0x3
	global_load_b128 v[32:35], v[56:57], off offset:32
	global_load_b128 v[36:39], v[56:57], off offset:96
	;; [unrolled: 1-line block ×4, first 2 shown]
	s_clause 0x1
	global_load_b128 v[48:51], v[58:59], off offset:32
	global_load_b128 v[52:55], v[58:59], off offset:48
	s_wait_loadcnt 0xa
	s_wait_xcnt 0x2
	v_dual_mov_b32 v56, v12 :: v_dual_add_nc_u32 v7, 16, v7
	s_wait_loadcnt 0x8
	v_dual_mov_b32 v12, v14 :: v_dual_mov_b32 v57, v20
	v_dual_mov_b32 v20, v13 :: v_dual_mov_b32 v13, v22
	s_wait_loadcnt 0x7
	v_dual_mov_b32 v22, v15 :: v_dual_mov_b32 v14, v27
	s_delay_alu instid0(VALU_DEP_3) | instskip(NEXT) | instid1(VALU_DEP_1)
	v_pk_fma_f32 v[0:1], v[56:57], v[24:25], v[0:1] op_sel_hi:[1,0,1]
	v_pk_fma_f32 v[0:1], v[20:21], v[24:25], v[0:1] op_sel:[0,1,0]
	s_delay_alu instid0(VALU_DEP_1) | instskip(SKIP_3) | instid1(VALU_DEP_4)
	v_pk_fma_f32 v[0:1], v[12:13], v[26:27], v[0:1] op_sel_hi:[1,0,1]
	v_dual_mov_b32 v12, v8 :: v_dual_mov_b32 v13, v16
	v_dual_mov_b32 v16, v9 :: v_dual_mov_b32 v8, v10
	v_mov_b32_e32 v9, v18
	v_pk_fma_f32 v[0:1], v[22:23], v[14:15], v[0:1] op_sel_hi:[1,0,1]
	s_wait_loadcnt 0x6
	v_dual_mov_b32 v18, v11 :: v_dual_mov_b32 v10, v31
	s_delay_alu instid0(VALU_DEP_2) | instskip(NEXT) | instid1(VALU_DEP_1)
	v_pk_fma_f32 v[0:1], v[12:13], v[28:29], v[0:1] op_sel_hi:[1,0,1]
	v_pk_fma_f32 v[0:1], v[16:17], v[28:29], v[0:1] op_sel:[0,1,0]
	s_delay_alu instid0(VALU_DEP_1) | instskip(SKIP_3) | instid1(VALU_DEP_3)
	v_pk_fma_f32 v[0:1], v[8:9], v[30:31], v[0:1] op_sel_hi:[1,0,1]
	s_wait_loadcnt 0x4
	v_dual_mov_b32 v8, v32 :: v_dual_mov_b32 v9, v36
	v_mov_b32_e32 v36, v33
	v_pk_fma_f32 v[0:1], v[18:19], v[10:11], v[0:1] op_sel_hi:[1,0,1]
	s_wait_loadcnt 0x1
	v_mov_b32_e32 v10, v51
	s_delay_alu instid0(VALU_DEP_2) | instskip(SKIP_2) | instid1(VALU_DEP_3)
	v_pk_fma_f32 v[0:1], v[8:9], v[48:49], v[0:1] op_sel_hi:[1,0,1]
	v_dual_mov_b32 v8, v34 :: v_dual_mov_b32 v9, v38
	v_mov_b32_e32 v38, v35
	v_pk_fma_f32 v[0:1], v[36:37], v[48:49], v[0:1] op_sel:[0,1,0]
	s_delay_alu instid0(VALU_DEP_1) | instskip(SKIP_2) | instid1(VALU_DEP_3)
	v_pk_fma_f32 v[0:1], v[8:9], v[50:51], v[0:1] op_sel_hi:[1,0,1]
	v_dual_mov_b32 v8, v40 :: v_dual_mov_b32 v9, v44
	v_mov_b32_e32 v44, v41
	v_pk_fma_f32 v[0:1], v[38:39], v[10:11], v[0:1] op_sel_hi:[1,0,1]
	s_wait_loadcnt 0x0
	v_mov_b32_e32 v10, v55
	s_delay_alu instid0(VALU_DEP_2) | instskip(SKIP_3) | instid1(VALU_DEP_4)
	v_pk_fma_f32 v[0:1], v[8:9], v[52:53], v[0:1] op_sel_hi:[1,0,1]
	v_dual_mov_b32 v8, v42 :: v_dual_mov_b32 v9, v46
	v_mov_b32_e32 v46, v43
	v_cmp_ge_i32_e32 vcc_lo, v7, v6
	v_pk_fma_f32 v[0:1], v[44:45], v[52:53], v[0:1] op_sel:[0,1,0]
	s_or_b32 s2, vcc_lo, s2
	s_delay_alu instid0(VALU_DEP_1) | instskip(NEXT) | instid1(VALU_DEP_1)
	v_pk_fma_f32 v[0:1], v[8:9], v[54:55], v[0:1] op_sel_hi:[1,0,1]
	v_pk_fma_f32 v[0:1], v[46:47], v[10:11], v[0:1] op_sel_hi:[1,0,1]
	s_and_not1_b32 exec_lo, exec_lo, s2
	s_cbranch_execnz .LBB72_15
; %bb.16:
	s_or_b32 exec_lo, exec_lo, s2
.LBB72_17:
	s_delay_alu instid0(SALU_CYCLE_1)
	s_or_b32 exec_lo, exec_lo, s3
.LBB72_18:
	v_mbcnt_lo_u32_b32 v6, -1, 0
	s_mov_b32 s2, -1
	s_delay_alu instid0(VALU_DEP_1) | instskip(SKIP_1) | instid1(VALU_DEP_1)
	v_xor_b32_e32 v7, 4, v6
	v_xor_b32_e32 v4, 8, v6
	v_cmp_gt_i32_e32 vcc_lo, 32, v4
	v_cndmask_b32_e32 v4, v6, v4, vcc_lo
	s_delay_alu instid0(VALU_DEP_4) | instskip(SKIP_1) | instid1(VALU_DEP_1)
	v_cmp_gt_i32_e32 vcc_lo, 32, v7
	v_cndmask_b32_e32 v7, v6, v7, vcc_lo
	v_dual_lshlrev_b32 v7, 2, v7 :: v_dual_lshlrev_b32 v5, 2, v4
	ds_bpermute_b32 v4, v5, v0
	ds_bpermute_b32 v5, v5, v1
	s_wait_dscnt 0x0
	v_pk_add_f32 v[0:1], v[0:1], v[4:5]
	ds_bpermute_b32 v4, v7, v0
	ds_bpermute_b32 v5, v7, v1
	v_xor_b32_e32 v7, 2, v6
	s_delay_alu instid0(VALU_DEP_1) | instskip(SKIP_1) | instid1(VALU_DEP_1)
	v_cmp_gt_i32_e32 vcc_lo, 32, v7
	v_cndmask_b32_e32 v7, v6, v7, vcc_lo
	v_lshlrev_b32_e32 v7, 2, v7
	s_wait_dscnt 0x0
	v_pk_add_f32 v[0:1], v[0:1], v[4:5]
	ds_bpermute_b32 v4, v7, v0
	ds_bpermute_b32 v5, v7, v1
	v_xor_b32_e32 v7, 1, v6
	s_delay_alu instid0(VALU_DEP_1) | instskip(SKIP_2) | instid1(VALU_DEP_2)
	v_cmp_gt_i32_e32 vcc_lo, 32, v7
	v_cndmask_b32_e32 v6, v6, v7, vcc_lo
	v_cmp_eq_u32_e32 vcc_lo, 15, v3
	v_lshlrev_b32_e32 v6, 2, v6
	s_wait_dscnt 0x0
	v_pk_add_f32 v[0:1], v[0:1], v[4:5]
	ds_bpermute_b32 v4, v6, v0
	ds_bpermute_b32 v5, v6, v1
	s_and_b32 exec_lo, exec_lo, vcc_lo
	s_cbranch_execz .LBB72_23
; %bb.19:
	s_load_b64 s[0:1], s[0:1], 0x38
	s_wait_dscnt 0x0
	v_pk_add_f32 v[0:1], v[0:1], v[4:5]
	v_lshlrev_b32_e32 v2, 1, v2
	s_cmp_eq_f32 s12, 0
	s_cbranch_scc0 .LBB72_21
; %bb.20:
	s_delay_alu instid0(VALU_DEP_1) | instskip(SKIP_3) | instid1(VALU_DEP_2)
	v_ashrrev_i32_e32 v3, 31, v2
	v_pk_mul_f32 v[6:7], s[14:15], v[0:1] op_sel_hi:[0,1]
	s_mov_b32 s2, 0
	s_wait_kmcnt 0x0
	v_lshl_add_u64 v[4:5], v[2:3], 2, s[0:1]
	global_store_b64 v[4:5], v[6:7], off
.LBB72_21:
	s_and_not1_b32 vcc_lo, exec_lo, s2
	s_cbranch_vccnz .LBB72_23
; %bb.22:
	v_ashrrev_i32_e32 v3, 31, v2
	v_pk_mul_f32 v[0:1], s[14:15], v[0:1] op_sel_hi:[0,1]
	s_wait_kmcnt 0x0
	s_delay_alu instid0(VALU_DEP_2)
	v_lshl_add_u64 v[2:3], v[2:3], 2, s[0:1]
	global_load_b64 v[4:5], v[2:3], off
	s_wait_loadcnt 0x0
	v_pk_fma_f32 v[0:1], s[12:13], v[4:5], v[0:1] op_sel_hi:[0,1,1]
	global_store_b64 v[2:3], v[0:1], off
.LBB72_23:
	s_endpgm
	.section	.rodata,"a",@progbits
	.p2align	6, 0x0
	.amdhsa_kernel _ZN9rocsparseL19gebsrmvn_2xn_kernelILj128ELj16ELj16EfEEvi20rocsparse_direction_NS_24const_host_device_scalarIT2_EEPKiS6_PKS3_S8_S4_PS3_21rocsparse_index_base_b
		.amdhsa_group_segment_fixed_size 0
		.amdhsa_private_segment_fixed_size 0
		.amdhsa_kernarg_size 72
		.amdhsa_user_sgpr_count 2
		.amdhsa_user_sgpr_dispatch_ptr 0
		.amdhsa_user_sgpr_queue_ptr 0
		.amdhsa_user_sgpr_kernarg_segment_ptr 1
		.amdhsa_user_sgpr_dispatch_id 0
		.amdhsa_user_sgpr_kernarg_preload_length 0
		.amdhsa_user_sgpr_kernarg_preload_offset 0
		.amdhsa_user_sgpr_private_segment_size 0
		.amdhsa_wavefront_size32 1
		.amdhsa_uses_dynamic_stack 0
		.amdhsa_enable_private_segment 0
		.amdhsa_system_sgpr_workgroup_id_x 1
		.amdhsa_system_sgpr_workgroup_id_y 0
		.amdhsa_system_sgpr_workgroup_id_z 0
		.amdhsa_system_sgpr_workgroup_info 0
		.amdhsa_system_vgpr_workitem_id 0
		.amdhsa_next_free_vgpr 62
		.amdhsa_next_free_sgpr 18
		.amdhsa_named_barrier_count 0
		.amdhsa_reserve_vcc 1
		.amdhsa_float_round_mode_32 0
		.amdhsa_float_round_mode_16_64 0
		.amdhsa_float_denorm_mode_32 3
		.amdhsa_float_denorm_mode_16_64 3
		.amdhsa_fp16_overflow 0
		.amdhsa_memory_ordered 1
		.amdhsa_forward_progress 1
		.amdhsa_inst_pref_size 14
		.amdhsa_round_robin_scheduling 0
		.amdhsa_exception_fp_ieee_invalid_op 0
		.amdhsa_exception_fp_denorm_src 0
		.amdhsa_exception_fp_ieee_div_zero 0
		.amdhsa_exception_fp_ieee_overflow 0
		.amdhsa_exception_fp_ieee_underflow 0
		.amdhsa_exception_fp_ieee_inexact 0
		.amdhsa_exception_int_div_zero 0
	.end_amdhsa_kernel
	.section	.text._ZN9rocsparseL19gebsrmvn_2xn_kernelILj128ELj16ELj16EfEEvi20rocsparse_direction_NS_24const_host_device_scalarIT2_EEPKiS6_PKS3_S8_S4_PS3_21rocsparse_index_base_b,"axG",@progbits,_ZN9rocsparseL19gebsrmvn_2xn_kernelILj128ELj16ELj16EfEEvi20rocsparse_direction_NS_24const_host_device_scalarIT2_EEPKiS6_PKS3_S8_S4_PS3_21rocsparse_index_base_b,comdat
.Lfunc_end72:
	.size	_ZN9rocsparseL19gebsrmvn_2xn_kernelILj128ELj16ELj16EfEEvi20rocsparse_direction_NS_24const_host_device_scalarIT2_EEPKiS6_PKS3_S8_S4_PS3_21rocsparse_index_base_b, .Lfunc_end72-_ZN9rocsparseL19gebsrmvn_2xn_kernelILj128ELj16ELj16EfEEvi20rocsparse_direction_NS_24const_host_device_scalarIT2_EEPKiS6_PKS3_S8_S4_PS3_21rocsparse_index_base_b
                                        ; -- End function
	.set _ZN9rocsparseL19gebsrmvn_2xn_kernelILj128ELj16ELj16EfEEvi20rocsparse_direction_NS_24const_host_device_scalarIT2_EEPKiS6_PKS3_S8_S4_PS3_21rocsparse_index_base_b.num_vgpr, 62
	.set _ZN9rocsparseL19gebsrmvn_2xn_kernelILj128ELj16ELj16EfEEvi20rocsparse_direction_NS_24const_host_device_scalarIT2_EEPKiS6_PKS3_S8_S4_PS3_21rocsparse_index_base_b.num_agpr, 0
	.set _ZN9rocsparseL19gebsrmvn_2xn_kernelILj128ELj16ELj16EfEEvi20rocsparse_direction_NS_24const_host_device_scalarIT2_EEPKiS6_PKS3_S8_S4_PS3_21rocsparse_index_base_b.numbered_sgpr, 18
	.set _ZN9rocsparseL19gebsrmvn_2xn_kernelILj128ELj16ELj16EfEEvi20rocsparse_direction_NS_24const_host_device_scalarIT2_EEPKiS6_PKS3_S8_S4_PS3_21rocsparse_index_base_b.num_named_barrier, 0
	.set _ZN9rocsparseL19gebsrmvn_2xn_kernelILj128ELj16ELj16EfEEvi20rocsparse_direction_NS_24const_host_device_scalarIT2_EEPKiS6_PKS3_S8_S4_PS3_21rocsparse_index_base_b.private_seg_size, 0
	.set _ZN9rocsparseL19gebsrmvn_2xn_kernelILj128ELj16ELj16EfEEvi20rocsparse_direction_NS_24const_host_device_scalarIT2_EEPKiS6_PKS3_S8_S4_PS3_21rocsparse_index_base_b.uses_vcc, 1
	.set _ZN9rocsparseL19gebsrmvn_2xn_kernelILj128ELj16ELj16EfEEvi20rocsparse_direction_NS_24const_host_device_scalarIT2_EEPKiS6_PKS3_S8_S4_PS3_21rocsparse_index_base_b.uses_flat_scratch, 0
	.set _ZN9rocsparseL19gebsrmvn_2xn_kernelILj128ELj16ELj16EfEEvi20rocsparse_direction_NS_24const_host_device_scalarIT2_EEPKiS6_PKS3_S8_S4_PS3_21rocsparse_index_base_b.has_dyn_sized_stack, 0
	.set _ZN9rocsparseL19gebsrmvn_2xn_kernelILj128ELj16ELj16EfEEvi20rocsparse_direction_NS_24const_host_device_scalarIT2_EEPKiS6_PKS3_S8_S4_PS3_21rocsparse_index_base_b.has_recursion, 0
	.set _ZN9rocsparseL19gebsrmvn_2xn_kernelILj128ELj16ELj16EfEEvi20rocsparse_direction_NS_24const_host_device_scalarIT2_EEPKiS6_PKS3_S8_S4_PS3_21rocsparse_index_base_b.has_indirect_call, 0
	.section	.AMDGPU.csdata,"",@progbits
; Kernel info:
; codeLenInByte = 1768
; TotalNumSgprs: 20
; NumVgprs: 62
; ScratchSize: 0
; MemoryBound: 0
; FloatMode: 240
; IeeeMode: 1
; LDSByteSize: 0 bytes/workgroup (compile time only)
; SGPRBlocks: 0
; VGPRBlocks: 3
; NumSGPRsForWavesPerEU: 20
; NumVGPRsForWavesPerEU: 62
; NamedBarCnt: 0
; Occupancy: 16
; WaveLimiterHint : 1
; COMPUTE_PGM_RSRC2:SCRATCH_EN: 0
; COMPUTE_PGM_RSRC2:USER_SGPR: 2
; COMPUTE_PGM_RSRC2:TRAP_HANDLER: 0
; COMPUTE_PGM_RSRC2:TGID_X_EN: 1
; COMPUTE_PGM_RSRC2:TGID_Y_EN: 0
; COMPUTE_PGM_RSRC2:TGID_Z_EN: 0
; COMPUTE_PGM_RSRC2:TIDIG_COMP_CNT: 0
	.section	.text._ZN9rocsparseL19gebsrmvn_2xn_kernelILj128ELj16ELj32EfEEvi20rocsparse_direction_NS_24const_host_device_scalarIT2_EEPKiS6_PKS3_S8_S4_PS3_21rocsparse_index_base_b,"axG",@progbits,_ZN9rocsparseL19gebsrmvn_2xn_kernelILj128ELj16ELj32EfEEvi20rocsparse_direction_NS_24const_host_device_scalarIT2_EEPKiS6_PKS3_S8_S4_PS3_21rocsparse_index_base_b,comdat
	.globl	_ZN9rocsparseL19gebsrmvn_2xn_kernelILj128ELj16ELj32EfEEvi20rocsparse_direction_NS_24const_host_device_scalarIT2_EEPKiS6_PKS3_S8_S4_PS3_21rocsparse_index_base_b ; -- Begin function _ZN9rocsparseL19gebsrmvn_2xn_kernelILj128ELj16ELj32EfEEvi20rocsparse_direction_NS_24const_host_device_scalarIT2_EEPKiS6_PKS3_S8_S4_PS3_21rocsparse_index_base_b
	.p2align	8
	.type	_ZN9rocsparseL19gebsrmvn_2xn_kernelILj128ELj16ELj32EfEEvi20rocsparse_direction_NS_24const_host_device_scalarIT2_EEPKiS6_PKS3_S8_S4_PS3_21rocsparse_index_base_b,@function
_ZN9rocsparseL19gebsrmvn_2xn_kernelILj128ELj16ELj32EfEEvi20rocsparse_direction_NS_24const_host_device_scalarIT2_EEPKiS6_PKS3_S8_S4_PS3_21rocsparse_index_base_b: ; @_ZN9rocsparseL19gebsrmvn_2xn_kernelILj128ELj16ELj32EfEEvi20rocsparse_direction_NS_24const_host_device_scalarIT2_EEPKiS6_PKS3_S8_S4_PS3_21rocsparse_index_base_b
; %bb.0:
	s_clause 0x2
	s_load_b64 s[16:17], s[0:1], 0x40
	s_load_b64 s[14:15], s[0:1], 0x8
	;; [unrolled: 1-line block ×3, first 2 shown]
	s_wait_kmcnt 0x0
	s_bitcmp1_b32 s17, 0
	s_cselect_b32 s2, -1, 0
	s_delay_alu instid0(SALU_CYCLE_1)
	s_and_b32 vcc_lo, exec_lo, s2
	s_xor_b32 s2, s2, -1
	s_cbranch_vccnz .LBB73_2
; %bb.1:
	s_load_b32 s14, s[14:15], 0x0
.LBB73_2:
	s_and_not1_b32 vcc_lo, exec_lo, s2
	s_cbranch_vccnz .LBB73_4
; %bb.3:
	s_load_b32 s12, s[12:13], 0x0
.LBB73_4:
	s_wait_kmcnt 0x0
	s_cmp_eq_f32 s14, 0
	s_cselect_b32 s2, -1, 0
	s_cmp_eq_f32 s12, 1.0
	s_cselect_b32 s3, -1, 0
	s_delay_alu instid0(SALU_CYCLE_1) | instskip(NEXT) | instid1(SALU_CYCLE_1)
	s_and_b32 s2, s2, s3
	s_and_b32 vcc_lo, exec_lo, s2
	s_cbranch_vccnz .LBB73_23
; %bb.5:
	s_load_b64 s[2:3], s[0:1], 0x0
	s_bfe_u32 s4, ttmp6, 0x4000c
	s_and_b32 s5, ttmp6, 15
	s_add_co_i32 s4, s4, 1
	s_getreg_b32 s6, hwreg(HW_REG_IB_STS2, 6, 4)
	s_mul_i32 s4, ttmp9, s4
	v_lshrrev_b32_e32 v1, 5, v0
	s_add_co_i32 s5, s5, s4
	s_cmp_eq_u32 s6, 0
	s_cselect_b32 s4, ttmp9, s5
	s_delay_alu instid0(VALU_DEP_1) | instid1(SALU_CYCLE_1)
	v_lshl_or_b32 v2, s4, 2, v1
	s_wait_kmcnt 0x0
	s_delay_alu instid0(VALU_DEP_1)
	v_cmp_gt_i32_e32 vcc_lo, s2, v2
	s_and_saveexec_b32 s2, vcc_lo
	s_cbranch_execz .LBB73_23
; %bb.6:
	s_load_b256 s[4:11], s[0:1], 0x10
	v_ashrrev_i32_e32 v3, 31, v2
	s_cmp_lg_u32 s3, 0
	s_wait_kmcnt 0x0
	s_delay_alu instid0(VALU_DEP_1)
	v_lshl_add_u64 v[4:5], v[2:3], 2, s[4:5]
	v_and_b32_e32 v3, 31, v0
	global_load_b64 v[4:5], v[4:5], off
	s_wait_loadcnt 0x0
	v_subrev_nc_u32_e32 v0, s16, v4
	v_subrev_nc_u32_e32 v6, s16, v5
	s_delay_alu instid0(VALU_DEP_2) | instskip(NEXT) | instid1(VALU_DEP_1)
	v_add_nc_u32_e32 v7, v0, v3
	v_cmp_lt_i32_e64 s2, v7, v6
	s_cbranch_scc0 .LBB73_12
; %bb.7:
	v_mov_b32_e32 v1, 0
	s_delay_alu instid0(VALU_DEP_1)
	v_mov_b32_e32 v0, v1
	s_and_saveexec_b32 s3, s2
	s_cbranch_execz .LBB73_11
; %bb.8:
	v_dual_mov_b32 v5, 0 :: v_dual_lshlrev_b32 v4, 5, v7
	v_mov_b32_e32 v8, v7
	s_mov_b32 s4, 0
	s_delay_alu instid0(VALU_DEP_2)
	v_dual_mov_b32 v0, v5 :: v_dual_mov_b32 v1, v5
.LBB73_9:                               ; =>This Inner Loop Header: Depth=1
	global_load_b32 v9, v8, s[6:7] scale_offset
	v_lshl_add_u64 v[58:59], v[4:5], 2, s[8:9]
	v_add_nc_u32_e32 v4, 0x400, v4
	s_wait_xcnt 0x0
	v_add_nc_u32_e32 v8, 32, v8
	s_delay_alu instid0(VALU_DEP_1) | instskip(SKIP_3) | instid1(VALU_DEP_1)
	v_cmp_ge_i32_e32 vcc_lo, v8, v6
	s_or_b32 s4, vcc_lo, s4
	s_wait_loadcnt 0x0
	v_subrev_nc_u32_e32 v9, s16, v9
	v_dual_mov_b32 v11, v5 :: v_dual_lshlrev_b32 v10, 4, v9
	s_delay_alu instid0(VALU_DEP_1)
	v_lshl_add_u64 v[60:61], v[10:11], 2, s[10:11]
	s_clause 0x1
	global_load_b128 v[10:13], v[58:59], off offset:16
	global_load_b128 v[14:17], v[58:59], off
	s_clause 0x1
	global_load_b128 v[18:21], v[60:61], off
	global_load_b128 v[22:25], v[60:61], off offset:16
	s_clause 0x3
	global_load_b128 v[26:29], v[58:59], off offset:32
	global_load_b128 v[30:33], v[58:59], off offset:48
	;; [unrolled: 1-line block ×4, first 2 shown]
	s_clause 0x1
	global_load_b128 v[42:45], v[60:61], off offset:32
	global_load_b128 v[46:49], v[60:61], off offset:48
	s_clause 0x1
	global_load_b128 v[50:53], v[58:59], off offset:96
	global_load_b128 v[54:57], v[58:59], off offset:112
	s_wait_loadcnt 0x9
	v_pk_fma_f32 v[0:1], v[14:15], v[18:19], v[0:1] op_sel_hi:[1,0,1]
	v_mov_b32_e32 v14, v21
	s_delay_alu instid0(VALU_DEP_2) | instskip(NEXT) | instid1(VALU_DEP_1)
	v_pk_fma_f32 v[0:1], v[16:17], v[18:19], v[0:1] op_sel:[0,1,0]
	v_pk_fma_f32 v[0:1], v[10:11], v[20:21], v[0:1] op_sel_hi:[1,0,1]
	s_wait_loadcnt 0x8
	v_mov_b32_e32 v10, v25
	s_delay_alu instid0(VALU_DEP_2) | instskip(SKIP_1) | instid1(VALU_DEP_1)
	v_pk_fma_f32 v[0:1], v[12:13], v[14:15], v[0:1] op_sel_hi:[1,0,1]
	s_wait_loadcnt 0x7
	v_pk_fma_f32 v[0:1], v[26:27], v[22:23], v[0:1] op_sel_hi:[1,0,1]
	s_delay_alu instid0(VALU_DEP_1) | instskip(SKIP_1) | instid1(VALU_DEP_1)
	v_pk_fma_f32 v[0:1], v[28:29], v[22:23], v[0:1] op_sel:[0,1,0]
	s_wait_loadcnt 0x6
	v_pk_fma_f32 v[0:1], v[30:31], v[24:25], v[0:1] op_sel_hi:[1,0,1]
	s_delay_alu instid0(VALU_DEP_1) | instskip(SKIP_2) | instid1(VALU_DEP_2)
	v_pk_fma_f32 v[0:1], v[32:33], v[10:11], v[0:1] op_sel_hi:[1,0,1]
	s_wait_loadcnt 0x3
	v_mov_b32_e32 v10, v45
	v_pk_fma_f32 v[0:1], v[38:39], v[42:43], v[0:1] op_sel_hi:[1,0,1]
	s_delay_alu instid0(VALU_DEP_1) | instskip(NEXT) | instid1(VALU_DEP_1)
	v_pk_fma_f32 v[0:1], v[40:41], v[42:43], v[0:1] op_sel:[0,1,0]
	v_pk_fma_f32 v[0:1], v[34:35], v[44:45], v[0:1] op_sel_hi:[1,0,1]
	s_delay_alu instid0(VALU_DEP_1) | instskip(SKIP_3) | instid1(VALU_DEP_2)
	v_pk_fma_f32 v[0:1], v[36:37], v[10:11], v[0:1] op_sel_hi:[1,0,1]
	s_wait_loadcnt 0x2
	v_mov_b32_e32 v10, v49
	s_wait_loadcnt 0x1
	v_pk_fma_f32 v[0:1], v[50:51], v[46:47], v[0:1] op_sel_hi:[1,0,1]
	s_delay_alu instid0(VALU_DEP_1) | instskip(SKIP_1) | instid1(VALU_DEP_1)
	v_pk_fma_f32 v[0:1], v[52:53], v[46:47], v[0:1] op_sel:[0,1,0]
	s_wait_loadcnt 0x0
	v_pk_fma_f32 v[0:1], v[54:55], v[48:49], v[0:1] op_sel_hi:[1,0,1]
	s_delay_alu instid0(VALU_DEP_1)
	v_pk_fma_f32 v[0:1], v[56:57], v[10:11], v[0:1] op_sel_hi:[1,0,1]
	s_and_not1_b32 exec_lo, exec_lo, s4
	s_cbranch_execnz .LBB73_9
; %bb.10:
	s_or_b32 exec_lo, exec_lo, s4
.LBB73_11:
	s_delay_alu instid0(SALU_CYCLE_1)
	s_or_b32 exec_lo, exec_lo, s3
	s_cbranch_execz .LBB73_13
	s_branch .LBB73_18
.LBB73_12:
                                        ; implicit-def: $vgpr1
.LBB73_13:
	v_mov_b32_e32 v1, 0
	s_delay_alu instid0(VALU_DEP_1)
	v_mov_b32_e32 v0, v1
	s_and_saveexec_b32 s3, s2
	s_cbranch_execz .LBB73_17
; %bb.14:
	v_dual_mov_b32 v5, 0 :: v_dual_lshlrev_b32 v4, 5, v7
	s_mov_b32 s2, 0
	s_delay_alu instid0(VALU_DEP_1)
	v_dual_mov_b32 v0, v5 :: v_dual_mov_b32 v1, v5
.LBB73_15:                              ; =>This Inner Loop Header: Depth=1
	global_load_b32 v8, v7, s[6:7] scale_offset
	v_lshl_add_u64 v[56:57], v[4:5], 2, s[8:9]
	v_add_nc_u32_e32 v4, 0x400, v4
	s_wait_loadcnt 0x0
	v_subrev_nc_u32_e32 v8, s16, v8
	s_delay_alu instid0(VALU_DEP_1)
	v_dual_mov_b32 v25, v5 :: v_dual_lshlrev_b32 v24, 4, v8
	s_clause 0x3
	global_load_b128 v[8:11], v[56:57], off offset:16
	global_load_b128 v[12:15], v[56:57], off
	global_load_b128 v[16:19], v[56:57], off offset:80
	global_load_b128 v[20:23], v[56:57], off offset:64
	v_lshl_add_u64 v[58:59], v[24:25], 2, s[10:11]
	s_clause 0x1
	global_load_b128 v[24:27], v[58:59], off
	global_load_b128 v[28:31], v[58:59], off offset:16
	s_clause 0x3
	global_load_b128 v[32:35], v[56:57], off offset:32
	global_load_b128 v[36:39], v[56:57], off offset:96
	;; [unrolled: 1-line block ×4, first 2 shown]
	s_clause 0x1
	global_load_b128 v[48:51], v[58:59], off offset:32
	global_load_b128 v[52:55], v[58:59], off offset:48
	s_wait_loadcnt 0xa
	s_wait_xcnt 0x2
	v_dual_mov_b32 v56, v12 :: v_dual_add_nc_u32 v7, 32, v7
	s_wait_loadcnt 0x8
	v_dual_mov_b32 v12, v14 :: v_dual_mov_b32 v57, v20
	v_dual_mov_b32 v20, v13 :: v_dual_mov_b32 v13, v22
	s_wait_loadcnt 0x7
	v_dual_mov_b32 v22, v15 :: v_dual_mov_b32 v14, v27
	s_delay_alu instid0(VALU_DEP_3) | instskip(NEXT) | instid1(VALU_DEP_1)
	v_pk_fma_f32 v[0:1], v[56:57], v[24:25], v[0:1] op_sel_hi:[1,0,1]
	v_pk_fma_f32 v[0:1], v[20:21], v[24:25], v[0:1] op_sel:[0,1,0]
	s_delay_alu instid0(VALU_DEP_1) | instskip(SKIP_3) | instid1(VALU_DEP_4)
	v_pk_fma_f32 v[0:1], v[12:13], v[26:27], v[0:1] op_sel_hi:[1,0,1]
	v_dual_mov_b32 v12, v8 :: v_dual_mov_b32 v13, v16
	v_dual_mov_b32 v16, v9 :: v_dual_mov_b32 v8, v10
	v_mov_b32_e32 v9, v18
	v_pk_fma_f32 v[0:1], v[22:23], v[14:15], v[0:1] op_sel_hi:[1,0,1]
	s_wait_loadcnt 0x6
	v_dual_mov_b32 v18, v11 :: v_dual_mov_b32 v10, v31
	s_delay_alu instid0(VALU_DEP_2) | instskip(NEXT) | instid1(VALU_DEP_1)
	v_pk_fma_f32 v[0:1], v[12:13], v[28:29], v[0:1] op_sel_hi:[1,0,1]
	v_pk_fma_f32 v[0:1], v[16:17], v[28:29], v[0:1] op_sel:[0,1,0]
	s_delay_alu instid0(VALU_DEP_1) | instskip(SKIP_3) | instid1(VALU_DEP_3)
	v_pk_fma_f32 v[0:1], v[8:9], v[30:31], v[0:1] op_sel_hi:[1,0,1]
	s_wait_loadcnt 0x4
	v_dual_mov_b32 v8, v32 :: v_dual_mov_b32 v9, v36
	v_mov_b32_e32 v36, v33
	v_pk_fma_f32 v[0:1], v[18:19], v[10:11], v[0:1] op_sel_hi:[1,0,1]
	s_wait_loadcnt 0x1
	v_mov_b32_e32 v10, v51
	s_delay_alu instid0(VALU_DEP_2) | instskip(SKIP_2) | instid1(VALU_DEP_3)
	v_pk_fma_f32 v[0:1], v[8:9], v[48:49], v[0:1] op_sel_hi:[1,0,1]
	v_dual_mov_b32 v8, v34 :: v_dual_mov_b32 v9, v38
	v_mov_b32_e32 v38, v35
	v_pk_fma_f32 v[0:1], v[36:37], v[48:49], v[0:1] op_sel:[0,1,0]
	s_delay_alu instid0(VALU_DEP_1) | instskip(SKIP_2) | instid1(VALU_DEP_3)
	v_pk_fma_f32 v[0:1], v[8:9], v[50:51], v[0:1] op_sel_hi:[1,0,1]
	v_dual_mov_b32 v8, v40 :: v_dual_mov_b32 v9, v44
	v_mov_b32_e32 v44, v41
	v_pk_fma_f32 v[0:1], v[38:39], v[10:11], v[0:1] op_sel_hi:[1,0,1]
	s_wait_loadcnt 0x0
	v_mov_b32_e32 v10, v55
	s_delay_alu instid0(VALU_DEP_2) | instskip(SKIP_3) | instid1(VALU_DEP_4)
	v_pk_fma_f32 v[0:1], v[8:9], v[52:53], v[0:1] op_sel_hi:[1,0,1]
	v_dual_mov_b32 v8, v42 :: v_dual_mov_b32 v9, v46
	v_mov_b32_e32 v46, v43
	v_cmp_ge_i32_e32 vcc_lo, v7, v6
	v_pk_fma_f32 v[0:1], v[44:45], v[52:53], v[0:1] op_sel:[0,1,0]
	s_or_b32 s2, vcc_lo, s2
	s_delay_alu instid0(VALU_DEP_1) | instskip(NEXT) | instid1(VALU_DEP_1)
	v_pk_fma_f32 v[0:1], v[8:9], v[54:55], v[0:1] op_sel_hi:[1,0,1]
	v_pk_fma_f32 v[0:1], v[46:47], v[10:11], v[0:1] op_sel_hi:[1,0,1]
	s_and_not1_b32 exec_lo, exec_lo, s2
	s_cbranch_execnz .LBB73_15
; %bb.16:
	s_or_b32 exec_lo, exec_lo, s2
.LBB73_17:
	s_delay_alu instid0(SALU_CYCLE_1)
	s_or_b32 exec_lo, exec_lo, s3
.LBB73_18:
	v_mbcnt_lo_u32_b32 v6, -1, 0
	s_mov_b32 s2, -1
	s_delay_alu instid0(VALU_DEP_1) | instskip(SKIP_1) | instid1(VALU_DEP_1)
	v_xor_b32_e32 v7, 8, v6
	v_xor_b32_e32 v4, 16, v6
	v_cmp_gt_i32_e32 vcc_lo, 32, v4
	v_cndmask_b32_e32 v4, v6, v4, vcc_lo
	s_delay_alu instid0(VALU_DEP_4) | instskip(SKIP_1) | instid1(VALU_DEP_1)
	v_cmp_gt_i32_e32 vcc_lo, 32, v7
	v_cndmask_b32_e32 v7, v6, v7, vcc_lo
	v_dual_lshlrev_b32 v7, 2, v7 :: v_dual_lshlrev_b32 v5, 2, v4
	ds_bpermute_b32 v4, v5, v0
	ds_bpermute_b32 v5, v5, v1
	s_wait_dscnt 0x0
	v_pk_add_f32 v[0:1], v[0:1], v[4:5]
	ds_bpermute_b32 v4, v7, v0
	ds_bpermute_b32 v5, v7, v1
	v_xor_b32_e32 v7, 4, v6
	s_delay_alu instid0(VALU_DEP_1) | instskip(SKIP_1) | instid1(VALU_DEP_1)
	v_cmp_gt_i32_e32 vcc_lo, 32, v7
	v_cndmask_b32_e32 v7, v6, v7, vcc_lo
	v_lshlrev_b32_e32 v7, 2, v7
	s_wait_dscnt 0x0
	v_pk_add_f32 v[0:1], v[0:1], v[4:5]
	ds_bpermute_b32 v4, v7, v0
	ds_bpermute_b32 v5, v7, v1
	v_xor_b32_e32 v7, 2, v6
	s_delay_alu instid0(VALU_DEP_1) | instskip(SKIP_1) | instid1(VALU_DEP_1)
	v_cmp_gt_i32_e32 vcc_lo, 32, v7
	v_cndmask_b32_e32 v7, v6, v7, vcc_lo
	v_lshlrev_b32_e32 v7, 2, v7
	s_wait_dscnt 0x0
	v_pk_add_f32 v[0:1], v[0:1], v[4:5]
	ds_bpermute_b32 v4, v7, v0
	ds_bpermute_b32 v5, v7, v1
	v_xor_b32_e32 v7, 1, v6
	s_delay_alu instid0(VALU_DEP_1) | instskip(SKIP_2) | instid1(VALU_DEP_2)
	v_cmp_gt_i32_e32 vcc_lo, 32, v7
	v_cndmask_b32_e32 v6, v6, v7, vcc_lo
	v_cmp_eq_u32_e32 vcc_lo, 31, v3
	v_lshlrev_b32_e32 v6, 2, v6
	s_wait_dscnt 0x0
	v_pk_add_f32 v[0:1], v[0:1], v[4:5]
	ds_bpermute_b32 v4, v6, v0
	ds_bpermute_b32 v5, v6, v1
	s_and_b32 exec_lo, exec_lo, vcc_lo
	s_cbranch_execz .LBB73_23
; %bb.19:
	s_load_b64 s[0:1], s[0:1], 0x38
	s_wait_dscnt 0x0
	v_pk_add_f32 v[0:1], v[0:1], v[4:5]
	v_lshlrev_b32_e32 v2, 1, v2
	s_cmp_eq_f32 s12, 0
	s_cbranch_scc0 .LBB73_21
; %bb.20:
	s_delay_alu instid0(VALU_DEP_1) | instskip(SKIP_3) | instid1(VALU_DEP_2)
	v_ashrrev_i32_e32 v3, 31, v2
	v_pk_mul_f32 v[6:7], s[14:15], v[0:1] op_sel_hi:[0,1]
	s_mov_b32 s2, 0
	s_wait_kmcnt 0x0
	v_lshl_add_u64 v[4:5], v[2:3], 2, s[0:1]
	global_store_b64 v[4:5], v[6:7], off
.LBB73_21:
	s_and_not1_b32 vcc_lo, exec_lo, s2
	s_cbranch_vccnz .LBB73_23
; %bb.22:
	v_ashrrev_i32_e32 v3, 31, v2
	v_pk_mul_f32 v[0:1], s[14:15], v[0:1] op_sel_hi:[0,1]
	s_wait_kmcnt 0x0
	s_delay_alu instid0(VALU_DEP_2)
	v_lshl_add_u64 v[2:3], v[2:3], 2, s[0:1]
	global_load_b64 v[4:5], v[2:3], off
	s_wait_loadcnt 0x0
	v_pk_fma_f32 v[0:1], s[12:13], v[4:5], v[0:1] op_sel_hi:[0,1,1]
	global_store_b64 v[2:3], v[0:1], off
.LBB73_23:
	s_endpgm
	.section	.rodata,"a",@progbits
	.p2align	6, 0x0
	.amdhsa_kernel _ZN9rocsparseL19gebsrmvn_2xn_kernelILj128ELj16ELj32EfEEvi20rocsparse_direction_NS_24const_host_device_scalarIT2_EEPKiS6_PKS3_S8_S4_PS3_21rocsparse_index_base_b
		.amdhsa_group_segment_fixed_size 0
		.amdhsa_private_segment_fixed_size 0
		.amdhsa_kernarg_size 72
		.amdhsa_user_sgpr_count 2
		.amdhsa_user_sgpr_dispatch_ptr 0
		.amdhsa_user_sgpr_queue_ptr 0
		.amdhsa_user_sgpr_kernarg_segment_ptr 1
		.amdhsa_user_sgpr_dispatch_id 0
		.amdhsa_user_sgpr_kernarg_preload_length 0
		.amdhsa_user_sgpr_kernarg_preload_offset 0
		.amdhsa_user_sgpr_private_segment_size 0
		.amdhsa_wavefront_size32 1
		.amdhsa_uses_dynamic_stack 0
		.amdhsa_enable_private_segment 0
		.amdhsa_system_sgpr_workgroup_id_x 1
		.amdhsa_system_sgpr_workgroup_id_y 0
		.amdhsa_system_sgpr_workgroup_id_z 0
		.amdhsa_system_sgpr_workgroup_info 0
		.amdhsa_system_vgpr_workitem_id 0
		.amdhsa_next_free_vgpr 62
		.amdhsa_next_free_sgpr 18
		.amdhsa_named_barrier_count 0
		.amdhsa_reserve_vcc 1
		.amdhsa_float_round_mode_32 0
		.amdhsa_float_round_mode_16_64 0
		.amdhsa_float_denorm_mode_32 3
		.amdhsa_float_denorm_mode_16_64 3
		.amdhsa_fp16_overflow 0
		.amdhsa_memory_ordered 1
		.amdhsa_forward_progress 1
		.amdhsa_inst_pref_size 15
		.amdhsa_round_robin_scheduling 0
		.amdhsa_exception_fp_ieee_invalid_op 0
		.amdhsa_exception_fp_denorm_src 0
		.amdhsa_exception_fp_ieee_div_zero 0
		.amdhsa_exception_fp_ieee_overflow 0
		.amdhsa_exception_fp_ieee_underflow 0
		.amdhsa_exception_fp_ieee_inexact 0
		.amdhsa_exception_int_div_zero 0
	.end_amdhsa_kernel
	.section	.text._ZN9rocsparseL19gebsrmvn_2xn_kernelILj128ELj16ELj32EfEEvi20rocsparse_direction_NS_24const_host_device_scalarIT2_EEPKiS6_PKS3_S8_S4_PS3_21rocsparse_index_base_b,"axG",@progbits,_ZN9rocsparseL19gebsrmvn_2xn_kernelILj128ELj16ELj32EfEEvi20rocsparse_direction_NS_24const_host_device_scalarIT2_EEPKiS6_PKS3_S8_S4_PS3_21rocsparse_index_base_b,comdat
.Lfunc_end73:
	.size	_ZN9rocsparseL19gebsrmvn_2xn_kernelILj128ELj16ELj32EfEEvi20rocsparse_direction_NS_24const_host_device_scalarIT2_EEPKiS6_PKS3_S8_S4_PS3_21rocsparse_index_base_b, .Lfunc_end73-_ZN9rocsparseL19gebsrmvn_2xn_kernelILj128ELj16ELj32EfEEvi20rocsparse_direction_NS_24const_host_device_scalarIT2_EEPKiS6_PKS3_S8_S4_PS3_21rocsparse_index_base_b
                                        ; -- End function
	.set _ZN9rocsparseL19gebsrmvn_2xn_kernelILj128ELj16ELj32EfEEvi20rocsparse_direction_NS_24const_host_device_scalarIT2_EEPKiS6_PKS3_S8_S4_PS3_21rocsparse_index_base_b.num_vgpr, 62
	.set _ZN9rocsparseL19gebsrmvn_2xn_kernelILj128ELj16ELj32EfEEvi20rocsparse_direction_NS_24const_host_device_scalarIT2_EEPKiS6_PKS3_S8_S4_PS3_21rocsparse_index_base_b.num_agpr, 0
	.set _ZN9rocsparseL19gebsrmvn_2xn_kernelILj128ELj16ELj32EfEEvi20rocsparse_direction_NS_24const_host_device_scalarIT2_EEPKiS6_PKS3_S8_S4_PS3_21rocsparse_index_base_b.numbered_sgpr, 18
	.set _ZN9rocsparseL19gebsrmvn_2xn_kernelILj128ELj16ELj32EfEEvi20rocsparse_direction_NS_24const_host_device_scalarIT2_EEPKiS6_PKS3_S8_S4_PS3_21rocsparse_index_base_b.num_named_barrier, 0
	.set _ZN9rocsparseL19gebsrmvn_2xn_kernelILj128ELj16ELj32EfEEvi20rocsparse_direction_NS_24const_host_device_scalarIT2_EEPKiS6_PKS3_S8_S4_PS3_21rocsparse_index_base_b.private_seg_size, 0
	.set _ZN9rocsparseL19gebsrmvn_2xn_kernelILj128ELj16ELj32EfEEvi20rocsparse_direction_NS_24const_host_device_scalarIT2_EEPKiS6_PKS3_S8_S4_PS3_21rocsparse_index_base_b.uses_vcc, 1
	.set _ZN9rocsparseL19gebsrmvn_2xn_kernelILj128ELj16ELj32EfEEvi20rocsparse_direction_NS_24const_host_device_scalarIT2_EEPKiS6_PKS3_S8_S4_PS3_21rocsparse_index_base_b.uses_flat_scratch, 0
	.set _ZN9rocsparseL19gebsrmvn_2xn_kernelILj128ELj16ELj32EfEEvi20rocsparse_direction_NS_24const_host_device_scalarIT2_EEPKiS6_PKS3_S8_S4_PS3_21rocsparse_index_base_b.has_dyn_sized_stack, 0
	.set _ZN9rocsparseL19gebsrmvn_2xn_kernelILj128ELj16ELj32EfEEvi20rocsparse_direction_NS_24const_host_device_scalarIT2_EEPKiS6_PKS3_S8_S4_PS3_21rocsparse_index_base_b.has_recursion, 0
	.set _ZN9rocsparseL19gebsrmvn_2xn_kernelILj128ELj16ELj32EfEEvi20rocsparse_direction_NS_24const_host_device_scalarIT2_EEPKiS6_PKS3_S8_S4_PS3_21rocsparse_index_base_b.has_indirect_call, 0
	.section	.AMDGPU.csdata,"",@progbits
; Kernel info:
; codeLenInByte = 1816
; TotalNumSgprs: 20
; NumVgprs: 62
; ScratchSize: 0
; MemoryBound: 0
; FloatMode: 240
; IeeeMode: 1
; LDSByteSize: 0 bytes/workgroup (compile time only)
; SGPRBlocks: 0
; VGPRBlocks: 3
; NumSGPRsForWavesPerEU: 20
; NumVGPRsForWavesPerEU: 62
; NamedBarCnt: 0
; Occupancy: 16
; WaveLimiterHint : 1
; COMPUTE_PGM_RSRC2:SCRATCH_EN: 0
; COMPUTE_PGM_RSRC2:USER_SGPR: 2
; COMPUTE_PGM_RSRC2:TRAP_HANDLER: 0
; COMPUTE_PGM_RSRC2:TGID_X_EN: 1
; COMPUTE_PGM_RSRC2:TGID_Y_EN: 0
; COMPUTE_PGM_RSRC2:TGID_Z_EN: 0
; COMPUTE_PGM_RSRC2:TIDIG_COMP_CNT: 0
	.section	.text._ZN9rocsparseL19gebsrmvn_2xn_kernelILj128ELj16ELj64EfEEvi20rocsparse_direction_NS_24const_host_device_scalarIT2_EEPKiS6_PKS3_S8_S4_PS3_21rocsparse_index_base_b,"axG",@progbits,_ZN9rocsparseL19gebsrmvn_2xn_kernelILj128ELj16ELj64EfEEvi20rocsparse_direction_NS_24const_host_device_scalarIT2_EEPKiS6_PKS3_S8_S4_PS3_21rocsparse_index_base_b,comdat
	.globl	_ZN9rocsparseL19gebsrmvn_2xn_kernelILj128ELj16ELj64EfEEvi20rocsparse_direction_NS_24const_host_device_scalarIT2_EEPKiS6_PKS3_S8_S4_PS3_21rocsparse_index_base_b ; -- Begin function _ZN9rocsparseL19gebsrmvn_2xn_kernelILj128ELj16ELj64EfEEvi20rocsparse_direction_NS_24const_host_device_scalarIT2_EEPKiS6_PKS3_S8_S4_PS3_21rocsparse_index_base_b
	.p2align	8
	.type	_ZN9rocsparseL19gebsrmvn_2xn_kernelILj128ELj16ELj64EfEEvi20rocsparse_direction_NS_24const_host_device_scalarIT2_EEPKiS6_PKS3_S8_S4_PS3_21rocsparse_index_base_b,@function
_ZN9rocsparseL19gebsrmvn_2xn_kernelILj128ELj16ELj64EfEEvi20rocsparse_direction_NS_24const_host_device_scalarIT2_EEPKiS6_PKS3_S8_S4_PS3_21rocsparse_index_base_b: ; @_ZN9rocsparseL19gebsrmvn_2xn_kernelILj128ELj16ELj64EfEEvi20rocsparse_direction_NS_24const_host_device_scalarIT2_EEPKiS6_PKS3_S8_S4_PS3_21rocsparse_index_base_b
; %bb.0:
	s_clause 0x2
	s_load_b64 s[16:17], s[0:1], 0x40
	s_load_b64 s[14:15], s[0:1], 0x8
	;; [unrolled: 1-line block ×3, first 2 shown]
	s_wait_kmcnt 0x0
	s_bitcmp1_b32 s17, 0
	s_cselect_b32 s2, -1, 0
	s_delay_alu instid0(SALU_CYCLE_1)
	s_and_b32 vcc_lo, exec_lo, s2
	s_xor_b32 s2, s2, -1
	s_cbranch_vccnz .LBB74_2
; %bb.1:
	s_load_b32 s14, s[14:15], 0x0
.LBB74_2:
	s_and_not1_b32 vcc_lo, exec_lo, s2
	s_cbranch_vccnz .LBB74_4
; %bb.3:
	s_load_b32 s12, s[12:13], 0x0
.LBB74_4:
	s_wait_kmcnt 0x0
	s_cmp_eq_f32 s14, 0
	s_cselect_b32 s2, -1, 0
	s_cmp_eq_f32 s12, 1.0
	s_cselect_b32 s3, -1, 0
	s_delay_alu instid0(SALU_CYCLE_1) | instskip(NEXT) | instid1(SALU_CYCLE_1)
	s_and_b32 s2, s2, s3
	s_and_b32 vcc_lo, exec_lo, s2
	s_cbranch_vccnz .LBB74_23
; %bb.5:
	s_load_b64 s[2:3], s[0:1], 0x0
	s_bfe_u32 s4, ttmp6, 0x4000c
	s_and_b32 s5, ttmp6, 15
	s_add_co_i32 s4, s4, 1
	s_getreg_b32 s6, hwreg(HW_REG_IB_STS2, 6, 4)
	s_mul_i32 s4, ttmp9, s4
	v_lshrrev_b32_e32 v1, 6, v0
	s_add_co_i32 s5, s5, s4
	s_cmp_eq_u32 s6, 0
	s_cselect_b32 s4, ttmp9, s5
	s_delay_alu instid0(VALU_DEP_1) | instid1(SALU_CYCLE_1)
	v_lshl_or_b32 v2, s4, 1, v1
	s_wait_kmcnt 0x0
	s_delay_alu instid0(VALU_DEP_1)
	v_cmp_gt_i32_e32 vcc_lo, s2, v2
	s_and_saveexec_b32 s2, vcc_lo
	s_cbranch_execz .LBB74_23
; %bb.6:
	s_load_b256 s[4:11], s[0:1], 0x10
	v_ashrrev_i32_e32 v3, 31, v2
	s_cmp_lg_u32 s3, 0
	s_wait_kmcnt 0x0
	s_delay_alu instid0(VALU_DEP_1)
	v_lshl_add_u64 v[4:5], v[2:3], 2, s[4:5]
	v_and_b32_e32 v3, 63, v0
	global_load_b64 v[4:5], v[4:5], off
	s_wait_loadcnt 0x0
	v_subrev_nc_u32_e32 v0, s16, v4
	v_subrev_nc_u32_e32 v6, s16, v5
	s_delay_alu instid0(VALU_DEP_2) | instskip(NEXT) | instid1(VALU_DEP_1)
	v_add_nc_u32_e32 v7, v0, v3
	v_cmp_lt_i32_e64 s2, v7, v6
	s_cbranch_scc0 .LBB74_12
; %bb.7:
	v_mov_b32_e32 v1, 0
	s_delay_alu instid0(VALU_DEP_1)
	v_mov_b32_e32 v0, v1
	s_and_saveexec_b32 s3, s2
	s_cbranch_execz .LBB74_11
; %bb.8:
	v_dual_mov_b32 v5, 0 :: v_dual_lshlrev_b32 v4, 5, v7
	v_mov_b32_e32 v8, v7
	s_mov_b32 s4, 0
	s_delay_alu instid0(VALU_DEP_2)
	v_dual_mov_b32 v0, v5 :: v_dual_mov_b32 v1, v5
.LBB74_9:                               ; =>This Inner Loop Header: Depth=1
	global_load_b32 v9, v8, s[6:7] scale_offset
	v_lshl_add_u64 v[58:59], v[4:5], 2, s[8:9]
	v_add_nc_u32_e32 v4, 0x800, v4
	s_wait_xcnt 0x0
	v_add_nc_u32_e32 v8, 64, v8
	s_delay_alu instid0(VALU_DEP_1) | instskip(SKIP_3) | instid1(VALU_DEP_1)
	v_cmp_ge_i32_e32 vcc_lo, v8, v6
	s_or_b32 s4, vcc_lo, s4
	s_wait_loadcnt 0x0
	v_subrev_nc_u32_e32 v9, s16, v9
	v_dual_mov_b32 v11, v5 :: v_dual_lshlrev_b32 v10, 4, v9
	s_delay_alu instid0(VALU_DEP_1)
	v_lshl_add_u64 v[60:61], v[10:11], 2, s[10:11]
	s_clause 0x1
	global_load_b128 v[10:13], v[58:59], off offset:16
	global_load_b128 v[14:17], v[58:59], off
	s_clause 0x1
	global_load_b128 v[18:21], v[60:61], off
	global_load_b128 v[22:25], v[60:61], off offset:16
	s_clause 0x3
	global_load_b128 v[26:29], v[58:59], off offset:32
	global_load_b128 v[30:33], v[58:59], off offset:48
	;; [unrolled: 1-line block ×4, first 2 shown]
	s_clause 0x1
	global_load_b128 v[42:45], v[60:61], off offset:32
	global_load_b128 v[46:49], v[60:61], off offset:48
	s_clause 0x1
	global_load_b128 v[50:53], v[58:59], off offset:96
	global_load_b128 v[54:57], v[58:59], off offset:112
	s_wait_loadcnt 0x9
	v_pk_fma_f32 v[0:1], v[14:15], v[18:19], v[0:1] op_sel_hi:[1,0,1]
	v_mov_b32_e32 v14, v21
	s_delay_alu instid0(VALU_DEP_2) | instskip(NEXT) | instid1(VALU_DEP_1)
	v_pk_fma_f32 v[0:1], v[16:17], v[18:19], v[0:1] op_sel:[0,1,0]
	v_pk_fma_f32 v[0:1], v[10:11], v[20:21], v[0:1] op_sel_hi:[1,0,1]
	s_wait_loadcnt 0x8
	v_mov_b32_e32 v10, v25
	s_delay_alu instid0(VALU_DEP_2) | instskip(SKIP_1) | instid1(VALU_DEP_1)
	v_pk_fma_f32 v[0:1], v[12:13], v[14:15], v[0:1] op_sel_hi:[1,0,1]
	s_wait_loadcnt 0x7
	v_pk_fma_f32 v[0:1], v[26:27], v[22:23], v[0:1] op_sel_hi:[1,0,1]
	s_delay_alu instid0(VALU_DEP_1) | instskip(SKIP_1) | instid1(VALU_DEP_1)
	v_pk_fma_f32 v[0:1], v[28:29], v[22:23], v[0:1] op_sel:[0,1,0]
	s_wait_loadcnt 0x6
	v_pk_fma_f32 v[0:1], v[30:31], v[24:25], v[0:1] op_sel_hi:[1,0,1]
	s_delay_alu instid0(VALU_DEP_1) | instskip(SKIP_2) | instid1(VALU_DEP_2)
	v_pk_fma_f32 v[0:1], v[32:33], v[10:11], v[0:1] op_sel_hi:[1,0,1]
	s_wait_loadcnt 0x3
	v_mov_b32_e32 v10, v45
	v_pk_fma_f32 v[0:1], v[38:39], v[42:43], v[0:1] op_sel_hi:[1,0,1]
	s_delay_alu instid0(VALU_DEP_1) | instskip(NEXT) | instid1(VALU_DEP_1)
	v_pk_fma_f32 v[0:1], v[40:41], v[42:43], v[0:1] op_sel:[0,1,0]
	v_pk_fma_f32 v[0:1], v[34:35], v[44:45], v[0:1] op_sel_hi:[1,0,1]
	s_delay_alu instid0(VALU_DEP_1) | instskip(SKIP_3) | instid1(VALU_DEP_2)
	v_pk_fma_f32 v[0:1], v[36:37], v[10:11], v[0:1] op_sel_hi:[1,0,1]
	s_wait_loadcnt 0x2
	v_mov_b32_e32 v10, v49
	s_wait_loadcnt 0x1
	v_pk_fma_f32 v[0:1], v[50:51], v[46:47], v[0:1] op_sel_hi:[1,0,1]
	s_delay_alu instid0(VALU_DEP_1) | instskip(SKIP_1) | instid1(VALU_DEP_1)
	v_pk_fma_f32 v[0:1], v[52:53], v[46:47], v[0:1] op_sel:[0,1,0]
	s_wait_loadcnt 0x0
	v_pk_fma_f32 v[0:1], v[54:55], v[48:49], v[0:1] op_sel_hi:[1,0,1]
	s_delay_alu instid0(VALU_DEP_1)
	v_pk_fma_f32 v[0:1], v[56:57], v[10:11], v[0:1] op_sel_hi:[1,0,1]
	s_and_not1_b32 exec_lo, exec_lo, s4
	s_cbranch_execnz .LBB74_9
; %bb.10:
	s_or_b32 exec_lo, exec_lo, s4
.LBB74_11:
	s_delay_alu instid0(SALU_CYCLE_1)
	s_or_b32 exec_lo, exec_lo, s3
	s_cbranch_execz .LBB74_13
	s_branch .LBB74_18
.LBB74_12:
                                        ; implicit-def: $vgpr1
.LBB74_13:
	v_mov_b32_e32 v1, 0
	s_delay_alu instid0(VALU_DEP_1)
	v_mov_b32_e32 v0, v1
	s_and_saveexec_b32 s3, s2
	s_cbranch_execz .LBB74_17
; %bb.14:
	v_dual_mov_b32 v5, 0 :: v_dual_lshlrev_b32 v4, 5, v7
	s_mov_b32 s2, 0
	s_delay_alu instid0(VALU_DEP_1)
	v_dual_mov_b32 v0, v5 :: v_dual_mov_b32 v1, v5
.LBB74_15:                              ; =>This Inner Loop Header: Depth=1
	global_load_b32 v8, v7, s[6:7] scale_offset
	v_lshl_add_u64 v[56:57], v[4:5], 2, s[8:9]
	v_add_nc_u32_e32 v4, 0x800, v4
	s_wait_loadcnt 0x0
	v_subrev_nc_u32_e32 v8, s16, v8
	s_delay_alu instid0(VALU_DEP_1)
	v_dual_mov_b32 v25, v5 :: v_dual_lshlrev_b32 v24, 4, v8
	s_clause 0x3
	global_load_b128 v[8:11], v[56:57], off offset:16
	global_load_b128 v[12:15], v[56:57], off
	global_load_b128 v[16:19], v[56:57], off offset:80
	global_load_b128 v[20:23], v[56:57], off offset:64
	v_lshl_add_u64 v[58:59], v[24:25], 2, s[10:11]
	s_clause 0x1
	global_load_b128 v[24:27], v[58:59], off
	global_load_b128 v[28:31], v[58:59], off offset:16
	s_clause 0x3
	global_load_b128 v[32:35], v[56:57], off offset:32
	global_load_b128 v[36:39], v[56:57], off offset:96
	;; [unrolled: 1-line block ×4, first 2 shown]
	s_clause 0x1
	global_load_b128 v[48:51], v[58:59], off offset:32
	global_load_b128 v[52:55], v[58:59], off offset:48
	s_wait_loadcnt 0xa
	s_wait_xcnt 0x2
	v_dual_mov_b32 v56, v12 :: v_dual_add_nc_u32 v7, 64, v7
	s_wait_loadcnt 0x8
	v_dual_mov_b32 v12, v14 :: v_dual_mov_b32 v57, v20
	v_dual_mov_b32 v20, v13 :: v_dual_mov_b32 v13, v22
	s_wait_loadcnt 0x7
	v_dual_mov_b32 v22, v15 :: v_dual_mov_b32 v14, v27
	s_delay_alu instid0(VALU_DEP_3) | instskip(NEXT) | instid1(VALU_DEP_1)
	v_pk_fma_f32 v[0:1], v[56:57], v[24:25], v[0:1] op_sel_hi:[1,0,1]
	v_pk_fma_f32 v[0:1], v[20:21], v[24:25], v[0:1] op_sel:[0,1,0]
	s_delay_alu instid0(VALU_DEP_1) | instskip(SKIP_3) | instid1(VALU_DEP_4)
	v_pk_fma_f32 v[0:1], v[12:13], v[26:27], v[0:1] op_sel_hi:[1,0,1]
	v_dual_mov_b32 v12, v8 :: v_dual_mov_b32 v13, v16
	v_dual_mov_b32 v16, v9 :: v_dual_mov_b32 v8, v10
	v_mov_b32_e32 v9, v18
	v_pk_fma_f32 v[0:1], v[22:23], v[14:15], v[0:1] op_sel_hi:[1,0,1]
	s_wait_loadcnt 0x6
	v_dual_mov_b32 v18, v11 :: v_dual_mov_b32 v10, v31
	s_delay_alu instid0(VALU_DEP_2) | instskip(NEXT) | instid1(VALU_DEP_1)
	v_pk_fma_f32 v[0:1], v[12:13], v[28:29], v[0:1] op_sel_hi:[1,0,1]
	v_pk_fma_f32 v[0:1], v[16:17], v[28:29], v[0:1] op_sel:[0,1,0]
	s_delay_alu instid0(VALU_DEP_1) | instskip(SKIP_3) | instid1(VALU_DEP_3)
	v_pk_fma_f32 v[0:1], v[8:9], v[30:31], v[0:1] op_sel_hi:[1,0,1]
	s_wait_loadcnt 0x4
	v_dual_mov_b32 v8, v32 :: v_dual_mov_b32 v9, v36
	v_mov_b32_e32 v36, v33
	v_pk_fma_f32 v[0:1], v[18:19], v[10:11], v[0:1] op_sel_hi:[1,0,1]
	s_wait_loadcnt 0x1
	v_mov_b32_e32 v10, v51
	s_delay_alu instid0(VALU_DEP_2) | instskip(SKIP_2) | instid1(VALU_DEP_3)
	v_pk_fma_f32 v[0:1], v[8:9], v[48:49], v[0:1] op_sel_hi:[1,0,1]
	v_dual_mov_b32 v8, v34 :: v_dual_mov_b32 v9, v38
	v_mov_b32_e32 v38, v35
	v_pk_fma_f32 v[0:1], v[36:37], v[48:49], v[0:1] op_sel:[0,1,0]
	s_delay_alu instid0(VALU_DEP_1) | instskip(SKIP_2) | instid1(VALU_DEP_3)
	v_pk_fma_f32 v[0:1], v[8:9], v[50:51], v[0:1] op_sel_hi:[1,0,1]
	v_dual_mov_b32 v8, v40 :: v_dual_mov_b32 v9, v44
	v_mov_b32_e32 v44, v41
	v_pk_fma_f32 v[0:1], v[38:39], v[10:11], v[0:1] op_sel_hi:[1,0,1]
	s_wait_loadcnt 0x0
	v_mov_b32_e32 v10, v55
	s_delay_alu instid0(VALU_DEP_2) | instskip(SKIP_3) | instid1(VALU_DEP_4)
	v_pk_fma_f32 v[0:1], v[8:9], v[52:53], v[0:1] op_sel_hi:[1,0,1]
	v_dual_mov_b32 v8, v42 :: v_dual_mov_b32 v9, v46
	v_mov_b32_e32 v46, v43
	v_cmp_ge_i32_e32 vcc_lo, v7, v6
	v_pk_fma_f32 v[0:1], v[44:45], v[52:53], v[0:1] op_sel:[0,1,0]
	s_or_b32 s2, vcc_lo, s2
	s_delay_alu instid0(VALU_DEP_1) | instskip(NEXT) | instid1(VALU_DEP_1)
	v_pk_fma_f32 v[0:1], v[8:9], v[54:55], v[0:1] op_sel_hi:[1,0,1]
	v_pk_fma_f32 v[0:1], v[46:47], v[10:11], v[0:1] op_sel_hi:[1,0,1]
	s_and_not1_b32 exec_lo, exec_lo, s2
	s_cbranch_execnz .LBB74_15
; %bb.16:
	s_or_b32 exec_lo, exec_lo, s2
.LBB74_17:
	s_delay_alu instid0(SALU_CYCLE_1)
	s_or_b32 exec_lo, exec_lo, s3
.LBB74_18:
	v_mbcnt_lo_u32_b32 v6, -1, 0
	s_mov_b32 s2, -1
	s_delay_alu instid0(VALU_DEP_1) | instskip(SKIP_1) | instid1(VALU_DEP_1)
	v_xor_b32_e32 v7, 16, v6
	v_or_b32_e32 v4, 32, v6
	v_cmp_gt_i32_e32 vcc_lo, 32, v4
	v_cndmask_b32_e32 v4, v6, v4, vcc_lo
	s_delay_alu instid0(VALU_DEP_4) | instskip(SKIP_1) | instid1(VALU_DEP_1)
	v_cmp_gt_i32_e32 vcc_lo, 32, v7
	v_cndmask_b32_e32 v7, v6, v7, vcc_lo
	v_dual_lshlrev_b32 v7, 2, v7 :: v_dual_lshlrev_b32 v5, 2, v4
	ds_bpermute_b32 v4, v5, v0
	ds_bpermute_b32 v5, v5, v1
	s_wait_dscnt 0x0
	v_pk_add_f32 v[0:1], v[0:1], v[4:5]
	ds_bpermute_b32 v4, v7, v0
	ds_bpermute_b32 v5, v7, v1
	v_xor_b32_e32 v7, 8, v6
	s_delay_alu instid0(VALU_DEP_1) | instskip(SKIP_1) | instid1(VALU_DEP_1)
	v_cmp_gt_i32_e32 vcc_lo, 32, v7
	v_cndmask_b32_e32 v7, v6, v7, vcc_lo
	v_lshlrev_b32_e32 v7, 2, v7
	s_wait_dscnt 0x0
	v_pk_add_f32 v[0:1], v[0:1], v[4:5]
	ds_bpermute_b32 v4, v7, v0
	ds_bpermute_b32 v5, v7, v1
	v_xor_b32_e32 v7, 4, v6
	s_delay_alu instid0(VALU_DEP_1) | instskip(SKIP_1) | instid1(VALU_DEP_1)
	v_cmp_gt_i32_e32 vcc_lo, 32, v7
	v_cndmask_b32_e32 v7, v6, v7, vcc_lo
	v_lshlrev_b32_e32 v7, 2, v7
	;; [unrolled: 9-line block ×3, first 2 shown]
	s_wait_dscnt 0x0
	v_pk_add_f32 v[0:1], v[0:1], v[4:5]
	ds_bpermute_b32 v4, v7, v0
	ds_bpermute_b32 v5, v7, v1
	v_xor_b32_e32 v7, 1, v6
	s_delay_alu instid0(VALU_DEP_1) | instskip(SKIP_2) | instid1(VALU_DEP_2)
	v_cmp_gt_i32_e32 vcc_lo, 32, v7
	v_cndmask_b32_e32 v6, v6, v7, vcc_lo
	v_cmp_eq_u32_e32 vcc_lo, 63, v3
	v_lshlrev_b32_e32 v6, 2, v6
	s_wait_dscnt 0x0
	v_pk_add_f32 v[0:1], v[0:1], v[4:5]
	ds_bpermute_b32 v4, v6, v0
	ds_bpermute_b32 v5, v6, v1
	s_and_b32 exec_lo, exec_lo, vcc_lo
	s_cbranch_execz .LBB74_23
; %bb.19:
	s_load_b64 s[0:1], s[0:1], 0x38
	s_wait_dscnt 0x0
	v_pk_add_f32 v[0:1], v[0:1], v[4:5]
	v_lshlrev_b32_e32 v2, 1, v2
	s_cmp_eq_f32 s12, 0
	s_cbranch_scc0 .LBB74_21
; %bb.20:
	s_delay_alu instid0(VALU_DEP_1) | instskip(SKIP_3) | instid1(VALU_DEP_2)
	v_ashrrev_i32_e32 v3, 31, v2
	v_pk_mul_f32 v[6:7], s[14:15], v[0:1] op_sel_hi:[0,1]
	s_mov_b32 s2, 0
	s_wait_kmcnt 0x0
	v_lshl_add_u64 v[4:5], v[2:3], 2, s[0:1]
	global_store_b64 v[4:5], v[6:7], off
.LBB74_21:
	s_and_not1_b32 vcc_lo, exec_lo, s2
	s_cbranch_vccnz .LBB74_23
; %bb.22:
	v_ashrrev_i32_e32 v3, 31, v2
	v_pk_mul_f32 v[0:1], s[14:15], v[0:1] op_sel_hi:[0,1]
	s_wait_kmcnt 0x0
	s_delay_alu instid0(VALU_DEP_2)
	v_lshl_add_u64 v[2:3], v[2:3], 2, s[0:1]
	global_load_b64 v[4:5], v[2:3], off
	s_wait_loadcnt 0x0
	v_pk_fma_f32 v[0:1], s[12:13], v[4:5], v[0:1] op_sel_hi:[0,1,1]
	global_store_b64 v[2:3], v[0:1], off
.LBB74_23:
	s_endpgm
	.section	.rodata,"a",@progbits
	.p2align	6, 0x0
	.amdhsa_kernel _ZN9rocsparseL19gebsrmvn_2xn_kernelILj128ELj16ELj64EfEEvi20rocsparse_direction_NS_24const_host_device_scalarIT2_EEPKiS6_PKS3_S8_S4_PS3_21rocsparse_index_base_b
		.amdhsa_group_segment_fixed_size 0
		.amdhsa_private_segment_fixed_size 0
		.amdhsa_kernarg_size 72
		.amdhsa_user_sgpr_count 2
		.amdhsa_user_sgpr_dispatch_ptr 0
		.amdhsa_user_sgpr_queue_ptr 0
		.amdhsa_user_sgpr_kernarg_segment_ptr 1
		.amdhsa_user_sgpr_dispatch_id 0
		.amdhsa_user_sgpr_kernarg_preload_length 0
		.amdhsa_user_sgpr_kernarg_preload_offset 0
		.amdhsa_user_sgpr_private_segment_size 0
		.amdhsa_wavefront_size32 1
		.amdhsa_uses_dynamic_stack 0
		.amdhsa_enable_private_segment 0
		.amdhsa_system_sgpr_workgroup_id_x 1
		.amdhsa_system_sgpr_workgroup_id_y 0
		.amdhsa_system_sgpr_workgroup_id_z 0
		.amdhsa_system_sgpr_workgroup_info 0
		.amdhsa_system_vgpr_workitem_id 0
		.amdhsa_next_free_vgpr 62
		.amdhsa_next_free_sgpr 18
		.amdhsa_named_barrier_count 0
		.amdhsa_reserve_vcc 1
		.amdhsa_float_round_mode_32 0
		.amdhsa_float_round_mode_16_64 0
		.amdhsa_float_denorm_mode_32 3
		.amdhsa_float_denorm_mode_16_64 3
		.amdhsa_fp16_overflow 0
		.amdhsa_memory_ordered 1
		.amdhsa_forward_progress 1
		.amdhsa_inst_pref_size 15
		.amdhsa_round_robin_scheduling 0
		.amdhsa_exception_fp_ieee_invalid_op 0
		.amdhsa_exception_fp_denorm_src 0
		.amdhsa_exception_fp_ieee_div_zero 0
		.amdhsa_exception_fp_ieee_overflow 0
		.amdhsa_exception_fp_ieee_underflow 0
		.amdhsa_exception_fp_ieee_inexact 0
		.amdhsa_exception_int_div_zero 0
	.end_amdhsa_kernel
	.section	.text._ZN9rocsparseL19gebsrmvn_2xn_kernelILj128ELj16ELj64EfEEvi20rocsparse_direction_NS_24const_host_device_scalarIT2_EEPKiS6_PKS3_S8_S4_PS3_21rocsparse_index_base_b,"axG",@progbits,_ZN9rocsparseL19gebsrmvn_2xn_kernelILj128ELj16ELj64EfEEvi20rocsparse_direction_NS_24const_host_device_scalarIT2_EEPKiS6_PKS3_S8_S4_PS3_21rocsparse_index_base_b,comdat
.Lfunc_end74:
	.size	_ZN9rocsparseL19gebsrmvn_2xn_kernelILj128ELj16ELj64EfEEvi20rocsparse_direction_NS_24const_host_device_scalarIT2_EEPKiS6_PKS3_S8_S4_PS3_21rocsparse_index_base_b, .Lfunc_end74-_ZN9rocsparseL19gebsrmvn_2xn_kernelILj128ELj16ELj64EfEEvi20rocsparse_direction_NS_24const_host_device_scalarIT2_EEPKiS6_PKS3_S8_S4_PS3_21rocsparse_index_base_b
                                        ; -- End function
	.set _ZN9rocsparseL19gebsrmvn_2xn_kernelILj128ELj16ELj64EfEEvi20rocsparse_direction_NS_24const_host_device_scalarIT2_EEPKiS6_PKS3_S8_S4_PS3_21rocsparse_index_base_b.num_vgpr, 62
	.set _ZN9rocsparseL19gebsrmvn_2xn_kernelILj128ELj16ELj64EfEEvi20rocsparse_direction_NS_24const_host_device_scalarIT2_EEPKiS6_PKS3_S8_S4_PS3_21rocsparse_index_base_b.num_agpr, 0
	.set _ZN9rocsparseL19gebsrmvn_2xn_kernelILj128ELj16ELj64EfEEvi20rocsparse_direction_NS_24const_host_device_scalarIT2_EEPKiS6_PKS3_S8_S4_PS3_21rocsparse_index_base_b.numbered_sgpr, 18
	.set _ZN9rocsparseL19gebsrmvn_2xn_kernelILj128ELj16ELj64EfEEvi20rocsparse_direction_NS_24const_host_device_scalarIT2_EEPKiS6_PKS3_S8_S4_PS3_21rocsparse_index_base_b.num_named_barrier, 0
	.set _ZN9rocsparseL19gebsrmvn_2xn_kernelILj128ELj16ELj64EfEEvi20rocsparse_direction_NS_24const_host_device_scalarIT2_EEPKiS6_PKS3_S8_S4_PS3_21rocsparse_index_base_b.private_seg_size, 0
	.set _ZN9rocsparseL19gebsrmvn_2xn_kernelILj128ELj16ELj64EfEEvi20rocsparse_direction_NS_24const_host_device_scalarIT2_EEPKiS6_PKS3_S8_S4_PS3_21rocsparse_index_base_b.uses_vcc, 1
	.set _ZN9rocsparseL19gebsrmvn_2xn_kernelILj128ELj16ELj64EfEEvi20rocsparse_direction_NS_24const_host_device_scalarIT2_EEPKiS6_PKS3_S8_S4_PS3_21rocsparse_index_base_b.uses_flat_scratch, 0
	.set _ZN9rocsparseL19gebsrmvn_2xn_kernelILj128ELj16ELj64EfEEvi20rocsparse_direction_NS_24const_host_device_scalarIT2_EEPKiS6_PKS3_S8_S4_PS3_21rocsparse_index_base_b.has_dyn_sized_stack, 0
	.set _ZN9rocsparseL19gebsrmvn_2xn_kernelILj128ELj16ELj64EfEEvi20rocsparse_direction_NS_24const_host_device_scalarIT2_EEPKiS6_PKS3_S8_S4_PS3_21rocsparse_index_base_b.has_recursion, 0
	.set _ZN9rocsparseL19gebsrmvn_2xn_kernelILj128ELj16ELj64EfEEvi20rocsparse_direction_NS_24const_host_device_scalarIT2_EEPKiS6_PKS3_S8_S4_PS3_21rocsparse_index_base_b.has_indirect_call, 0
	.section	.AMDGPU.csdata,"",@progbits
; Kernel info:
; codeLenInByte = 1864
; TotalNumSgprs: 20
; NumVgprs: 62
; ScratchSize: 0
; MemoryBound: 0
; FloatMode: 240
; IeeeMode: 1
; LDSByteSize: 0 bytes/workgroup (compile time only)
; SGPRBlocks: 0
; VGPRBlocks: 3
; NumSGPRsForWavesPerEU: 20
; NumVGPRsForWavesPerEU: 62
; NamedBarCnt: 0
; Occupancy: 16
; WaveLimiterHint : 1
; COMPUTE_PGM_RSRC2:SCRATCH_EN: 0
; COMPUTE_PGM_RSRC2:USER_SGPR: 2
; COMPUTE_PGM_RSRC2:TRAP_HANDLER: 0
; COMPUTE_PGM_RSRC2:TGID_X_EN: 1
; COMPUTE_PGM_RSRC2:TGID_Y_EN: 0
; COMPUTE_PGM_RSRC2:TGID_Z_EN: 0
; COMPUTE_PGM_RSRC2:TIDIG_COMP_CNT: 0
	.section	.text._ZN9rocsparseL23gebsrmvn_general_kernelILj32ELj32EfEEvi20rocsparse_direction_NS_24const_host_device_scalarIT1_EEPKiS6_PKS3_iiS8_S4_PS3_21rocsparse_index_base_b,"axG",@progbits,_ZN9rocsparseL23gebsrmvn_general_kernelILj32ELj32EfEEvi20rocsparse_direction_NS_24const_host_device_scalarIT1_EEPKiS6_PKS3_iiS8_S4_PS3_21rocsparse_index_base_b,comdat
	.globl	_ZN9rocsparseL23gebsrmvn_general_kernelILj32ELj32EfEEvi20rocsparse_direction_NS_24const_host_device_scalarIT1_EEPKiS6_PKS3_iiS8_S4_PS3_21rocsparse_index_base_b ; -- Begin function _ZN9rocsparseL23gebsrmvn_general_kernelILj32ELj32EfEEvi20rocsparse_direction_NS_24const_host_device_scalarIT1_EEPKiS6_PKS3_iiS8_S4_PS3_21rocsparse_index_base_b
	.p2align	8
	.type	_ZN9rocsparseL23gebsrmvn_general_kernelILj32ELj32EfEEvi20rocsparse_direction_NS_24const_host_device_scalarIT1_EEPKiS6_PKS3_iiS8_S4_PS3_21rocsparse_index_base_b,@function
_ZN9rocsparseL23gebsrmvn_general_kernelILj32ELj32EfEEvi20rocsparse_direction_NS_24const_host_device_scalarIT1_EEPKiS6_PKS3_iiS8_S4_PS3_21rocsparse_index_base_b: ; @_ZN9rocsparseL23gebsrmvn_general_kernelILj32ELj32EfEEvi20rocsparse_direction_NS_24const_host_device_scalarIT1_EEPKiS6_PKS3_iiS8_S4_PS3_21rocsparse_index_base_b
; %bb.0:
	s_clause 0x2
	s_load_b64 s[2:3], s[0:1], 0x48
	s_load_b64 s[8:9], s[0:1], 0x8
	;; [unrolled: 1-line block ×3, first 2 shown]
	s_wait_kmcnt 0x0
	s_bitcmp1_b32 s3, 0
	s_cselect_b32 s3, -1, 0
	s_delay_alu instid0(SALU_CYCLE_1)
	s_and_b32 vcc_lo, exec_lo, s3
	s_xor_b32 s3, s3, -1
	s_cbranch_vccnz .LBB75_2
; %bb.1:
	s_load_b32 s8, s[8:9], 0x0
.LBB75_2:
	s_and_not1_b32 vcc_lo, exec_lo, s3
	s_cbranch_vccnz .LBB75_4
; %bb.3:
	s_load_b32 s10, s[10:11], 0x0
.LBB75_4:
	s_wait_kmcnt 0x0
	s_cmp_eq_f32 s8, 0
	s_cselect_b32 s3, -1, 0
	s_cmp_eq_f32 s10, 1.0
	s_cselect_b32 s4, -1, 0
	s_delay_alu instid0(SALU_CYCLE_1) | instskip(NEXT) | instid1(SALU_CYCLE_1)
	s_and_b32 s3, s3, s4
	s_and_b32 vcc_lo, exec_lo, s3
	s_cbranch_vccnz .LBB75_24
; %bb.5:
	s_load_b64 s[12:13], s[0:1], 0x28
	s_wait_kmcnt 0x0
	s_cmp_gt_i32 s12, 0
	s_cselect_b32 s3, -1, 0
	s_delay_alu instid0(SALU_CYCLE_1)
	s_and_saveexec_b32 s4, s3
	s_cbranch_execz .LBB75_24
; %bb.6:
	s_load_b128 s[4:7], s[0:1], 0x10
	s_bfe_u32 s3, ttmp6, 0x4000c
	s_and_b32 s9, ttmp6, 15
	s_add_co_i32 s3, s3, 1
	v_mbcnt_lo_u32_b32 v2, -1, 0
	s_mul_i32 s3, ttmp9, s3
	s_getreg_b32 s11, hwreg(HW_REG_IB_STS2, 6, 4)
	s_add_co_i32 s9, s9, s3
	s_cmp_eq_u32 s11, 0
	v_dual_mov_b32 v1, 0 :: v_dual_bitop2_b32 v3, 16, v2 bitop3:0x14
	s_cselect_b32 s24, ttmp9, s9
	s_clause 0x2
	s_load_b64 s[14:15], s[0:1], 0x20
	s_load_b64 s[16:17], s[0:1], 0x30
	;; [unrolled: 1-line block ×3, first 2 shown]
	s_ashr_i32 s25, s24, 31
	s_wait_xcnt 0x0
	s_load_b32 s1, s[0:1], 0x4
	s_lshl_b64 s[20:21], s[24:25], 2
	v_cmp_gt_i32_e32 vcc_lo, 32, v3
	v_xor_b32_e32 v4, 8, v2
	s_wait_xcnt 0x0
	v_cmp_gt_i32_e64 s0, s13, v0
	s_mov_b32 s3, 0
	s_wait_kmcnt 0x0
	s_add_nc_u64 s[4:5], s[4:5], s[20:21]
	v_cndmask_b32_e32 v3, v2, v3, vcc_lo
	s_load_b64 s[20:21], s[4:5], 0x0
	v_cmp_gt_i32_e32 vcc_lo, 32, v4
	v_xor_b32_e32 v5, 4, v2
	v_xor_b32_e32 v7, 1, v2
	s_mul_i32 s23, s12, s24
	s_mul_i32 s24, s13, s12
	v_cndmask_b32_e32 v4, v2, v4, vcc_lo
	v_cmp_gt_i32_e32 vcc_lo, 32, v5
	v_dual_cndmask_b32 v5, v2, v5, vcc_lo :: v_dual_bitop2_b32 v6, 2, v2 bitop3:0x14
	s_delay_alu instid0(VALU_DEP_1)
	v_cmp_gt_i32_e32 vcc_lo, 32, v6
	v_cndmask_b32_e32 v6, v2, v6, vcc_lo
	v_cmp_gt_i32_e32 vcc_lo, 32, v7
	s_wait_kmcnt 0x0
	s_sub_co_i32 s9, s20, s2
	s_sub_co_i32 s11, s21, s2
	s_cmp_lt_i32 s20, s21
	v_cndmask_b32_e32 v7, v2, v7, vcc_lo
	s_cselect_b32 s20, -1, 0
	s_cmp_lg_u32 s1, 0
	s_mul_i32 s1, s12, s9
	s_cselect_b32 s21, -1, 0
	s_mul_i32 s4, s13, s1
	s_cmp_eq_f32 s10, 0
	v_dual_lshlrev_b32 v2, 2, v3 :: v_dual_lshlrev_b32 v3, 2, v4
	v_dual_lshlrev_b32 v4, 2, v5 :: v_dual_lshlrev_b32 v5, 2, v6
	v_lshlrev_b32_e32 v6, 2, v7
	v_cmp_eq_u32_e64 s1, 31, v0
	v_mov_b32_e32 v7, s4
	s_cselect_b32 s22, -1, 0
	s_branch .LBB75_8
.LBB75_7:                               ;   in Loop: Header=BB75_8 Depth=1
	s_wait_xcnt 0x0
	s_or_b32 exec_lo, exec_lo, s4
	v_dual_add_nc_u32 v1, 1, v1 :: v_dual_add_nc_u32 v7, s13, v7
	s_delay_alu instid0(VALU_DEP_1) | instskip(SKIP_1) | instid1(SALU_CYCLE_1)
	v_cmp_le_i32_e32 vcc_lo, s12, v1
	s_or_b32 s3, vcc_lo, s3
	s_and_not1_b32 exec_lo, exec_lo, s3
	s_cbranch_execz .LBB75_24
.LBB75_8:                               ; =>This Loop Header: Depth=1
                                        ;     Child Loop BB75_12 Depth 2
                                        ;       Child Loop BB75_15 Depth 3
	v_mov_b32_e32 v8, 0
	s_and_not1_b32 vcc_lo, exec_lo, s20
	s_cbranch_vccnz .LBB75_19
; %bb.9:                                ;   in Loop: Header=BB75_8 Depth=1
	s_wait_dscnt 0x0
	v_dual_mov_b32 v8, 0 :: v_dual_mov_b32 v9, v7
	s_mov_b32 s4, s9
	s_branch .LBB75_12
.LBB75_10:                              ;   in Loop: Header=BB75_12 Depth=2
	s_or_b32 exec_lo, exec_lo, s26
.LBB75_11:                              ;   in Loop: Header=BB75_12 Depth=2
	s_delay_alu instid0(SALU_CYCLE_1) | instskip(SKIP_2) | instid1(SALU_CYCLE_1)
	s_or_b32 exec_lo, exec_lo, s25
	v_add_nc_u32_e32 v9, s24, v9
	s_add_co_i32 s4, s4, 1
	s_cmp_ge_i32 s4, s11
	s_cbranch_scc1 .LBB75_19
.LBB75_12:                              ;   Parent Loop BB75_8 Depth=1
                                        ; =>  This Loop Header: Depth=2
                                        ;       Child Loop BB75_15 Depth 3
	s_and_saveexec_b32 s25, s0
	s_cbranch_execz .LBB75_11
; %bb.13:                               ;   in Loop: Header=BB75_12 Depth=2
	s_ashr_i32 s5, s4, 31
	v_mov_b32_e32 v10, v0
	s_lshl_b64 s[26:27], s[4:5], 2
	s_delay_alu instid0(SALU_CYCLE_1)
	s_add_nc_u64 s[26:27], s[6:7], s[26:27]
	s_load_b32 s5, s[26:27], 0x0
	s_wait_xcnt 0x0
	s_mov_b32 s26, 0
	s_wait_kmcnt 0x0
	s_sub_co_i32 s27, s5, s2
	s_mul_i32 s5, s4, s13
	s_mul_i32 s27, s27, s13
	s_branch .LBB75_15
.LBB75_14:                              ;   in Loop: Header=BB75_15 Depth=3
	v_dual_add_nc_u32 v12, s27, v10 :: v_dual_add_nc_u32 v10, 32, v10
	global_load_b32 v13, v11, s[14:15] scale_offset
	global_load_b32 v14, v12, s[16:17] scale_offset
	v_cmp_le_i32_e32 vcc_lo, s13, v10
	s_or_b32 s26, vcc_lo, s26
	s_wait_loadcnt 0x0
	v_fmac_f32_e32 v8, v13, v14
	s_wait_xcnt 0x0
	s_and_not1_b32 exec_lo, exec_lo, s26
	s_cbranch_execz .LBB75_10
.LBB75_15:                              ;   Parent Loop BB75_8 Depth=1
                                        ;     Parent Loop BB75_12 Depth=2
                                        ; =>    This Inner Loop Header: Depth=3
	s_and_b32 vcc_lo, exec_lo, s21
	s_cbranch_vccz .LBB75_17
; %bb.16:                               ;   in Loop: Header=BB75_15 Depth=3
	v_add_nc_u32_e32 v11, s5, v10
	s_delay_alu instid0(VALU_DEP_1)
	v_mad_u32 v11, v11, s12, v1
	s_cbranch_execnz .LBB75_14
	s_branch .LBB75_18
.LBB75_17:                              ;   in Loop: Header=BB75_15 Depth=3
                                        ; implicit-def: $vgpr11
.LBB75_18:                              ;   in Loop: Header=BB75_15 Depth=3
	v_add_nc_u32_e32 v11, v9, v10
	s_branch .LBB75_14
.LBB75_19:                              ;   in Loop: Header=BB75_8 Depth=1
	s_wait_dscnt 0x0
	ds_bpermute_b32 v9, v2, v8
	s_wait_dscnt 0x0
	v_add_f32_e32 v8, v8, v9
	ds_bpermute_b32 v9, v3, v8
	s_wait_dscnt 0x0
	v_add_f32_e32 v8, v8, v9
	;; [unrolled: 3-line block ×4, first 2 shown]
	ds_bpermute_b32 v9, v6, v8
	s_and_saveexec_b32 s4, s1
	s_cbranch_execz .LBB75_7
; %bb.20:                               ;   in Loop: Header=BB75_8 Depth=1
	s_wait_dscnt 0x0
	v_add_f32_e32 v8, v8, v9
	s_and_b32 vcc_lo, exec_lo, s22
	s_delay_alu instid0(VALU_DEP_1)
	v_dual_mul_f32 v8, s8, v8 :: v_dual_add_nc_u32 v9, s23, v1
	s_cbranch_vccz .LBB75_22
; %bb.21:                               ;   in Loop: Header=BB75_8 Depth=1
	global_store_b32 v9, v8, s[18:19] scale_offset
	s_cbranch_execnz .LBB75_7
	s_branch .LBB75_23
.LBB75_22:                              ;   in Loop: Header=BB75_8 Depth=1
.LBB75_23:                              ;   in Loop: Header=BB75_8 Depth=1
	global_load_b32 v10, v9, s[18:19] scale_offset
	s_wait_loadcnt 0x0
	s_wait_xcnt 0x1
	v_fmac_f32_e32 v8, s10, v10
	global_store_b32 v9, v8, s[18:19] scale_offset
	s_branch .LBB75_7
.LBB75_24:
	s_endpgm
	.section	.rodata,"a",@progbits
	.p2align	6, 0x0
	.amdhsa_kernel _ZN9rocsparseL23gebsrmvn_general_kernelILj32ELj32EfEEvi20rocsparse_direction_NS_24const_host_device_scalarIT1_EEPKiS6_PKS3_iiS8_S4_PS3_21rocsparse_index_base_b
		.amdhsa_group_segment_fixed_size 0
		.amdhsa_private_segment_fixed_size 0
		.amdhsa_kernarg_size 80
		.amdhsa_user_sgpr_count 2
		.amdhsa_user_sgpr_dispatch_ptr 0
		.amdhsa_user_sgpr_queue_ptr 0
		.amdhsa_user_sgpr_kernarg_segment_ptr 1
		.amdhsa_user_sgpr_dispatch_id 0
		.amdhsa_user_sgpr_kernarg_preload_length 0
		.amdhsa_user_sgpr_kernarg_preload_offset 0
		.amdhsa_user_sgpr_private_segment_size 0
		.amdhsa_wavefront_size32 1
		.amdhsa_uses_dynamic_stack 0
		.amdhsa_enable_private_segment 0
		.amdhsa_system_sgpr_workgroup_id_x 1
		.amdhsa_system_sgpr_workgroup_id_y 0
		.amdhsa_system_sgpr_workgroup_id_z 0
		.amdhsa_system_sgpr_workgroup_info 0
		.amdhsa_system_vgpr_workitem_id 0
		.amdhsa_next_free_vgpr 15
		.amdhsa_next_free_sgpr 28
		.amdhsa_named_barrier_count 0
		.amdhsa_reserve_vcc 1
		.amdhsa_float_round_mode_32 0
		.amdhsa_float_round_mode_16_64 0
		.amdhsa_float_denorm_mode_32 3
		.amdhsa_float_denorm_mode_16_64 3
		.amdhsa_fp16_overflow 0
		.amdhsa_memory_ordered 1
		.amdhsa_forward_progress 1
		.amdhsa_inst_pref_size 7
		.amdhsa_round_robin_scheduling 0
		.amdhsa_exception_fp_ieee_invalid_op 0
		.amdhsa_exception_fp_denorm_src 0
		.amdhsa_exception_fp_ieee_div_zero 0
		.amdhsa_exception_fp_ieee_overflow 0
		.amdhsa_exception_fp_ieee_underflow 0
		.amdhsa_exception_fp_ieee_inexact 0
		.amdhsa_exception_int_div_zero 0
	.end_amdhsa_kernel
	.section	.text._ZN9rocsparseL23gebsrmvn_general_kernelILj32ELj32EfEEvi20rocsparse_direction_NS_24const_host_device_scalarIT1_EEPKiS6_PKS3_iiS8_S4_PS3_21rocsparse_index_base_b,"axG",@progbits,_ZN9rocsparseL23gebsrmvn_general_kernelILj32ELj32EfEEvi20rocsparse_direction_NS_24const_host_device_scalarIT1_EEPKiS6_PKS3_iiS8_S4_PS3_21rocsparse_index_base_b,comdat
.Lfunc_end75:
	.size	_ZN9rocsparseL23gebsrmvn_general_kernelILj32ELj32EfEEvi20rocsparse_direction_NS_24const_host_device_scalarIT1_EEPKiS6_PKS3_iiS8_S4_PS3_21rocsparse_index_base_b, .Lfunc_end75-_ZN9rocsparseL23gebsrmvn_general_kernelILj32ELj32EfEEvi20rocsparse_direction_NS_24const_host_device_scalarIT1_EEPKiS6_PKS3_iiS8_S4_PS3_21rocsparse_index_base_b
                                        ; -- End function
	.set _ZN9rocsparseL23gebsrmvn_general_kernelILj32ELj32EfEEvi20rocsparse_direction_NS_24const_host_device_scalarIT1_EEPKiS6_PKS3_iiS8_S4_PS3_21rocsparse_index_base_b.num_vgpr, 15
	.set _ZN9rocsparseL23gebsrmvn_general_kernelILj32ELj32EfEEvi20rocsparse_direction_NS_24const_host_device_scalarIT1_EEPKiS6_PKS3_iiS8_S4_PS3_21rocsparse_index_base_b.num_agpr, 0
	.set _ZN9rocsparseL23gebsrmvn_general_kernelILj32ELj32EfEEvi20rocsparse_direction_NS_24const_host_device_scalarIT1_EEPKiS6_PKS3_iiS8_S4_PS3_21rocsparse_index_base_b.numbered_sgpr, 28
	.set _ZN9rocsparseL23gebsrmvn_general_kernelILj32ELj32EfEEvi20rocsparse_direction_NS_24const_host_device_scalarIT1_EEPKiS6_PKS3_iiS8_S4_PS3_21rocsparse_index_base_b.num_named_barrier, 0
	.set _ZN9rocsparseL23gebsrmvn_general_kernelILj32ELj32EfEEvi20rocsparse_direction_NS_24const_host_device_scalarIT1_EEPKiS6_PKS3_iiS8_S4_PS3_21rocsparse_index_base_b.private_seg_size, 0
	.set _ZN9rocsparseL23gebsrmvn_general_kernelILj32ELj32EfEEvi20rocsparse_direction_NS_24const_host_device_scalarIT1_EEPKiS6_PKS3_iiS8_S4_PS3_21rocsparse_index_base_b.uses_vcc, 1
	.set _ZN9rocsparseL23gebsrmvn_general_kernelILj32ELj32EfEEvi20rocsparse_direction_NS_24const_host_device_scalarIT1_EEPKiS6_PKS3_iiS8_S4_PS3_21rocsparse_index_base_b.uses_flat_scratch, 0
	.set _ZN9rocsparseL23gebsrmvn_general_kernelILj32ELj32EfEEvi20rocsparse_direction_NS_24const_host_device_scalarIT1_EEPKiS6_PKS3_iiS8_S4_PS3_21rocsparse_index_base_b.has_dyn_sized_stack, 0
	.set _ZN9rocsparseL23gebsrmvn_general_kernelILj32ELj32EfEEvi20rocsparse_direction_NS_24const_host_device_scalarIT1_EEPKiS6_PKS3_iiS8_S4_PS3_21rocsparse_index_base_b.has_recursion, 0
	.set _ZN9rocsparseL23gebsrmvn_general_kernelILj32ELj32EfEEvi20rocsparse_direction_NS_24const_host_device_scalarIT1_EEPKiS6_PKS3_iiS8_S4_PS3_21rocsparse_index_base_b.has_indirect_call, 0
	.section	.AMDGPU.csdata,"",@progbits
; Kernel info:
; codeLenInByte = 896
; TotalNumSgprs: 30
; NumVgprs: 15
; ScratchSize: 0
; MemoryBound: 0
; FloatMode: 240
; IeeeMode: 1
; LDSByteSize: 0 bytes/workgroup (compile time only)
; SGPRBlocks: 0
; VGPRBlocks: 0
; NumSGPRsForWavesPerEU: 30
; NumVGPRsForWavesPerEU: 15
; NamedBarCnt: 0
; Occupancy: 16
; WaveLimiterHint : 1
; COMPUTE_PGM_RSRC2:SCRATCH_EN: 0
; COMPUTE_PGM_RSRC2:USER_SGPR: 2
; COMPUTE_PGM_RSRC2:TRAP_HANDLER: 0
; COMPUTE_PGM_RSRC2:TGID_X_EN: 1
; COMPUTE_PGM_RSRC2:TGID_Y_EN: 0
; COMPUTE_PGM_RSRC2:TGID_Z_EN: 0
; COMPUTE_PGM_RSRC2:TIDIG_COMP_CNT: 0
	.section	.text._ZN9rocsparseL19gebsrmvn_2xn_kernelILj128ELj1ELj4EdEEvi20rocsparse_direction_NS_24const_host_device_scalarIT2_EEPKiS6_PKS3_S8_S4_PS3_21rocsparse_index_base_b,"axG",@progbits,_ZN9rocsparseL19gebsrmvn_2xn_kernelILj128ELj1ELj4EdEEvi20rocsparse_direction_NS_24const_host_device_scalarIT2_EEPKiS6_PKS3_S8_S4_PS3_21rocsparse_index_base_b,comdat
	.globl	_ZN9rocsparseL19gebsrmvn_2xn_kernelILj128ELj1ELj4EdEEvi20rocsparse_direction_NS_24const_host_device_scalarIT2_EEPKiS6_PKS3_S8_S4_PS3_21rocsparse_index_base_b ; -- Begin function _ZN9rocsparseL19gebsrmvn_2xn_kernelILj128ELj1ELj4EdEEvi20rocsparse_direction_NS_24const_host_device_scalarIT2_EEPKiS6_PKS3_S8_S4_PS3_21rocsparse_index_base_b
	.p2align	8
	.type	_ZN9rocsparseL19gebsrmvn_2xn_kernelILj128ELj1ELj4EdEEvi20rocsparse_direction_NS_24const_host_device_scalarIT2_EEPKiS6_PKS3_S8_S4_PS3_21rocsparse_index_base_b,@function
_ZN9rocsparseL19gebsrmvn_2xn_kernelILj128ELj1ELj4EdEEvi20rocsparse_direction_NS_24const_host_device_scalarIT2_EEPKiS6_PKS3_S8_S4_PS3_21rocsparse_index_base_b: ; @_ZN9rocsparseL19gebsrmvn_2xn_kernelILj128ELj1ELj4EdEEvi20rocsparse_direction_NS_24const_host_device_scalarIT2_EEPKiS6_PKS3_S8_S4_PS3_21rocsparse_index_base_b
; %bb.0:
	s_clause 0x2
	s_load_b64 s[12:13], s[0:1], 0x40
	s_load_b64 s[4:5], s[0:1], 0x8
	;; [unrolled: 1-line block ×3, first 2 shown]
	s_wait_kmcnt 0x0
	s_bitcmp1_b32 s13, 0
	v_mov_b64_e32 v[2:3], s[4:5]
	s_cselect_b32 s6, -1, 0
	s_delay_alu instid0(SALU_CYCLE_1)
	s_and_b32 vcc_lo, exec_lo, s6
	s_xor_b32 s6, s6, -1
	s_cbranch_vccnz .LBB76_2
; %bb.1:
	v_mov_b32_e32 v1, 0
	flat_load_b64 v[2:3], v1, s[4:5]
.LBB76_2:
	v_mov_b64_e32 v[4:5], s[2:3]
	s_and_not1_b32 vcc_lo, exec_lo, s6
	s_cbranch_vccnz .LBB76_4
; %bb.3:
	s_wait_xcnt 0x0
	v_mov_b32_e32 v1, 0
	flat_load_b64 v[4:5], v1, s[2:3]
.LBB76_4:
	s_wait_loadcnt_dscnt 0x0
	v_cmp_neq_f64_e32 vcc_lo, 0, v[2:3]
	s_delay_alu instid0(VALU_DEP_2) | instskip(SKIP_1) | instid1(SALU_CYCLE_1)
	v_cmp_neq_f64_e64 s2, 1.0, v[4:5]
	s_or_b32 s2, vcc_lo, s2
	s_and_saveexec_b32 s3, s2
	s_cbranch_execz .LBB76_23
; %bb.5:
	s_load_b64 s[2:3], s[0:1], 0x0
	s_bfe_u32 s4, ttmp6, 0x4000c
	s_and_b32 s5, ttmp6, 15
	s_add_co_i32 s4, s4, 1
	s_getreg_b32 s6, hwreg(HW_REG_IB_STS2, 6, 4)
	s_mul_i32 s4, ttmp9, s4
	v_lshrrev_b32_e32 v1, 2, v0
	s_add_co_i32 s5, s5, s4
	s_cmp_eq_u32 s6, 0
	s_cselect_b32 s4, ttmp9, s5
	s_delay_alu instid0(VALU_DEP_1) | instid1(SALU_CYCLE_1)
	v_lshl_or_b32 v6, s4, 5, v1
	s_wait_kmcnt 0x0
	s_delay_alu instid0(VALU_DEP_1)
	v_cmp_gt_i32_e32 vcc_lo, s2, v6
	s_and_b32 exec_lo, exec_lo, vcc_lo
	s_cbranch_execz .LBB76_23
; %bb.6:
	s_load_b256 s[4:11], s[0:1], 0x10
	v_ashrrev_i32_e32 v7, 31, v6
	s_cmp_lg_u32 s3, 0
	s_wait_kmcnt 0x0
	s_delay_alu instid0(VALU_DEP_1)
	v_lshl_add_u64 v[8:9], v[6:7], 2, s[4:5]
	v_and_b32_e32 v7, 3, v0
	global_load_b64 v[8:9], v[8:9], off
	s_wait_loadcnt 0x0
	v_subrev_nc_u32_e32 v0, s12, v8
	v_subrev_nc_u32_e32 v12, s12, v9
	s_delay_alu instid0(VALU_DEP_2) | instskip(NEXT) | instid1(VALU_DEP_1)
	v_add_nc_u32_e32 v13, v0, v7
	v_cmp_lt_i32_e64 s2, v13, v12
	s_cbranch_scc0 .LBB76_12
; %bb.7:
	v_mov_b64_e32 v[0:1], 0
	v_mov_b64_e32 v[8:9], 0
	s_and_saveexec_b32 s3, s2
	s_cbranch_execz .LBB76_11
; %bb.8:
	v_mov_b64_e32 v[0:1], 0
	v_mov_b64_e32 v[8:9], 0
	v_dual_mov_b32 v11, 0 :: v_dual_lshlrev_b32 v10, 1, v13
	v_mov_b32_e32 v14, v13
	s_mov_b32 s4, 0
.LBB76_9:                               ; =>This Inner Loop Header: Depth=1
	global_load_b32 v15, v14, s[6:7] scale_offset
	v_lshl_add_u64 v[20:21], v[10:11], 3, s[8:9]
	s_wait_xcnt 0x0
	v_add_nc_u32_e32 v14, 4, v14
	v_add_nc_u32_e32 v10, 8, v10
	s_delay_alu instid0(VALU_DEP_2)
	v_cmp_ge_i32_e32 vcc_lo, v14, v12
	s_or_b32 s4, vcc_lo, s4
	s_wait_loadcnt 0x0
	v_subrev_nc_u32_e32 v15, s12, v15
	global_load_b128 v[16:19], v[20:21], off
	global_load_b64 v[22:23], v15, s[10:11] scale_offset
	s_wait_loadcnt 0x0
	v_fmac_f64_e32 v[0:1], v[16:17], v[22:23]
	v_fmac_f64_e32 v[8:9], v[18:19], v[22:23]
	s_and_not1_b32 exec_lo, exec_lo, s4
	s_cbranch_execnz .LBB76_9
; %bb.10:
	s_or_b32 exec_lo, exec_lo, s4
.LBB76_11:
	s_delay_alu instid0(SALU_CYCLE_1)
	s_or_b32 exec_lo, exec_lo, s3
	s_cbranch_execz .LBB76_13
	s_branch .LBB76_18
.LBB76_12:
                                        ; implicit-def: $vgpr0_vgpr1
                                        ; implicit-def: $vgpr8_vgpr9
.LBB76_13:
	v_mov_b64_e32 v[0:1], 0
	v_mov_b64_e32 v[8:9], 0
	s_and_saveexec_b32 s3, s2
	s_cbranch_execz .LBB76_17
; %bb.14:
	v_mov_b64_e32 v[0:1], 0
	v_mov_b64_e32 v[8:9], 0
	v_dual_mov_b32 v11, 0 :: v_dual_lshlrev_b32 v10, 1, v13
	s_mov_b32 s2, 0
.LBB76_15:                              ; =>This Inner Loop Header: Depth=1
	global_load_b32 v14, v13, s[6:7] scale_offset
	v_lshl_add_u64 v[18:19], v[10:11], 3, s[8:9]
	s_wait_xcnt 0x0
	v_dual_add_nc_u32 v13, 4, v13 :: v_dual_add_nc_u32 v10, 8, v10
	s_delay_alu instid0(VALU_DEP_1)
	v_cmp_ge_i32_e32 vcc_lo, v13, v12
	s_or_b32 s2, vcc_lo, s2
	s_wait_loadcnt 0x0
	v_subrev_nc_u32_e32 v22, s12, v14
	global_load_b128 v[14:17], v[18:19], off
	global_load_b64 v[20:21], v22, s[10:11] scale_offset
	s_wait_loadcnt 0x0
	v_fmac_f64_e32 v[0:1], v[14:15], v[20:21]
	v_fmac_f64_e32 v[8:9], v[16:17], v[20:21]
	s_and_not1_b32 exec_lo, exec_lo, s2
	s_cbranch_execnz .LBB76_15
; %bb.16:
	s_or_b32 exec_lo, exec_lo, s2
.LBB76_17:
	s_delay_alu instid0(SALU_CYCLE_1)
	s_or_b32 exec_lo, exec_lo, s3
.LBB76_18:
	v_mbcnt_lo_u32_b32 v14, -1, 0
	s_delay_alu instid0(VALU_DEP_1) | instskip(NEXT) | instid1(VALU_DEP_1)
	v_xor_b32_e32 v10, 2, v14
	v_cmp_gt_i32_e32 vcc_lo, 32, v10
	v_cndmask_b32_e32 v10, v14, v10, vcc_lo
	s_delay_alu instid0(VALU_DEP_1)
	v_lshlrev_b32_e32 v13, 2, v10
	ds_bpermute_b32 v10, v13, v0
	ds_bpermute_b32 v11, v13, v1
	;; [unrolled: 1-line block ×4, first 2 shown]
	s_wait_dscnt 0x2
	v_add_f64_e32 v[0:1], v[0:1], v[10:11]
	s_wait_dscnt 0x0
	v_dual_add_f64 v[10:11], v[8:9], v[12:13] :: v_dual_bitop2_b32 v8, 1, v14 bitop3:0x14
	s_delay_alu instid0(VALU_DEP_1) | instskip(SKIP_2) | instid1(VALU_DEP_2)
	v_cmp_gt_i32_e32 vcc_lo, 32, v8
	v_cndmask_b32_e32 v8, v14, v8, vcc_lo
	v_cmp_eq_u32_e32 vcc_lo, 3, v7
	v_lshlrev_b32_e32 v13, 2, v8
	ds_bpermute_b32 v8, v13, v0
	ds_bpermute_b32 v9, v13, v1
	;; [unrolled: 1-line block ×4, first 2 shown]
	s_and_b32 exec_lo, exec_lo, vcc_lo
	s_cbranch_execz .LBB76_23
; %bb.19:
	s_wait_dscnt 0x2
	v_add_f64_e32 v[8:9], v[0:1], v[8:9]
	s_wait_dscnt 0x0
	v_add_f64_e32 v[0:1], v[10:11], v[12:13]
	s_load_b64 s[0:1], s[0:1], 0x38
	s_mov_b32 s2, exec_lo
	v_cmpx_eq_f64_e32 0, v[4:5]
	s_xor_b32 s2, exec_lo, s2
	s_cbranch_execz .LBB76_21
; %bb.20:
	s_delay_alu instid0(VALU_DEP_3) | instskip(NEXT) | instid1(VALU_DEP_3)
	v_mul_f64_e32 v[8:9], v[2:3], v[8:9]
	v_dual_mul_f64 v[10:11], v[2:3], v[0:1] :: v_dual_lshlrev_b32 v0, 1, v6
                                        ; implicit-def: $vgpr6
                                        ; implicit-def: $vgpr2_vgpr3
                                        ; implicit-def: $vgpr4_vgpr5
	s_delay_alu instid0(VALU_DEP_1) | instskip(SKIP_1) | instid1(VALU_DEP_1)
	v_ashrrev_i32_e32 v1, 31, v0
	s_wait_kmcnt 0x0
	v_lshl_add_u64 v[0:1], v[0:1], 3, s[0:1]
	global_store_b128 v[0:1], v[8:11], off
                                        ; implicit-def: $vgpr8_vgpr9
                                        ; implicit-def: $vgpr0_vgpr1
.LBB76_21:
	s_wait_xcnt 0x0
	s_and_not1_saveexec_b32 s2, s2
	s_cbranch_execz .LBB76_23
; %bb.22:
	v_lshlrev_b32_e32 v6, 1, v6
	s_delay_alu instid0(VALU_DEP_1) | instskip(SKIP_1) | instid1(VALU_DEP_1)
	v_ashrrev_i32_e32 v7, 31, v6
	s_wait_kmcnt 0x0
	v_lshl_add_u64 v[14:15], v[6:7], 3, s[0:1]
	v_mul_f64_e32 v[6:7], v[2:3], v[8:9]
	v_mul_f64_e32 v[8:9], v[2:3], v[0:1]
	global_load_b128 v[10:13], v[14:15], off
	s_wait_loadcnt 0x0
	v_fmac_f64_e32 v[6:7], v[4:5], v[10:11]
	v_fmac_f64_e32 v[8:9], v[4:5], v[12:13]
	global_store_b128 v[14:15], v[6:9], off
.LBB76_23:
	s_endpgm
	.section	.rodata,"a",@progbits
	.p2align	6, 0x0
	.amdhsa_kernel _ZN9rocsparseL19gebsrmvn_2xn_kernelILj128ELj1ELj4EdEEvi20rocsparse_direction_NS_24const_host_device_scalarIT2_EEPKiS6_PKS3_S8_S4_PS3_21rocsparse_index_base_b
		.amdhsa_group_segment_fixed_size 0
		.amdhsa_private_segment_fixed_size 0
		.amdhsa_kernarg_size 72
		.amdhsa_user_sgpr_count 2
		.amdhsa_user_sgpr_dispatch_ptr 0
		.amdhsa_user_sgpr_queue_ptr 0
		.amdhsa_user_sgpr_kernarg_segment_ptr 1
		.amdhsa_user_sgpr_dispatch_id 0
		.amdhsa_user_sgpr_kernarg_preload_length 0
		.amdhsa_user_sgpr_kernarg_preload_offset 0
		.amdhsa_user_sgpr_private_segment_size 0
		.amdhsa_wavefront_size32 1
		.amdhsa_uses_dynamic_stack 0
		.amdhsa_enable_private_segment 0
		.amdhsa_system_sgpr_workgroup_id_x 1
		.amdhsa_system_sgpr_workgroup_id_y 0
		.amdhsa_system_sgpr_workgroup_id_z 0
		.amdhsa_system_sgpr_workgroup_info 0
		.amdhsa_system_vgpr_workitem_id 0
		.amdhsa_next_free_vgpr 24
		.amdhsa_next_free_sgpr 14
		.amdhsa_named_barrier_count 0
		.amdhsa_reserve_vcc 1
		.amdhsa_float_round_mode_32 0
		.amdhsa_float_round_mode_16_64 0
		.amdhsa_float_denorm_mode_32 3
		.amdhsa_float_denorm_mode_16_64 3
		.amdhsa_fp16_overflow 0
		.amdhsa_memory_ordered 1
		.amdhsa_forward_progress 1
		.amdhsa_inst_pref_size 8
		.amdhsa_round_robin_scheduling 0
		.amdhsa_exception_fp_ieee_invalid_op 0
		.amdhsa_exception_fp_denorm_src 0
		.amdhsa_exception_fp_ieee_div_zero 0
		.amdhsa_exception_fp_ieee_overflow 0
		.amdhsa_exception_fp_ieee_underflow 0
		.amdhsa_exception_fp_ieee_inexact 0
		.amdhsa_exception_int_div_zero 0
	.end_amdhsa_kernel
	.section	.text._ZN9rocsparseL19gebsrmvn_2xn_kernelILj128ELj1ELj4EdEEvi20rocsparse_direction_NS_24const_host_device_scalarIT2_EEPKiS6_PKS3_S8_S4_PS3_21rocsparse_index_base_b,"axG",@progbits,_ZN9rocsparseL19gebsrmvn_2xn_kernelILj128ELj1ELj4EdEEvi20rocsparse_direction_NS_24const_host_device_scalarIT2_EEPKiS6_PKS3_S8_S4_PS3_21rocsparse_index_base_b,comdat
.Lfunc_end76:
	.size	_ZN9rocsparseL19gebsrmvn_2xn_kernelILj128ELj1ELj4EdEEvi20rocsparse_direction_NS_24const_host_device_scalarIT2_EEPKiS6_PKS3_S8_S4_PS3_21rocsparse_index_base_b, .Lfunc_end76-_ZN9rocsparseL19gebsrmvn_2xn_kernelILj128ELj1ELj4EdEEvi20rocsparse_direction_NS_24const_host_device_scalarIT2_EEPKiS6_PKS3_S8_S4_PS3_21rocsparse_index_base_b
                                        ; -- End function
	.set _ZN9rocsparseL19gebsrmvn_2xn_kernelILj128ELj1ELj4EdEEvi20rocsparse_direction_NS_24const_host_device_scalarIT2_EEPKiS6_PKS3_S8_S4_PS3_21rocsparse_index_base_b.num_vgpr, 24
	.set _ZN9rocsparseL19gebsrmvn_2xn_kernelILj128ELj1ELj4EdEEvi20rocsparse_direction_NS_24const_host_device_scalarIT2_EEPKiS6_PKS3_S8_S4_PS3_21rocsparse_index_base_b.num_agpr, 0
	.set _ZN9rocsparseL19gebsrmvn_2xn_kernelILj128ELj1ELj4EdEEvi20rocsparse_direction_NS_24const_host_device_scalarIT2_EEPKiS6_PKS3_S8_S4_PS3_21rocsparse_index_base_b.numbered_sgpr, 14
	.set _ZN9rocsparseL19gebsrmvn_2xn_kernelILj128ELj1ELj4EdEEvi20rocsparse_direction_NS_24const_host_device_scalarIT2_EEPKiS6_PKS3_S8_S4_PS3_21rocsparse_index_base_b.num_named_barrier, 0
	.set _ZN9rocsparseL19gebsrmvn_2xn_kernelILj128ELj1ELj4EdEEvi20rocsparse_direction_NS_24const_host_device_scalarIT2_EEPKiS6_PKS3_S8_S4_PS3_21rocsparse_index_base_b.private_seg_size, 0
	.set _ZN9rocsparseL19gebsrmvn_2xn_kernelILj128ELj1ELj4EdEEvi20rocsparse_direction_NS_24const_host_device_scalarIT2_EEPKiS6_PKS3_S8_S4_PS3_21rocsparse_index_base_b.uses_vcc, 1
	.set _ZN9rocsparseL19gebsrmvn_2xn_kernelILj128ELj1ELj4EdEEvi20rocsparse_direction_NS_24const_host_device_scalarIT2_EEPKiS6_PKS3_S8_S4_PS3_21rocsparse_index_base_b.uses_flat_scratch, 0
	.set _ZN9rocsparseL19gebsrmvn_2xn_kernelILj128ELj1ELj4EdEEvi20rocsparse_direction_NS_24const_host_device_scalarIT2_EEPKiS6_PKS3_S8_S4_PS3_21rocsparse_index_base_b.has_dyn_sized_stack, 0
	.set _ZN9rocsparseL19gebsrmvn_2xn_kernelILj128ELj1ELj4EdEEvi20rocsparse_direction_NS_24const_host_device_scalarIT2_EEPKiS6_PKS3_S8_S4_PS3_21rocsparse_index_base_b.has_recursion, 0
	.set _ZN9rocsparseL19gebsrmvn_2xn_kernelILj128ELj1ELj4EdEEvi20rocsparse_direction_NS_24const_host_device_scalarIT2_EEPKiS6_PKS3_S8_S4_PS3_21rocsparse_index_base_b.has_indirect_call, 0
	.section	.AMDGPU.csdata,"",@progbits
; Kernel info:
; codeLenInByte = 928
; TotalNumSgprs: 16
; NumVgprs: 24
; ScratchSize: 0
; MemoryBound: 0
; FloatMode: 240
; IeeeMode: 1
; LDSByteSize: 0 bytes/workgroup (compile time only)
; SGPRBlocks: 0
; VGPRBlocks: 1
; NumSGPRsForWavesPerEU: 16
; NumVGPRsForWavesPerEU: 24
; NamedBarCnt: 0
; Occupancy: 16
; WaveLimiterHint : 1
; COMPUTE_PGM_RSRC2:SCRATCH_EN: 0
; COMPUTE_PGM_RSRC2:USER_SGPR: 2
; COMPUTE_PGM_RSRC2:TRAP_HANDLER: 0
; COMPUTE_PGM_RSRC2:TGID_X_EN: 1
; COMPUTE_PGM_RSRC2:TGID_Y_EN: 0
; COMPUTE_PGM_RSRC2:TGID_Z_EN: 0
; COMPUTE_PGM_RSRC2:TIDIG_COMP_CNT: 0
	.section	.text._ZN9rocsparseL19gebsrmvn_2xn_kernelILj128ELj1ELj8EdEEvi20rocsparse_direction_NS_24const_host_device_scalarIT2_EEPKiS6_PKS3_S8_S4_PS3_21rocsparse_index_base_b,"axG",@progbits,_ZN9rocsparseL19gebsrmvn_2xn_kernelILj128ELj1ELj8EdEEvi20rocsparse_direction_NS_24const_host_device_scalarIT2_EEPKiS6_PKS3_S8_S4_PS3_21rocsparse_index_base_b,comdat
	.globl	_ZN9rocsparseL19gebsrmvn_2xn_kernelILj128ELj1ELj8EdEEvi20rocsparse_direction_NS_24const_host_device_scalarIT2_EEPKiS6_PKS3_S8_S4_PS3_21rocsparse_index_base_b ; -- Begin function _ZN9rocsparseL19gebsrmvn_2xn_kernelILj128ELj1ELj8EdEEvi20rocsparse_direction_NS_24const_host_device_scalarIT2_EEPKiS6_PKS3_S8_S4_PS3_21rocsparse_index_base_b
	.p2align	8
	.type	_ZN9rocsparseL19gebsrmvn_2xn_kernelILj128ELj1ELj8EdEEvi20rocsparse_direction_NS_24const_host_device_scalarIT2_EEPKiS6_PKS3_S8_S4_PS3_21rocsparse_index_base_b,@function
_ZN9rocsparseL19gebsrmvn_2xn_kernelILj128ELj1ELj8EdEEvi20rocsparse_direction_NS_24const_host_device_scalarIT2_EEPKiS6_PKS3_S8_S4_PS3_21rocsparse_index_base_b: ; @_ZN9rocsparseL19gebsrmvn_2xn_kernelILj128ELj1ELj8EdEEvi20rocsparse_direction_NS_24const_host_device_scalarIT2_EEPKiS6_PKS3_S8_S4_PS3_21rocsparse_index_base_b
; %bb.0:
	s_clause 0x2
	s_load_b64 s[12:13], s[0:1], 0x40
	s_load_b64 s[4:5], s[0:1], 0x8
	;; [unrolled: 1-line block ×3, first 2 shown]
	s_wait_kmcnt 0x0
	s_bitcmp1_b32 s13, 0
	v_mov_b64_e32 v[2:3], s[4:5]
	s_cselect_b32 s6, -1, 0
	s_delay_alu instid0(SALU_CYCLE_1)
	s_and_b32 vcc_lo, exec_lo, s6
	s_xor_b32 s6, s6, -1
	s_cbranch_vccnz .LBB77_2
; %bb.1:
	v_mov_b32_e32 v1, 0
	flat_load_b64 v[2:3], v1, s[4:5]
.LBB77_2:
	v_mov_b64_e32 v[4:5], s[2:3]
	s_and_not1_b32 vcc_lo, exec_lo, s6
	s_cbranch_vccnz .LBB77_4
; %bb.3:
	s_wait_xcnt 0x0
	v_mov_b32_e32 v1, 0
	flat_load_b64 v[4:5], v1, s[2:3]
.LBB77_4:
	s_wait_loadcnt_dscnt 0x0
	v_cmp_neq_f64_e32 vcc_lo, 0, v[2:3]
	s_delay_alu instid0(VALU_DEP_2) | instskip(SKIP_1) | instid1(SALU_CYCLE_1)
	v_cmp_neq_f64_e64 s2, 1.0, v[4:5]
	s_or_b32 s2, vcc_lo, s2
	s_and_saveexec_b32 s3, s2
	s_cbranch_execz .LBB77_23
; %bb.5:
	s_load_b64 s[2:3], s[0:1], 0x0
	s_bfe_u32 s4, ttmp6, 0x4000c
	s_and_b32 s5, ttmp6, 15
	s_add_co_i32 s4, s4, 1
	s_getreg_b32 s6, hwreg(HW_REG_IB_STS2, 6, 4)
	s_mul_i32 s4, ttmp9, s4
	v_lshrrev_b32_e32 v1, 3, v0
	s_add_co_i32 s5, s5, s4
	s_cmp_eq_u32 s6, 0
	s_cselect_b32 s4, ttmp9, s5
	s_delay_alu instid0(VALU_DEP_1) | instid1(SALU_CYCLE_1)
	v_lshl_or_b32 v6, s4, 4, v1
	s_wait_kmcnt 0x0
	s_delay_alu instid0(VALU_DEP_1)
	v_cmp_gt_i32_e32 vcc_lo, s2, v6
	s_and_b32 exec_lo, exec_lo, vcc_lo
	s_cbranch_execz .LBB77_23
; %bb.6:
	s_load_b256 s[4:11], s[0:1], 0x10
	v_ashrrev_i32_e32 v7, 31, v6
	s_cmp_lg_u32 s3, 0
	s_wait_kmcnt 0x0
	s_delay_alu instid0(VALU_DEP_1)
	v_lshl_add_u64 v[8:9], v[6:7], 2, s[4:5]
	v_and_b32_e32 v7, 7, v0
	global_load_b64 v[8:9], v[8:9], off
	s_wait_loadcnt 0x0
	v_subrev_nc_u32_e32 v0, s12, v8
	v_subrev_nc_u32_e32 v12, s12, v9
	s_delay_alu instid0(VALU_DEP_2) | instskip(NEXT) | instid1(VALU_DEP_1)
	v_add_nc_u32_e32 v13, v0, v7
	v_cmp_lt_i32_e64 s2, v13, v12
	s_cbranch_scc0 .LBB77_12
; %bb.7:
	v_mov_b64_e32 v[0:1], 0
	v_mov_b64_e32 v[8:9], 0
	s_and_saveexec_b32 s3, s2
	s_cbranch_execz .LBB77_11
; %bb.8:
	v_mov_b64_e32 v[0:1], 0
	v_mov_b64_e32 v[8:9], 0
	v_dual_mov_b32 v11, 0 :: v_dual_lshlrev_b32 v10, 1, v13
	v_mov_b32_e32 v14, v13
	s_mov_b32 s4, 0
.LBB77_9:                               ; =>This Inner Loop Header: Depth=1
	global_load_b32 v15, v14, s[6:7] scale_offset
	v_lshl_add_u64 v[20:21], v[10:11], 3, s[8:9]
	s_wait_xcnt 0x0
	v_add_nc_u32_e32 v14, 8, v14
	v_add_nc_u32_e32 v10, 16, v10
	s_delay_alu instid0(VALU_DEP_2)
	v_cmp_ge_i32_e32 vcc_lo, v14, v12
	s_or_b32 s4, vcc_lo, s4
	s_wait_loadcnt 0x0
	v_subrev_nc_u32_e32 v15, s12, v15
	global_load_b128 v[16:19], v[20:21], off
	global_load_b64 v[22:23], v15, s[10:11] scale_offset
	s_wait_loadcnt 0x0
	v_fmac_f64_e32 v[0:1], v[16:17], v[22:23]
	v_fmac_f64_e32 v[8:9], v[18:19], v[22:23]
	s_and_not1_b32 exec_lo, exec_lo, s4
	s_cbranch_execnz .LBB77_9
; %bb.10:
	s_or_b32 exec_lo, exec_lo, s4
.LBB77_11:
	s_delay_alu instid0(SALU_CYCLE_1)
	s_or_b32 exec_lo, exec_lo, s3
	s_cbranch_execz .LBB77_13
	s_branch .LBB77_18
.LBB77_12:
                                        ; implicit-def: $vgpr0_vgpr1
                                        ; implicit-def: $vgpr8_vgpr9
.LBB77_13:
	v_mov_b64_e32 v[0:1], 0
	v_mov_b64_e32 v[8:9], 0
	s_and_saveexec_b32 s3, s2
	s_cbranch_execz .LBB77_17
; %bb.14:
	v_mov_b64_e32 v[0:1], 0
	v_mov_b64_e32 v[8:9], 0
	v_dual_mov_b32 v11, 0 :: v_dual_lshlrev_b32 v10, 1, v13
	s_mov_b32 s2, 0
.LBB77_15:                              ; =>This Inner Loop Header: Depth=1
	global_load_b32 v14, v13, s[6:7] scale_offset
	v_lshl_add_u64 v[18:19], v[10:11], 3, s[8:9]
	s_wait_xcnt 0x0
	v_dual_add_nc_u32 v13, 8, v13 :: v_dual_add_nc_u32 v10, 16, v10
	s_delay_alu instid0(VALU_DEP_1)
	v_cmp_ge_i32_e32 vcc_lo, v13, v12
	s_or_b32 s2, vcc_lo, s2
	s_wait_loadcnt 0x0
	v_subrev_nc_u32_e32 v22, s12, v14
	global_load_b128 v[14:17], v[18:19], off
	global_load_b64 v[20:21], v22, s[10:11] scale_offset
	s_wait_loadcnt 0x0
	v_fmac_f64_e32 v[0:1], v[14:15], v[20:21]
	v_fmac_f64_e32 v[8:9], v[16:17], v[20:21]
	s_and_not1_b32 exec_lo, exec_lo, s2
	s_cbranch_execnz .LBB77_15
; %bb.16:
	s_or_b32 exec_lo, exec_lo, s2
.LBB77_17:
	s_delay_alu instid0(SALU_CYCLE_1)
	s_or_b32 exec_lo, exec_lo, s3
.LBB77_18:
	v_mbcnt_lo_u32_b32 v14, -1, 0
	s_delay_alu instid0(VALU_DEP_1) | instskip(NEXT) | instid1(VALU_DEP_1)
	v_xor_b32_e32 v10, 4, v14
	v_cmp_gt_i32_e32 vcc_lo, 32, v10
	v_cndmask_b32_e32 v10, v14, v10, vcc_lo
	s_delay_alu instid0(VALU_DEP_1)
	v_lshlrev_b32_e32 v13, 2, v10
	ds_bpermute_b32 v10, v13, v0
	ds_bpermute_b32 v11, v13, v1
	s_wait_dscnt 0x0
	v_add_f64_e32 v[0:1], v[0:1], v[10:11]
	v_xor_b32_e32 v10, 2, v14
	s_delay_alu instid0(VALU_DEP_1)
	v_cmp_gt_i32_e32 vcc_lo, 32, v10
	v_cndmask_b32_e32 v10, v14, v10, vcc_lo
	ds_bpermute_b32 v12, v13, v8
	ds_bpermute_b32 v13, v13, v9
	s_wait_dscnt 0x0
	v_dual_add_f64 v[8:9], v[8:9], v[12:13] :: v_dual_lshlrev_b32 v13, 2, v10
	ds_bpermute_b32 v10, v13, v0
	ds_bpermute_b32 v11, v13, v1
	s_wait_dscnt 0x0
	v_add_f64_e32 v[0:1], v[0:1], v[10:11]
	ds_bpermute_b32 v12, v13, v8
	ds_bpermute_b32 v13, v13, v9
	s_wait_dscnt 0x0
	v_dual_add_f64 v[10:11], v[8:9], v[12:13] :: v_dual_bitop2_b32 v8, 1, v14 bitop3:0x14
	s_delay_alu instid0(VALU_DEP_1) | instskip(SKIP_2) | instid1(VALU_DEP_2)
	v_cmp_gt_i32_e32 vcc_lo, 32, v8
	v_cndmask_b32_e32 v8, v14, v8, vcc_lo
	v_cmp_eq_u32_e32 vcc_lo, 7, v7
	v_lshlrev_b32_e32 v13, 2, v8
	ds_bpermute_b32 v8, v13, v0
	ds_bpermute_b32 v9, v13, v1
	;; [unrolled: 1-line block ×4, first 2 shown]
	s_and_b32 exec_lo, exec_lo, vcc_lo
	s_cbranch_execz .LBB77_23
; %bb.19:
	s_wait_dscnt 0x2
	v_add_f64_e32 v[8:9], v[0:1], v[8:9]
	s_wait_dscnt 0x0
	v_add_f64_e32 v[0:1], v[10:11], v[12:13]
	s_load_b64 s[0:1], s[0:1], 0x38
	s_mov_b32 s2, exec_lo
	v_cmpx_eq_f64_e32 0, v[4:5]
	s_xor_b32 s2, exec_lo, s2
	s_cbranch_execz .LBB77_21
; %bb.20:
	s_delay_alu instid0(VALU_DEP_3) | instskip(NEXT) | instid1(VALU_DEP_3)
	v_mul_f64_e32 v[8:9], v[2:3], v[8:9]
	v_dual_mul_f64 v[10:11], v[2:3], v[0:1] :: v_dual_lshlrev_b32 v0, 1, v6
                                        ; implicit-def: $vgpr6
                                        ; implicit-def: $vgpr2_vgpr3
                                        ; implicit-def: $vgpr4_vgpr5
	s_delay_alu instid0(VALU_DEP_1) | instskip(SKIP_1) | instid1(VALU_DEP_1)
	v_ashrrev_i32_e32 v1, 31, v0
	s_wait_kmcnt 0x0
	v_lshl_add_u64 v[0:1], v[0:1], 3, s[0:1]
	global_store_b128 v[0:1], v[8:11], off
                                        ; implicit-def: $vgpr8_vgpr9
                                        ; implicit-def: $vgpr0_vgpr1
.LBB77_21:
	s_wait_xcnt 0x0
	s_and_not1_saveexec_b32 s2, s2
	s_cbranch_execz .LBB77_23
; %bb.22:
	v_lshlrev_b32_e32 v6, 1, v6
	s_delay_alu instid0(VALU_DEP_1) | instskip(SKIP_1) | instid1(VALU_DEP_1)
	v_ashrrev_i32_e32 v7, 31, v6
	s_wait_kmcnt 0x0
	v_lshl_add_u64 v[14:15], v[6:7], 3, s[0:1]
	v_mul_f64_e32 v[6:7], v[2:3], v[8:9]
	v_mul_f64_e32 v[8:9], v[2:3], v[0:1]
	global_load_b128 v[10:13], v[14:15], off
	s_wait_loadcnt 0x0
	v_fmac_f64_e32 v[6:7], v[4:5], v[10:11]
	v_fmac_f64_e32 v[8:9], v[4:5], v[12:13]
	global_store_b128 v[14:15], v[6:9], off
.LBB77_23:
	s_endpgm
	.section	.rodata,"a",@progbits
	.p2align	6, 0x0
	.amdhsa_kernel _ZN9rocsparseL19gebsrmvn_2xn_kernelILj128ELj1ELj8EdEEvi20rocsparse_direction_NS_24const_host_device_scalarIT2_EEPKiS6_PKS3_S8_S4_PS3_21rocsparse_index_base_b
		.amdhsa_group_segment_fixed_size 0
		.amdhsa_private_segment_fixed_size 0
		.amdhsa_kernarg_size 72
		.amdhsa_user_sgpr_count 2
		.amdhsa_user_sgpr_dispatch_ptr 0
		.amdhsa_user_sgpr_queue_ptr 0
		.amdhsa_user_sgpr_kernarg_segment_ptr 1
		.amdhsa_user_sgpr_dispatch_id 0
		.amdhsa_user_sgpr_kernarg_preload_length 0
		.amdhsa_user_sgpr_kernarg_preload_offset 0
		.amdhsa_user_sgpr_private_segment_size 0
		.amdhsa_wavefront_size32 1
		.amdhsa_uses_dynamic_stack 0
		.amdhsa_enable_private_segment 0
		.amdhsa_system_sgpr_workgroup_id_x 1
		.amdhsa_system_sgpr_workgroup_id_y 0
		.amdhsa_system_sgpr_workgroup_id_z 0
		.amdhsa_system_sgpr_workgroup_info 0
		.amdhsa_system_vgpr_workitem_id 0
		.amdhsa_next_free_vgpr 24
		.amdhsa_next_free_sgpr 14
		.amdhsa_named_barrier_count 0
		.amdhsa_reserve_vcc 1
		.amdhsa_float_round_mode_32 0
		.amdhsa_float_round_mode_16_64 0
		.amdhsa_float_denorm_mode_32 3
		.amdhsa_float_denorm_mode_16_64 3
		.amdhsa_fp16_overflow 0
		.amdhsa_memory_ordered 1
		.amdhsa_forward_progress 1
		.amdhsa_inst_pref_size 8
		.amdhsa_round_robin_scheduling 0
		.amdhsa_exception_fp_ieee_invalid_op 0
		.amdhsa_exception_fp_denorm_src 0
		.amdhsa_exception_fp_ieee_div_zero 0
		.amdhsa_exception_fp_ieee_overflow 0
		.amdhsa_exception_fp_ieee_underflow 0
		.amdhsa_exception_fp_ieee_inexact 0
		.amdhsa_exception_int_div_zero 0
	.end_amdhsa_kernel
	.section	.text._ZN9rocsparseL19gebsrmvn_2xn_kernelILj128ELj1ELj8EdEEvi20rocsparse_direction_NS_24const_host_device_scalarIT2_EEPKiS6_PKS3_S8_S4_PS3_21rocsparse_index_base_b,"axG",@progbits,_ZN9rocsparseL19gebsrmvn_2xn_kernelILj128ELj1ELj8EdEEvi20rocsparse_direction_NS_24const_host_device_scalarIT2_EEPKiS6_PKS3_S8_S4_PS3_21rocsparse_index_base_b,comdat
.Lfunc_end77:
	.size	_ZN9rocsparseL19gebsrmvn_2xn_kernelILj128ELj1ELj8EdEEvi20rocsparse_direction_NS_24const_host_device_scalarIT2_EEPKiS6_PKS3_S8_S4_PS3_21rocsparse_index_base_b, .Lfunc_end77-_ZN9rocsparseL19gebsrmvn_2xn_kernelILj128ELj1ELj8EdEEvi20rocsparse_direction_NS_24const_host_device_scalarIT2_EEPKiS6_PKS3_S8_S4_PS3_21rocsparse_index_base_b
                                        ; -- End function
	.set _ZN9rocsparseL19gebsrmvn_2xn_kernelILj128ELj1ELj8EdEEvi20rocsparse_direction_NS_24const_host_device_scalarIT2_EEPKiS6_PKS3_S8_S4_PS3_21rocsparse_index_base_b.num_vgpr, 24
	.set _ZN9rocsparseL19gebsrmvn_2xn_kernelILj128ELj1ELj8EdEEvi20rocsparse_direction_NS_24const_host_device_scalarIT2_EEPKiS6_PKS3_S8_S4_PS3_21rocsparse_index_base_b.num_agpr, 0
	.set _ZN9rocsparseL19gebsrmvn_2xn_kernelILj128ELj1ELj8EdEEvi20rocsparse_direction_NS_24const_host_device_scalarIT2_EEPKiS6_PKS3_S8_S4_PS3_21rocsparse_index_base_b.numbered_sgpr, 14
	.set _ZN9rocsparseL19gebsrmvn_2xn_kernelILj128ELj1ELj8EdEEvi20rocsparse_direction_NS_24const_host_device_scalarIT2_EEPKiS6_PKS3_S8_S4_PS3_21rocsparse_index_base_b.num_named_barrier, 0
	.set _ZN9rocsparseL19gebsrmvn_2xn_kernelILj128ELj1ELj8EdEEvi20rocsparse_direction_NS_24const_host_device_scalarIT2_EEPKiS6_PKS3_S8_S4_PS3_21rocsparse_index_base_b.private_seg_size, 0
	.set _ZN9rocsparseL19gebsrmvn_2xn_kernelILj128ELj1ELj8EdEEvi20rocsparse_direction_NS_24const_host_device_scalarIT2_EEPKiS6_PKS3_S8_S4_PS3_21rocsparse_index_base_b.uses_vcc, 1
	.set _ZN9rocsparseL19gebsrmvn_2xn_kernelILj128ELj1ELj8EdEEvi20rocsparse_direction_NS_24const_host_device_scalarIT2_EEPKiS6_PKS3_S8_S4_PS3_21rocsparse_index_base_b.uses_flat_scratch, 0
	.set _ZN9rocsparseL19gebsrmvn_2xn_kernelILj128ELj1ELj8EdEEvi20rocsparse_direction_NS_24const_host_device_scalarIT2_EEPKiS6_PKS3_S8_S4_PS3_21rocsparse_index_base_b.has_dyn_sized_stack, 0
	.set _ZN9rocsparseL19gebsrmvn_2xn_kernelILj128ELj1ELj8EdEEvi20rocsparse_direction_NS_24const_host_device_scalarIT2_EEPKiS6_PKS3_S8_S4_PS3_21rocsparse_index_base_b.has_recursion, 0
	.set _ZN9rocsparseL19gebsrmvn_2xn_kernelILj128ELj1ELj8EdEEvi20rocsparse_direction_NS_24const_host_device_scalarIT2_EEPKiS6_PKS3_S8_S4_PS3_21rocsparse_index_base_b.has_indirect_call, 0
	.section	.AMDGPU.csdata,"",@progbits
; Kernel info:
; codeLenInByte = 1000
; TotalNumSgprs: 16
; NumVgprs: 24
; ScratchSize: 0
; MemoryBound: 0
; FloatMode: 240
; IeeeMode: 1
; LDSByteSize: 0 bytes/workgroup (compile time only)
; SGPRBlocks: 0
; VGPRBlocks: 1
; NumSGPRsForWavesPerEU: 16
; NumVGPRsForWavesPerEU: 24
; NamedBarCnt: 0
; Occupancy: 16
; WaveLimiterHint : 1
; COMPUTE_PGM_RSRC2:SCRATCH_EN: 0
; COMPUTE_PGM_RSRC2:USER_SGPR: 2
; COMPUTE_PGM_RSRC2:TRAP_HANDLER: 0
; COMPUTE_PGM_RSRC2:TGID_X_EN: 1
; COMPUTE_PGM_RSRC2:TGID_Y_EN: 0
; COMPUTE_PGM_RSRC2:TGID_Z_EN: 0
; COMPUTE_PGM_RSRC2:TIDIG_COMP_CNT: 0
	.section	.text._ZN9rocsparseL19gebsrmvn_2xn_kernelILj128ELj1ELj16EdEEvi20rocsparse_direction_NS_24const_host_device_scalarIT2_EEPKiS6_PKS3_S8_S4_PS3_21rocsparse_index_base_b,"axG",@progbits,_ZN9rocsparseL19gebsrmvn_2xn_kernelILj128ELj1ELj16EdEEvi20rocsparse_direction_NS_24const_host_device_scalarIT2_EEPKiS6_PKS3_S8_S4_PS3_21rocsparse_index_base_b,comdat
	.globl	_ZN9rocsparseL19gebsrmvn_2xn_kernelILj128ELj1ELj16EdEEvi20rocsparse_direction_NS_24const_host_device_scalarIT2_EEPKiS6_PKS3_S8_S4_PS3_21rocsparse_index_base_b ; -- Begin function _ZN9rocsparseL19gebsrmvn_2xn_kernelILj128ELj1ELj16EdEEvi20rocsparse_direction_NS_24const_host_device_scalarIT2_EEPKiS6_PKS3_S8_S4_PS3_21rocsparse_index_base_b
	.p2align	8
	.type	_ZN9rocsparseL19gebsrmvn_2xn_kernelILj128ELj1ELj16EdEEvi20rocsparse_direction_NS_24const_host_device_scalarIT2_EEPKiS6_PKS3_S8_S4_PS3_21rocsparse_index_base_b,@function
_ZN9rocsparseL19gebsrmvn_2xn_kernelILj128ELj1ELj16EdEEvi20rocsparse_direction_NS_24const_host_device_scalarIT2_EEPKiS6_PKS3_S8_S4_PS3_21rocsparse_index_base_b: ; @_ZN9rocsparseL19gebsrmvn_2xn_kernelILj128ELj1ELj16EdEEvi20rocsparse_direction_NS_24const_host_device_scalarIT2_EEPKiS6_PKS3_S8_S4_PS3_21rocsparse_index_base_b
; %bb.0:
	s_clause 0x2
	s_load_b64 s[12:13], s[0:1], 0x40
	s_load_b64 s[4:5], s[0:1], 0x8
	;; [unrolled: 1-line block ×3, first 2 shown]
	s_wait_kmcnt 0x0
	s_bitcmp1_b32 s13, 0
	v_mov_b64_e32 v[2:3], s[4:5]
	s_cselect_b32 s6, -1, 0
	s_delay_alu instid0(SALU_CYCLE_1)
	s_and_b32 vcc_lo, exec_lo, s6
	s_xor_b32 s6, s6, -1
	s_cbranch_vccnz .LBB78_2
; %bb.1:
	v_mov_b32_e32 v1, 0
	flat_load_b64 v[2:3], v1, s[4:5]
.LBB78_2:
	v_mov_b64_e32 v[4:5], s[2:3]
	s_and_not1_b32 vcc_lo, exec_lo, s6
	s_cbranch_vccnz .LBB78_4
; %bb.3:
	s_wait_xcnt 0x0
	v_mov_b32_e32 v1, 0
	flat_load_b64 v[4:5], v1, s[2:3]
.LBB78_4:
	s_wait_loadcnt_dscnt 0x0
	v_cmp_neq_f64_e32 vcc_lo, 0, v[2:3]
	s_delay_alu instid0(VALU_DEP_2) | instskip(SKIP_1) | instid1(SALU_CYCLE_1)
	v_cmp_neq_f64_e64 s2, 1.0, v[4:5]
	s_or_b32 s2, vcc_lo, s2
	s_and_saveexec_b32 s3, s2
	s_cbranch_execz .LBB78_23
; %bb.5:
	s_load_b64 s[2:3], s[0:1], 0x0
	s_bfe_u32 s4, ttmp6, 0x4000c
	s_and_b32 s5, ttmp6, 15
	s_add_co_i32 s4, s4, 1
	s_getreg_b32 s6, hwreg(HW_REG_IB_STS2, 6, 4)
	s_mul_i32 s4, ttmp9, s4
	v_lshrrev_b32_e32 v1, 4, v0
	s_add_co_i32 s5, s5, s4
	s_cmp_eq_u32 s6, 0
	s_cselect_b32 s4, ttmp9, s5
	s_delay_alu instid0(VALU_DEP_1) | instid1(SALU_CYCLE_1)
	v_lshl_or_b32 v6, s4, 3, v1
	s_wait_kmcnt 0x0
	s_delay_alu instid0(VALU_DEP_1)
	v_cmp_gt_i32_e32 vcc_lo, s2, v6
	s_and_b32 exec_lo, exec_lo, vcc_lo
	s_cbranch_execz .LBB78_23
; %bb.6:
	s_load_b256 s[4:11], s[0:1], 0x10
	v_ashrrev_i32_e32 v7, 31, v6
	s_cmp_lg_u32 s3, 0
	s_wait_kmcnt 0x0
	s_delay_alu instid0(VALU_DEP_1)
	v_lshl_add_u64 v[8:9], v[6:7], 2, s[4:5]
	v_and_b32_e32 v7, 15, v0
	global_load_b64 v[8:9], v[8:9], off
	s_wait_loadcnt 0x0
	v_subrev_nc_u32_e32 v0, s12, v8
	v_subrev_nc_u32_e32 v12, s12, v9
	s_delay_alu instid0(VALU_DEP_2) | instskip(NEXT) | instid1(VALU_DEP_1)
	v_add_nc_u32_e32 v13, v0, v7
	v_cmp_lt_i32_e64 s2, v13, v12
	s_cbranch_scc0 .LBB78_12
; %bb.7:
	v_mov_b64_e32 v[0:1], 0
	v_mov_b64_e32 v[8:9], 0
	s_and_saveexec_b32 s3, s2
	s_cbranch_execz .LBB78_11
; %bb.8:
	v_mov_b64_e32 v[0:1], 0
	v_mov_b64_e32 v[8:9], 0
	v_dual_mov_b32 v11, 0 :: v_dual_lshlrev_b32 v10, 1, v13
	v_mov_b32_e32 v14, v13
	s_mov_b32 s4, 0
.LBB78_9:                               ; =>This Inner Loop Header: Depth=1
	global_load_b32 v15, v14, s[6:7] scale_offset
	v_lshl_add_u64 v[20:21], v[10:11], 3, s[8:9]
	s_wait_xcnt 0x0
	v_add_nc_u32_e32 v14, 16, v14
	v_add_nc_u32_e32 v10, 32, v10
	s_delay_alu instid0(VALU_DEP_2)
	v_cmp_ge_i32_e32 vcc_lo, v14, v12
	s_or_b32 s4, vcc_lo, s4
	s_wait_loadcnt 0x0
	v_subrev_nc_u32_e32 v15, s12, v15
	global_load_b128 v[16:19], v[20:21], off
	global_load_b64 v[22:23], v15, s[10:11] scale_offset
	s_wait_loadcnt 0x0
	v_fmac_f64_e32 v[0:1], v[16:17], v[22:23]
	v_fmac_f64_e32 v[8:9], v[18:19], v[22:23]
	s_and_not1_b32 exec_lo, exec_lo, s4
	s_cbranch_execnz .LBB78_9
; %bb.10:
	s_or_b32 exec_lo, exec_lo, s4
.LBB78_11:
	s_delay_alu instid0(SALU_CYCLE_1)
	s_or_b32 exec_lo, exec_lo, s3
	s_cbranch_execz .LBB78_13
	s_branch .LBB78_18
.LBB78_12:
                                        ; implicit-def: $vgpr0_vgpr1
                                        ; implicit-def: $vgpr8_vgpr9
.LBB78_13:
	v_mov_b64_e32 v[0:1], 0
	v_mov_b64_e32 v[8:9], 0
	s_and_saveexec_b32 s3, s2
	s_cbranch_execz .LBB78_17
; %bb.14:
	v_mov_b64_e32 v[0:1], 0
	v_mov_b64_e32 v[8:9], 0
	v_dual_mov_b32 v11, 0 :: v_dual_lshlrev_b32 v10, 1, v13
	s_mov_b32 s2, 0
.LBB78_15:                              ; =>This Inner Loop Header: Depth=1
	global_load_b32 v14, v13, s[6:7] scale_offset
	v_lshl_add_u64 v[18:19], v[10:11], 3, s[8:9]
	s_wait_xcnt 0x0
	v_dual_add_nc_u32 v13, 16, v13 :: v_dual_add_nc_u32 v10, 32, v10
	s_delay_alu instid0(VALU_DEP_1)
	v_cmp_ge_i32_e32 vcc_lo, v13, v12
	s_or_b32 s2, vcc_lo, s2
	s_wait_loadcnt 0x0
	v_subrev_nc_u32_e32 v22, s12, v14
	global_load_b128 v[14:17], v[18:19], off
	global_load_b64 v[20:21], v22, s[10:11] scale_offset
	s_wait_loadcnt 0x0
	v_fmac_f64_e32 v[0:1], v[14:15], v[20:21]
	v_fmac_f64_e32 v[8:9], v[16:17], v[20:21]
	s_and_not1_b32 exec_lo, exec_lo, s2
	s_cbranch_execnz .LBB78_15
; %bb.16:
	s_or_b32 exec_lo, exec_lo, s2
.LBB78_17:
	s_delay_alu instid0(SALU_CYCLE_1)
	s_or_b32 exec_lo, exec_lo, s3
.LBB78_18:
	v_mbcnt_lo_u32_b32 v14, -1, 0
	s_delay_alu instid0(VALU_DEP_1) | instskip(NEXT) | instid1(VALU_DEP_1)
	v_xor_b32_e32 v10, 8, v14
	v_cmp_gt_i32_e32 vcc_lo, 32, v10
	v_cndmask_b32_e32 v10, v14, v10, vcc_lo
	s_delay_alu instid0(VALU_DEP_1)
	v_lshlrev_b32_e32 v13, 2, v10
	ds_bpermute_b32 v10, v13, v0
	ds_bpermute_b32 v11, v13, v1
	s_wait_dscnt 0x0
	v_add_f64_e32 v[0:1], v[0:1], v[10:11]
	v_xor_b32_e32 v10, 4, v14
	s_delay_alu instid0(VALU_DEP_1)
	v_cmp_gt_i32_e32 vcc_lo, 32, v10
	v_cndmask_b32_e32 v10, v14, v10, vcc_lo
	ds_bpermute_b32 v12, v13, v8
	ds_bpermute_b32 v13, v13, v9
	s_wait_dscnt 0x0
	v_dual_add_f64 v[8:9], v[8:9], v[12:13] :: v_dual_lshlrev_b32 v13, 2, v10
	ds_bpermute_b32 v10, v13, v0
	ds_bpermute_b32 v11, v13, v1
	s_wait_dscnt 0x0
	v_add_f64_e32 v[0:1], v[0:1], v[10:11]
	v_xor_b32_e32 v10, 2, v14
	s_delay_alu instid0(VALU_DEP_1)
	v_cmp_gt_i32_e32 vcc_lo, 32, v10
	v_cndmask_b32_e32 v10, v14, v10, vcc_lo
	ds_bpermute_b32 v12, v13, v8
	ds_bpermute_b32 v13, v13, v9
	s_wait_dscnt 0x0
	v_dual_add_f64 v[8:9], v[8:9], v[12:13] :: v_dual_lshlrev_b32 v13, 2, v10
	ds_bpermute_b32 v10, v13, v0
	ds_bpermute_b32 v11, v13, v1
	s_wait_dscnt 0x0
	v_add_f64_e32 v[0:1], v[0:1], v[10:11]
	ds_bpermute_b32 v12, v13, v8
	ds_bpermute_b32 v13, v13, v9
	s_wait_dscnt 0x0
	v_dual_add_f64 v[10:11], v[8:9], v[12:13] :: v_dual_bitop2_b32 v8, 1, v14 bitop3:0x14
	s_delay_alu instid0(VALU_DEP_1) | instskip(SKIP_2) | instid1(VALU_DEP_2)
	v_cmp_gt_i32_e32 vcc_lo, 32, v8
	v_cndmask_b32_e32 v8, v14, v8, vcc_lo
	v_cmp_eq_u32_e32 vcc_lo, 15, v7
	v_lshlrev_b32_e32 v13, 2, v8
	ds_bpermute_b32 v8, v13, v0
	ds_bpermute_b32 v9, v13, v1
	ds_bpermute_b32 v12, v13, v10
	ds_bpermute_b32 v13, v13, v11
	s_and_b32 exec_lo, exec_lo, vcc_lo
	s_cbranch_execz .LBB78_23
; %bb.19:
	s_wait_dscnt 0x2
	v_add_f64_e32 v[8:9], v[0:1], v[8:9]
	s_wait_dscnt 0x0
	v_add_f64_e32 v[0:1], v[10:11], v[12:13]
	s_load_b64 s[0:1], s[0:1], 0x38
	s_mov_b32 s2, exec_lo
	v_cmpx_eq_f64_e32 0, v[4:5]
	s_xor_b32 s2, exec_lo, s2
	s_cbranch_execz .LBB78_21
; %bb.20:
	s_delay_alu instid0(VALU_DEP_3) | instskip(NEXT) | instid1(VALU_DEP_3)
	v_mul_f64_e32 v[8:9], v[2:3], v[8:9]
	v_dual_mul_f64 v[10:11], v[2:3], v[0:1] :: v_dual_lshlrev_b32 v0, 1, v6
                                        ; implicit-def: $vgpr6
                                        ; implicit-def: $vgpr2_vgpr3
                                        ; implicit-def: $vgpr4_vgpr5
	s_delay_alu instid0(VALU_DEP_1) | instskip(SKIP_1) | instid1(VALU_DEP_1)
	v_ashrrev_i32_e32 v1, 31, v0
	s_wait_kmcnt 0x0
	v_lshl_add_u64 v[0:1], v[0:1], 3, s[0:1]
	global_store_b128 v[0:1], v[8:11], off
                                        ; implicit-def: $vgpr8_vgpr9
                                        ; implicit-def: $vgpr0_vgpr1
.LBB78_21:
	s_wait_xcnt 0x0
	s_and_not1_saveexec_b32 s2, s2
	s_cbranch_execz .LBB78_23
; %bb.22:
	v_lshlrev_b32_e32 v6, 1, v6
	s_delay_alu instid0(VALU_DEP_1) | instskip(SKIP_1) | instid1(VALU_DEP_1)
	v_ashrrev_i32_e32 v7, 31, v6
	s_wait_kmcnt 0x0
	v_lshl_add_u64 v[14:15], v[6:7], 3, s[0:1]
	v_mul_f64_e32 v[6:7], v[2:3], v[8:9]
	v_mul_f64_e32 v[8:9], v[2:3], v[0:1]
	global_load_b128 v[10:13], v[14:15], off
	s_wait_loadcnt 0x0
	v_fmac_f64_e32 v[6:7], v[4:5], v[10:11]
	v_fmac_f64_e32 v[8:9], v[4:5], v[12:13]
	global_store_b128 v[14:15], v[6:9], off
.LBB78_23:
	s_endpgm
	.section	.rodata,"a",@progbits
	.p2align	6, 0x0
	.amdhsa_kernel _ZN9rocsparseL19gebsrmvn_2xn_kernelILj128ELj1ELj16EdEEvi20rocsparse_direction_NS_24const_host_device_scalarIT2_EEPKiS6_PKS3_S8_S4_PS3_21rocsparse_index_base_b
		.amdhsa_group_segment_fixed_size 0
		.amdhsa_private_segment_fixed_size 0
		.amdhsa_kernarg_size 72
		.amdhsa_user_sgpr_count 2
		.amdhsa_user_sgpr_dispatch_ptr 0
		.amdhsa_user_sgpr_queue_ptr 0
		.amdhsa_user_sgpr_kernarg_segment_ptr 1
		.amdhsa_user_sgpr_dispatch_id 0
		.amdhsa_user_sgpr_kernarg_preload_length 0
		.amdhsa_user_sgpr_kernarg_preload_offset 0
		.amdhsa_user_sgpr_private_segment_size 0
		.amdhsa_wavefront_size32 1
		.amdhsa_uses_dynamic_stack 0
		.amdhsa_enable_private_segment 0
		.amdhsa_system_sgpr_workgroup_id_x 1
		.amdhsa_system_sgpr_workgroup_id_y 0
		.amdhsa_system_sgpr_workgroup_id_z 0
		.amdhsa_system_sgpr_workgroup_info 0
		.amdhsa_system_vgpr_workitem_id 0
		.amdhsa_next_free_vgpr 24
		.amdhsa_next_free_sgpr 14
		.amdhsa_named_barrier_count 0
		.amdhsa_reserve_vcc 1
		.amdhsa_float_round_mode_32 0
		.amdhsa_float_round_mode_16_64 0
		.amdhsa_float_denorm_mode_32 3
		.amdhsa_float_denorm_mode_16_64 3
		.amdhsa_fp16_overflow 0
		.amdhsa_memory_ordered 1
		.amdhsa_forward_progress 1
		.amdhsa_inst_pref_size 9
		.amdhsa_round_robin_scheduling 0
		.amdhsa_exception_fp_ieee_invalid_op 0
		.amdhsa_exception_fp_denorm_src 0
		.amdhsa_exception_fp_ieee_div_zero 0
		.amdhsa_exception_fp_ieee_overflow 0
		.amdhsa_exception_fp_ieee_underflow 0
		.amdhsa_exception_fp_ieee_inexact 0
		.amdhsa_exception_int_div_zero 0
	.end_amdhsa_kernel
	.section	.text._ZN9rocsparseL19gebsrmvn_2xn_kernelILj128ELj1ELj16EdEEvi20rocsparse_direction_NS_24const_host_device_scalarIT2_EEPKiS6_PKS3_S8_S4_PS3_21rocsparse_index_base_b,"axG",@progbits,_ZN9rocsparseL19gebsrmvn_2xn_kernelILj128ELj1ELj16EdEEvi20rocsparse_direction_NS_24const_host_device_scalarIT2_EEPKiS6_PKS3_S8_S4_PS3_21rocsparse_index_base_b,comdat
.Lfunc_end78:
	.size	_ZN9rocsparseL19gebsrmvn_2xn_kernelILj128ELj1ELj16EdEEvi20rocsparse_direction_NS_24const_host_device_scalarIT2_EEPKiS6_PKS3_S8_S4_PS3_21rocsparse_index_base_b, .Lfunc_end78-_ZN9rocsparseL19gebsrmvn_2xn_kernelILj128ELj1ELj16EdEEvi20rocsparse_direction_NS_24const_host_device_scalarIT2_EEPKiS6_PKS3_S8_S4_PS3_21rocsparse_index_base_b
                                        ; -- End function
	.set _ZN9rocsparseL19gebsrmvn_2xn_kernelILj128ELj1ELj16EdEEvi20rocsparse_direction_NS_24const_host_device_scalarIT2_EEPKiS6_PKS3_S8_S4_PS3_21rocsparse_index_base_b.num_vgpr, 24
	.set _ZN9rocsparseL19gebsrmvn_2xn_kernelILj128ELj1ELj16EdEEvi20rocsparse_direction_NS_24const_host_device_scalarIT2_EEPKiS6_PKS3_S8_S4_PS3_21rocsparse_index_base_b.num_agpr, 0
	.set _ZN9rocsparseL19gebsrmvn_2xn_kernelILj128ELj1ELj16EdEEvi20rocsparse_direction_NS_24const_host_device_scalarIT2_EEPKiS6_PKS3_S8_S4_PS3_21rocsparse_index_base_b.numbered_sgpr, 14
	.set _ZN9rocsparseL19gebsrmvn_2xn_kernelILj128ELj1ELj16EdEEvi20rocsparse_direction_NS_24const_host_device_scalarIT2_EEPKiS6_PKS3_S8_S4_PS3_21rocsparse_index_base_b.num_named_barrier, 0
	.set _ZN9rocsparseL19gebsrmvn_2xn_kernelILj128ELj1ELj16EdEEvi20rocsparse_direction_NS_24const_host_device_scalarIT2_EEPKiS6_PKS3_S8_S4_PS3_21rocsparse_index_base_b.private_seg_size, 0
	.set _ZN9rocsparseL19gebsrmvn_2xn_kernelILj128ELj1ELj16EdEEvi20rocsparse_direction_NS_24const_host_device_scalarIT2_EEPKiS6_PKS3_S8_S4_PS3_21rocsparse_index_base_b.uses_vcc, 1
	.set _ZN9rocsparseL19gebsrmvn_2xn_kernelILj128ELj1ELj16EdEEvi20rocsparse_direction_NS_24const_host_device_scalarIT2_EEPKiS6_PKS3_S8_S4_PS3_21rocsparse_index_base_b.uses_flat_scratch, 0
	.set _ZN9rocsparseL19gebsrmvn_2xn_kernelILj128ELj1ELj16EdEEvi20rocsparse_direction_NS_24const_host_device_scalarIT2_EEPKiS6_PKS3_S8_S4_PS3_21rocsparse_index_base_b.has_dyn_sized_stack, 0
	.set _ZN9rocsparseL19gebsrmvn_2xn_kernelILj128ELj1ELj16EdEEvi20rocsparse_direction_NS_24const_host_device_scalarIT2_EEPKiS6_PKS3_S8_S4_PS3_21rocsparse_index_base_b.has_recursion, 0
	.set _ZN9rocsparseL19gebsrmvn_2xn_kernelILj128ELj1ELj16EdEEvi20rocsparse_direction_NS_24const_host_device_scalarIT2_EEPKiS6_PKS3_S8_S4_PS3_21rocsparse_index_base_b.has_indirect_call, 0
	.section	.AMDGPU.csdata,"",@progbits
; Kernel info:
; codeLenInByte = 1072
; TotalNumSgprs: 16
; NumVgprs: 24
; ScratchSize: 0
; MemoryBound: 0
; FloatMode: 240
; IeeeMode: 1
; LDSByteSize: 0 bytes/workgroup (compile time only)
; SGPRBlocks: 0
; VGPRBlocks: 1
; NumSGPRsForWavesPerEU: 16
; NumVGPRsForWavesPerEU: 24
; NamedBarCnt: 0
; Occupancy: 16
; WaveLimiterHint : 1
; COMPUTE_PGM_RSRC2:SCRATCH_EN: 0
; COMPUTE_PGM_RSRC2:USER_SGPR: 2
; COMPUTE_PGM_RSRC2:TRAP_HANDLER: 0
; COMPUTE_PGM_RSRC2:TGID_X_EN: 1
; COMPUTE_PGM_RSRC2:TGID_Y_EN: 0
; COMPUTE_PGM_RSRC2:TGID_Z_EN: 0
; COMPUTE_PGM_RSRC2:TIDIG_COMP_CNT: 0
	.section	.text._ZN9rocsparseL19gebsrmvn_2xn_kernelILj128ELj1ELj32EdEEvi20rocsparse_direction_NS_24const_host_device_scalarIT2_EEPKiS6_PKS3_S8_S4_PS3_21rocsparse_index_base_b,"axG",@progbits,_ZN9rocsparseL19gebsrmvn_2xn_kernelILj128ELj1ELj32EdEEvi20rocsparse_direction_NS_24const_host_device_scalarIT2_EEPKiS6_PKS3_S8_S4_PS3_21rocsparse_index_base_b,comdat
	.globl	_ZN9rocsparseL19gebsrmvn_2xn_kernelILj128ELj1ELj32EdEEvi20rocsparse_direction_NS_24const_host_device_scalarIT2_EEPKiS6_PKS3_S8_S4_PS3_21rocsparse_index_base_b ; -- Begin function _ZN9rocsparseL19gebsrmvn_2xn_kernelILj128ELj1ELj32EdEEvi20rocsparse_direction_NS_24const_host_device_scalarIT2_EEPKiS6_PKS3_S8_S4_PS3_21rocsparse_index_base_b
	.p2align	8
	.type	_ZN9rocsparseL19gebsrmvn_2xn_kernelILj128ELj1ELj32EdEEvi20rocsparse_direction_NS_24const_host_device_scalarIT2_EEPKiS6_PKS3_S8_S4_PS3_21rocsparse_index_base_b,@function
_ZN9rocsparseL19gebsrmvn_2xn_kernelILj128ELj1ELj32EdEEvi20rocsparse_direction_NS_24const_host_device_scalarIT2_EEPKiS6_PKS3_S8_S4_PS3_21rocsparse_index_base_b: ; @_ZN9rocsparseL19gebsrmvn_2xn_kernelILj128ELj1ELj32EdEEvi20rocsparse_direction_NS_24const_host_device_scalarIT2_EEPKiS6_PKS3_S8_S4_PS3_21rocsparse_index_base_b
; %bb.0:
	s_clause 0x2
	s_load_b64 s[12:13], s[0:1], 0x40
	s_load_b64 s[4:5], s[0:1], 0x8
	;; [unrolled: 1-line block ×3, first 2 shown]
	s_wait_kmcnt 0x0
	s_bitcmp1_b32 s13, 0
	v_mov_b64_e32 v[2:3], s[4:5]
	s_cselect_b32 s6, -1, 0
	s_delay_alu instid0(SALU_CYCLE_1)
	s_and_b32 vcc_lo, exec_lo, s6
	s_xor_b32 s6, s6, -1
	s_cbranch_vccnz .LBB79_2
; %bb.1:
	v_mov_b32_e32 v1, 0
	flat_load_b64 v[2:3], v1, s[4:5]
.LBB79_2:
	v_mov_b64_e32 v[4:5], s[2:3]
	s_and_not1_b32 vcc_lo, exec_lo, s6
	s_cbranch_vccnz .LBB79_4
; %bb.3:
	s_wait_xcnt 0x0
	v_mov_b32_e32 v1, 0
	flat_load_b64 v[4:5], v1, s[2:3]
.LBB79_4:
	s_wait_loadcnt_dscnt 0x0
	v_cmp_neq_f64_e32 vcc_lo, 0, v[2:3]
	s_delay_alu instid0(VALU_DEP_2) | instskip(SKIP_1) | instid1(SALU_CYCLE_1)
	v_cmp_neq_f64_e64 s2, 1.0, v[4:5]
	s_or_b32 s2, vcc_lo, s2
	s_and_saveexec_b32 s3, s2
	s_cbranch_execz .LBB79_23
; %bb.5:
	s_load_b64 s[2:3], s[0:1], 0x0
	s_bfe_u32 s4, ttmp6, 0x4000c
	s_and_b32 s5, ttmp6, 15
	s_add_co_i32 s4, s4, 1
	s_getreg_b32 s6, hwreg(HW_REG_IB_STS2, 6, 4)
	s_mul_i32 s4, ttmp9, s4
	v_lshrrev_b32_e32 v1, 5, v0
	s_add_co_i32 s5, s5, s4
	s_cmp_eq_u32 s6, 0
	s_cselect_b32 s4, ttmp9, s5
	s_delay_alu instid0(VALU_DEP_1) | instid1(SALU_CYCLE_1)
	v_lshl_or_b32 v6, s4, 2, v1
	s_wait_kmcnt 0x0
	s_delay_alu instid0(VALU_DEP_1)
	v_cmp_gt_i32_e32 vcc_lo, s2, v6
	s_and_b32 exec_lo, exec_lo, vcc_lo
	s_cbranch_execz .LBB79_23
; %bb.6:
	s_load_b256 s[4:11], s[0:1], 0x10
	v_ashrrev_i32_e32 v7, 31, v6
	s_cmp_lg_u32 s3, 0
	s_wait_kmcnt 0x0
	s_delay_alu instid0(VALU_DEP_1)
	v_lshl_add_u64 v[8:9], v[6:7], 2, s[4:5]
	v_and_b32_e32 v7, 31, v0
	global_load_b64 v[8:9], v[8:9], off
	s_wait_loadcnt 0x0
	v_subrev_nc_u32_e32 v0, s12, v8
	v_subrev_nc_u32_e32 v12, s12, v9
	s_delay_alu instid0(VALU_DEP_2) | instskip(NEXT) | instid1(VALU_DEP_1)
	v_add_nc_u32_e32 v13, v0, v7
	v_cmp_lt_i32_e64 s2, v13, v12
	s_cbranch_scc0 .LBB79_12
; %bb.7:
	v_mov_b64_e32 v[0:1], 0
	v_mov_b64_e32 v[8:9], 0
	s_and_saveexec_b32 s3, s2
	s_cbranch_execz .LBB79_11
; %bb.8:
	v_mov_b64_e32 v[0:1], 0
	v_mov_b64_e32 v[8:9], 0
	v_dual_mov_b32 v11, 0 :: v_dual_lshlrev_b32 v10, 1, v13
	v_mov_b32_e32 v14, v13
	s_mov_b32 s4, 0
.LBB79_9:                               ; =>This Inner Loop Header: Depth=1
	global_load_b32 v15, v14, s[6:7] scale_offset
	v_lshl_add_u64 v[20:21], v[10:11], 3, s[8:9]
	s_wait_xcnt 0x0
	v_add_nc_u32_e32 v14, 32, v14
	v_add_nc_u32_e32 v10, 64, v10
	s_delay_alu instid0(VALU_DEP_2)
	v_cmp_ge_i32_e32 vcc_lo, v14, v12
	s_or_b32 s4, vcc_lo, s4
	s_wait_loadcnt 0x0
	v_subrev_nc_u32_e32 v15, s12, v15
	global_load_b128 v[16:19], v[20:21], off
	global_load_b64 v[22:23], v15, s[10:11] scale_offset
	s_wait_loadcnt 0x0
	v_fmac_f64_e32 v[0:1], v[16:17], v[22:23]
	v_fmac_f64_e32 v[8:9], v[18:19], v[22:23]
	s_and_not1_b32 exec_lo, exec_lo, s4
	s_cbranch_execnz .LBB79_9
; %bb.10:
	s_or_b32 exec_lo, exec_lo, s4
.LBB79_11:
	s_delay_alu instid0(SALU_CYCLE_1)
	s_or_b32 exec_lo, exec_lo, s3
	s_cbranch_execz .LBB79_13
	s_branch .LBB79_18
.LBB79_12:
                                        ; implicit-def: $vgpr0_vgpr1
                                        ; implicit-def: $vgpr8_vgpr9
.LBB79_13:
	v_mov_b64_e32 v[0:1], 0
	v_mov_b64_e32 v[8:9], 0
	s_and_saveexec_b32 s3, s2
	s_cbranch_execz .LBB79_17
; %bb.14:
	v_mov_b64_e32 v[0:1], 0
	v_mov_b64_e32 v[8:9], 0
	v_dual_mov_b32 v11, 0 :: v_dual_lshlrev_b32 v10, 1, v13
	s_mov_b32 s2, 0
.LBB79_15:                              ; =>This Inner Loop Header: Depth=1
	global_load_b32 v14, v13, s[6:7] scale_offset
	v_lshl_add_u64 v[18:19], v[10:11], 3, s[8:9]
	s_wait_xcnt 0x0
	v_dual_add_nc_u32 v13, 32, v13 :: v_dual_add_nc_u32 v10, 64, v10
	s_delay_alu instid0(VALU_DEP_1)
	v_cmp_ge_i32_e32 vcc_lo, v13, v12
	s_or_b32 s2, vcc_lo, s2
	s_wait_loadcnt 0x0
	v_subrev_nc_u32_e32 v22, s12, v14
	global_load_b128 v[14:17], v[18:19], off
	global_load_b64 v[20:21], v22, s[10:11] scale_offset
	s_wait_loadcnt 0x0
	v_fmac_f64_e32 v[0:1], v[14:15], v[20:21]
	v_fmac_f64_e32 v[8:9], v[16:17], v[20:21]
	s_and_not1_b32 exec_lo, exec_lo, s2
	s_cbranch_execnz .LBB79_15
; %bb.16:
	s_or_b32 exec_lo, exec_lo, s2
.LBB79_17:
	s_delay_alu instid0(SALU_CYCLE_1)
	s_or_b32 exec_lo, exec_lo, s3
.LBB79_18:
	v_mbcnt_lo_u32_b32 v14, -1, 0
	s_delay_alu instid0(VALU_DEP_1) | instskip(NEXT) | instid1(VALU_DEP_1)
	v_xor_b32_e32 v10, 16, v14
	v_cmp_gt_i32_e32 vcc_lo, 32, v10
	v_cndmask_b32_e32 v10, v14, v10, vcc_lo
	s_delay_alu instid0(VALU_DEP_1)
	v_lshlrev_b32_e32 v13, 2, v10
	ds_bpermute_b32 v10, v13, v0
	ds_bpermute_b32 v11, v13, v1
	s_wait_dscnt 0x0
	v_add_f64_e32 v[0:1], v[0:1], v[10:11]
	v_xor_b32_e32 v10, 8, v14
	s_delay_alu instid0(VALU_DEP_1)
	v_cmp_gt_i32_e32 vcc_lo, 32, v10
	v_cndmask_b32_e32 v10, v14, v10, vcc_lo
	ds_bpermute_b32 v12, v13, v8
	ds_bpermute_b32 v13, v13, v9
	s_wait_dscnt 0x0
	v_dual_add_f64 v[8:9], v[8:9], v[12:13] :: v_dual_lshlrev_b32 v13, 2, v10
	ds_bpermute_b32 v10, v13, v0
	ds_bpermute_b32 v11, v13, v1
	s_wait_dscnt 0x0
	v_add_f64_e32 v[0:1], v[0:1], v[10:11]
	v_xor_b32_e32 v10, 4, v14
	s_delay_alu instid0(VALU_DEP_1)
	v_cmp_gt_i32_e32 vcc_lo, 32, v10
	v_cndmask_b32_e32 v10, v14, v10, vcc_lo
	ds_bpermute_b32 v12, v13, v8
	ds_bpermute_b32 v13, v13, v9
	s_wait_dscnt 0x0
	v_dual_add_f64 v[8:9], v[8:9], v[12:13] :: v_dual_lshlrev_b32 v13, 2, v10
	;; [unrolled: 12-line block ×3, first 2 shown]
	ds_bpermute_b32 v10, v13, v0
	ds_bpermute_b32 v11, v13, v1
	s_wait_dscnt 0x0
	v_add_f64_e32 v[0:1], v[0:1], v[10:11]
	ds_bpermute_b32 v12, v13, v8
	ds_bpermute_b32 v13, v13, v9
	s_wait_dscnt 0x0
	v_dual_add_f64 v[10:11], v[8:9], v[12:13] :: v_dual_bitop2_b32 v8, 1, v14 bitop3:0x14
	s_delay_alu instid0(VALU_DEP_1) | instskip(SKIP_2) | instid1(VALU_DEP_2)
	v_cmp_gt_i32_e32 vcc_lo, 32, v8
	v_cndmask_b32_e32 v8, v14, v8, vcc_lo
	v_cmp_eq_u32_e32 vcc_lo, 31, v7
	v_lshlrev_b32_e32 v13, 2, v8
	ds_bpermute_b32 v8, v13, v0
	ds_bpermute_b32 v9, v13, v1
	;; [unrolled: 1-line block ×4, first 2 shown]
	s_and_b32 exec_lo, exec_lo, vcc_lo
	s_cbranch_execz .LBB79_23
; %bb.19:
	s_wait_dscnt 0x2
	v_add_f64_e32 v[8:9], v[0:1], v[8:9]
	s_wait_dscnt 0x0
	v_add_f64_e32 v[0:1], v[10:11], v[12:13]
	s_load_b64 s[0:1], s[0:1], 0x38
	s_mov_b32 s2, exec_lo
	v_cmpx_eq_f64_e32 0, v[4:5]
	s_xor_b32 s2, exec_lo, s2
	s_cbranch_execz .LBB79_21
; %bb.20:
	s_delay_alu instid0(VALU_DEP_3) | instskip(NEXT) | instid1(VALU_DEP_3)
	v_mul_f64_e32 v[8:9], v[2:3], v[8:9]
	v_dual_mul_f64 v[10:11], v[2:3], v[0:1] :: v_dual_lshlrev_b32 v0, 1, v6
                                        ; implicit-def: $vgpr6
                                        ; implicit-def: $vgpr2_vgpr3
                                        ; implicit-def: $vgpr4_vgpr5
	s_delay_alu instid0(VALU_DEP_1) | instskip(SKIP_1) | instid1(VALU_DEP_1)
	v_ashrrev_i32_e32 v1, 31, v0
	s_wait_kmcnt 0x0
	v_lshl_add_u64 v[0:1], v[0:1], 3, s[0:1]
	global_store_b128 v[0:1], v[8:11], off
                                        ; implicit-def: $vgpr8_vgpr9
                                        ; implicit-def: $vgpr0_vgpr1
.LBB79_21:
	s_wait_xcnt 0x0
	s_and_not1_saveexec_b32 s2, s2
	s_cbranch_execz .LBB79_23
; %bb.22:
	v_lshlrev_b32_e32 v6, 1, v6
	s_delay_alu instid0(VALU_DEP_1) | instskip(SKIP_1) | instid1(VALU_DEP_1)
	v_ashrrev_i32_e32 v7, 31, v6
	s_wait_kmcnt 0x0
	v_lshl_add_u64 v[14:15], v[6:7], 3, s[0:1]
	v_mul_f64_e32 v[6:7], v[2:3], v[8:9]
	v_mul_f64_e32 v[8:9], v[2:3], v[0:1]
	global_load_b128 v[10:13], v[14:15], off
	s_wait_loadcnt 0x0
	v_fmac_f64_e32 v[6:7], v[4:5], v[10:11]
	v_fmac_f64_e32 v[8:9], v[4:5], v[12:13]
	global_store_b128 v[14:15], v[6:9], off
.LBB79_23:
	s_endpgm
	.section	.rodata,"a",@progbits
	.p2align	6, 0x0
	.amdhsa_kernel _ZN9rocsparseL19gebsrmvn_2xn_kernelILj128ELj1ELj32EdEEvi20rocsparse_direction_NS_24const_host_device_scalarIT2_EEPKiS6_PKS3_S8_S4_PS3_21rocsparse_index_base_b
		.amdhsa_group_segment_fixed_size 0
		.amdhsa_private_segment_fixed_size 0
		.amdhsa_kernarg_size 72
		.amdhsa_user_sgpr_count 2
		.amdhsa_user_sgpr_dispatch_ptr 0
		.amdhsa_user_sgpr_queue_ptr 0
		.amdhsa_user_sgpr_kernarg_segment_ptr 1
		.amdhsa_user_sgpr_dispatch_id 0
		.amdhsa_user_sgpr_kernarg_preload_length 0
		.amdhsa_user_sgpr_kernarg_preload_offset 0
		.amdhsa_user_sgpr_private_segment_size 0
		.amdhsa_wavefront_size32 1
		.amdhsa_uses_dynamic_stack 0
		.amdhsa_enable_private_segment 0
		.amdhsa_system_sgpr_workgroup_id_x 1
		.amdhsa_system_sgpr_workgroup_id_y 0
		.amdhsa_system_sgpr_workgroup_id_z 0
		.amdhsa_system_sgpr_workgroup_info 0
		.amdhsa_system_vgpr_workitem_id 0
		.amdhsa_next_free_vgpr 24
		.amdhsa_next_free_sgpr 14
		.amdhsa_named_barrier_count 0
		.amdhsa_reserve_vcc 1
		.amdhsa_float_round_mode_32 0
		.amdhsa_float_round_mode_16_64 0
		.amdhsa_float_denorm_mode_32 3
		.amdhsa_float_denorm_mode_16_64 3
		.amdhsa_fp16_overflow 0
		.amdhsa_memory_ordered 1
		.amdhsa_forward_progress 1
		.amdhsa_inst_pref_size 9
		.amdhsa_round_robin_scheduling 0
		.amdhsa_exception_fp_ieee_invalid_op 0
		.amdhsa_exception_fp_denorm_src 0
		.amdhsa_exception_fp_ieee_div_zero 0
		.amdhsa_exception_fp_ieee_overflow 0
		.amdhsa_exception_fp_ieee_underflow 0
		.amdhsa_exception_fp_ieee_inexact 0
		.amdhsa_exception_int_div_zero 0
	.end_amdhsa_kernel
	.section	.text._ZN9rocsparseL19gebsrmvn_2xn_kernelILj128ELj1ELj32EdEEvi20rocsparse_direction_NS_24const_host_device_scalarIT2_EEPKiS6_PKS3_S8_S4_PS3_21rocsparse_index_base_b,"axG",@progbits,_ZN9rocsparseL19gebsrmvn_2xn_kernelILj128ELj1ELj32EdEEvi20rocsparse_direction_NS_24const_host_device_scalarIT2_EEPKiS6_PKS3_S8_S4_PS3_21rocsparse_index_base_b,comdat
.Lfunc_end79:
	.size	_ZN9rocsparseL19gebsrmvn_2xn_kernelILj128ELj1ELj32EdEEvi20rocsparse_direction_NS_24const_host_device_scalarIT2_EEPKiS6_PKS3_S8_S4_PS3_21rocsparse_index_base_b, .Lfunc_end79-_ZN9rocsparseL19gebsrmvn_2xn_kernelILj128ELj1ELj32EdEEvi20rocsparse_direction_NS_24const_host_device_scalarIT2_EEPKiS6_PKS3_S8_S4_PS3_21rocsparse_index_base_b
                                        ; -- End function
	.set _ZN9rocsparseL19gebsrmvn_2xn_kernelILj128ELj1ELj32EdEEvi20rocsparse_direction_NS_24const_host_device_scalarIT2_EEPKiS6_PKS3_S8_S4_PS3_21rocsparse_index_base_b.num_vgpr, 24
	.set _ZN9rocsparseL19gebsrmvn_2xn_kernelILj128ELj1ELj32EdEEvi20rocsparse_direction_NS_24const_host_device_scalarIT2_EEPKiS6_PKS3_S8_S4_PS3_21rocsparse_index_base_b.num_agpr, 0
	.set _ZN9rocsparseL19gebsrmvn_2xn_kernelILj128ELj1ELj32EdEEvi20rocsparse_direction_NS_24const_host_device_scalarIT2_EEPKiS6_PKS3_S8_S4_PS3_21rocsparse_index_base_b.numbered_sgpr, 14
	.set _ZN9rocsparseL19gebsrmvn_2xn_kernelILj128ELj1ELj32EdEEvi20rocsparse_direction_NS_24const_host_device_scalarIT2_EEPKiS6_PKS3_S8_S4_PS3_21rocsparse_index_base_b.num_named_barrier, 0
	.set _ZN9rocsparseL19gebsrmvn_2xn_kernelILj128ELj1ELj32EdEEvi20rocsparse_direction_NS_24const_host_device_scalarIT2_EEPKiS6_PKS3_S8_S4_PS3_21rocsparse_index_base_b.private_seg_size, 0
	.set _ZN9rocsparseL19gebsrmvn_2xn_kernelILj128ELj1ELj32EdEEvi20rocsparse_direction_NS_24const_host_device_scalarIT2_EEPKiS6_PKS3_S8_S4_PS3_21rocsparse_index_base_b.uses_vcc, 1
	.set _ZN9rocsparseL19gebsrmvn_2xn_kernelILj128ELj1ELj32EdEEvi20rocsparse_direction_NS_24const_host_device_scalarIT2_EEPKiS6_PKS3_S8_S4_PS3_21rocsparse_index_base_b.uses_flat_scratch, 0
	.set _ZN9rocsparseL19gebsrmvn_2xn_kernelILj128ELj1ELj32EdEEvi20rocsparse_direction_NS_24const_host_device_scalarIT2_EEPKiS6_PKS3_S8_S4_PS3_21rocsparse_index_base_b.has_dyn_sized_stack, 0
	.set _ZN9rocsparseL19gebsrmvn_2xn_kernelILj128ELj1ELj32EdEEvi20rocsparse_direction_NS_24const_host_device_scalarIT2_EEPKiS6_PKS3_S8_S4_PS3_21rocsparse_index_base_b.has_recursion, 0
	.set _ZN9rocsparseL19gebsrmvn_2xn_kernelILj128ELj1ELj32EdEEvi20rocsparse_direction_NS_24const_host_device_scalarIT2_EEPKiS6_PKS3_S8_S4_PS3_21rocsparse_index_base_b.has_indirect_call, 0
	.section	.AMDGPU.csdata,"",@progbits
; Kernel info:
; codeLenInByte = 1144
; TotalNumSgprs: 16
; NumVgprs: 24
; ScratchSize: 0
; MemoryBound: 0
; FloatMode: 240
; IeeeMode: 1
; LDSByteSize: 0 bytes/workgroup (compile time only)
; SGPRBlocks: 0
; VGPRBlocks: 1
; NumSGPRsForWavesPerEU: 16
; NumVGPRsForWavesPerEU: 24
; NamedBarCnt: 0
; Occupancy: 16
; WaveLimiterHint : 1
; COMPUTE_PGM_RSRC2:SCRATCH_EN: 0
; COMPUTE_PGM_RSRC2:USER_SGPR: 2
; COMPUTE_PGM_RSRC2:TRAP_HANDLER: 0
; COMPUTE_PGM_RSRC2:TGID_X_EN: 1
; COMPUTE_PGM_RSRC2:TGID_Y_EN: 0
; COMPUTE_PGM_RSRC2:TGID_Z_EN: 0
; COMPUTE_PGM_RSRC2:TIDIG_COMP_CNT: 0
	.section	.text._ZN9rocsparseL19gebsrmvn_2xn_kernelILj128ELj1ELj64EdEEvi20rocsparse_direction_NS_24const_host_device_scalarIT2_EEPKiS6_PKS3_S8_S4_PS3_21rocsparse_index_base_b,"axG",@progbits,_ZN9rocsparseL19gebsrmvn_2xn_kernelILj128ELj1ELj64EdEEvi20rocsparse_direction_NS_24const_host_device_scalarIT2_EEPKiS6_PKS3_S8_S4_PS3_21rocsparse_index_base_b,comdat
	.globl	_ZN9rocsparseL19gebsrmvn_2xn_kernelILj128ELj1ELj64EdEEvi20rocsparse_direction_NS_24const_host_device_scalarIT2_EEPKiS6_PKS3_S8_S4_PS3_21rocsparse_index_base_b ; -- Begin function _ZN9rocsparseL19gebsrmvn_2xn_kernelILj128ELj1ELj64EdEEvi20rocsparse_direction_NS_24const_host_device_scalarIT2_EEPKiS6_PKS3_S8_S4_PS3_21rocsparse_index_base_b
	.p2align	8
	.type	_ZN9rocsparseL19gebsrmvn_2xn_kernelILj128ELj1ELj64EdEEvi20rocsparse_direction_NS_24const_host_device_scalarIT2_EEPKiS6_PKS3_S8_S4_PS3_21rocsparse_index_base_b,@function
_ZN9rocsparseL19gebsrmvn_2xn_kernelILj128ELj1ELj64EdEEvi20rocsparse_direction_NS_24const_host_device_scalarIT2_EEPKiS6_PKS3_S8_S4_PS3_21rocsparse_index_base_b: ; @_ZN9rocsparseL19gebsrmvn_2xn_kernelILj128ELj1ELj64EdEEvi20rocsparse_direction_NS_24const_host_device_scalarIT2_EEPKiS6_PKS3_S8_S4_PS3_21rocsparse_index_base_b
; %bb.0:
	s_clause 0x2
	s_load_b64 s[12:13], s[0:1], 0x40
	s_load_b64 s[4:5], s[0:1], 0x8
	;; [unrolled: 1-line block ×3, first 2 shown]
	s_wait_kmcnt 0x0
	s_bitcmp1_b32 s13, 0
	v_mov_b64_e32 v[2:3], s[4:5]
	s_cselect_b32 s6, -1, 0
	s_delay_alu instid0(SALU_CYCLE_1)
	s_and_b32 vcc_lo, exec_lo, s6
	s_xor_b32 s6, s6, -1
	s_cbranch_vccnz .LBB80_2
; %bb.1:
	v_mov_b32_e32 v1, 0
	flat_load_b64 v[2:3], v1, s[4:5]
.LBB80_2:
	v_mov_b64_e32 v[4:5], s[2:3]
	s_and_not1_b32 vcc_lo, exec_lo, s6
	s_cbranch_vccnz .LBB80_4
; %bb.3:
	s_wait_xcnt 0x0
	v_mov_b32_e32 v1, 0
	flat_load_b64 v[4:5], v1, s[2:3]
.LBB80_4:
	s_wait_loadcnt_dscnt 0x0
	v_cmp_neq_f64_e32 vcc_lo, 0, v[2:3]
	s_delay_alu instid0(VALU_DEP_2) | instskip(SKIP_1) | instid1(SALU_CYCLE_1)
	v_cmp_neq_f64_e64 s2, 1.0, v[4:5]
	s_or_b32 s2, vcc_lo, s2
	s_and_saveexec_b32 s3, s2
	s_cbranch_execz .LBB80_23
; %bb.5:
	s_load_b64 s[2:3], s[0:1], 0x0
	s_bfe_u32 s4, ttmp6, 0x4000c
	s_and_b32 s5, ttmp6, 15
	s_add_co_i32 s4, s4, 1
	s_getreg_b32 s6, hwreg(HW_REG_IB_STS2, 6, 4)
	s_mul_i32 s4, ttmp9, s4
	v_lshrrev_b32_e32 v1, 6, v0
	s_add_co_i32 s5, s5, s4
	s_cmp_eq_u32 s6, 0
	s_cselect_b32 s4, ttmp9, s5
	s_delay_alu instid0(VALU_DEP_1) | instid1(SALU_CYCLE_1)
	v_lshl_or_b32 v6, s4, 1, v1
	s_wait_kmcnt 0x0
	s_delay_alu instid0(VALU_DEP_1)
	v_cmp_gt_i32_e32 vcc_lo, s2, v6
	s_and_b32 exec_lo, exec_lo, vcc_lo
	s_cbranch_execz .LBB80_23
; %bb.6:
	s_load_b256 s[4:11], s[0:1], 0x10
	v_ashrrev_i32_e32 v7, 31, v6
	s_cmp_lg_u32 s3, 0
	s_wait_kmcnt 0x0
	s_delay_alu instid0(VALU_DEP_1)
	v_lshl_add_u64 v[8:9], v[6:7], 2, s[4:5]
	v_and_b32_e32 v7, 63, v0
	global_load_b64 v[8:9], v[8:9], off
	s_wait_loadcnt 0x0
	v_subrev_nc_u32_e32 v0, s12, v8
	v_subrev_nc_u32_e32 v12, s12, v9
	s_delay_alu instid0(VALU_DEP_2) | instskip(NEXT) | instid1(VALU_DEP_1)
	v_add_nc_u32_e32 v13, v0, v7
	v_cmp_lt_i32_e64 s2, v13, v12
	s_cbranch_scc0 .LBB80_12
; %bb.7:
	v_mov_b64_e32 v[0:1], 0
	v_mov_b64_e32 v[8:9], 0
	s_and_saveexec_b32 s3, s2
	s_cbranch_execz .LBB80_11
; %bb.8:
	v_mov_b64_e32 v[0:1], 0
	v_mov_b64_e32 v[8:9], 0
	v_dual_mov_b32 v11, 0 :: v_dual_lshlrev_b32 v10, 1, v13
	v_mov_b32_e32 v14, v13
	s_mov_b32 s4, 0
.LBB80_9:                               ; =>This Inner Loop Header: Depth=1
	global_load_b32 v15, v14, s[6:7] scale_offset
	v_lshl_add_u64 v[20:21], v[10:11], 3, s[8:9]
	s_wait_xcnt 0x0
	v_add_nc_u32_e32 v14, 64, v14
	v_add_nc_u32_e32 v10, 0x80, v10
	s_delay_alu instid0(VALU_DEP_2)
	v_cmp_ge_i32_e32 vcc_lo, v14, v12
	s_or_b32 s4, vcc_lo, s4
	s_wait_loadcnt 0x0
	v_subrev_nc_u32_e32 v15, s12, v15
	global_load_b128 v[16:19], v[20:21], off
	global_load_b64 v[22:23], v15, s[10:11] scale_offset
	s_wait_loadcnt 0x0
	v_fmac_f64_e32 v[0:1], v[16:17], v[22:23]
	v_fmac_f64_e32 v[8:9], v[18:19], v[22:23]
	s_and_not1_b32 exec_lo, exec_lo, s4
	s_cbranch_execnz .LBB80_9
; %bb.10:
	s_or_b32 exec_lo, exec_lo, s4
.LBB80_11:
	s_delay_alu instid0(SALU_CYCLE_1)
	s_or_b32 exec_lo, exec_lo, s3
	s_cbranch_execz .LBB80_13
	s_branch .LBB80_18
.LBB80_12:
                                        ; implicit-def: $vgpr0_vgpr1
                                        ; implicit-def: $vgpr8_vgpr9
.LBB80_13:
	v_mov_b64_e32 v[0:1], 0
	v_mov_b64_e32 v[8:9], 0
	s_and_saveexec_b32 s3, s2
	s_cbranch_execz .LBB80_17
; %bb.14:
	v_mov_b64_e32 v[0:1], 0
	v_mov_b64_e32 v[8:9], 0
	v_dual_mov_b32 v11, 0 :: v_dual_lshlrev_b32 v10, 1, v13
	s_mov_b32 s2, 0
.LBB80_15:                              ; =>This Inner Loop Header: Depth=1
	global_load_b32 v14, v13, s[6:7] scale_offset
	v_lshl_add_u64 v[18:19], v[10:11], 3, s[8:9]
	s_wait_xcnt 0x0
	v_add_nc_u32_e32 v13, 64, v13
	v_add_nc_u32_e32 v10, 0x80, v10
	s_delay_alu instid0(VALU_DEP_2)
	v_cmp_ge_i32_e32 vcc_lo, v13, v12
	s_or_b32 s2, vcc_lo, s2
	s_wait_loadcnt 0x0
	v_subrev_nc_u32_e32 v22, s12, v14
	global_load_b128 v[14:17], v[18:19], off
	global_load_b64 v[20:21], v22, s[10:11] scale_offset
	s_wait_loadcnt 0x0
	v_fmac_f64_e32 v[0:1], v[14:15], v[20:21]
	v_fmac_f64_e32 v[8:9], v[16:17], v[20:21]
	s_and_not1_b32 exec_lo, exec_lo, s2
	s_cbranch_execnz .LBB80_15
; %bb.16:
	s_or_b32 exec_lo, exec_lo, s2
.LBB80_17:
	s_delay_alu instid0(SALU_CYCLE_1)
	s_or_b32 exec_lo, exec_lo, s3
.LBB80_18:
	v_mbcnt_lo_u32_b32 v14, -1, 0
	s_delay_alu instid0(VALU_DEP_1) | instskip(NEXT) | instid1(VALU_DEP_1)
	v_or_b32_e32 v10, 32, v14
	v_cmp_gt_i32_e32 vcc_lo, 32, v10
	v_cndmask_b32_e32 v10, v14, v10, vcc_lo
	s_delay_alu instid0(VALU_DEP_1)
	v_lshlrev_b32_e32 v13, 2, v10
	ds_bpermute_b32 v10, v13, v0
	ds_bpermute_b32 v11, v13, v1
	s_wait_dscnt 0x0
	v_add_f64_e32 v[0:1], v[0:1], v[10:11]
	v_xor_b32_e32 v10, 16, v14
	s_delay_alu instid0(VALU_DEP_1)
	v_cmp_gt_i32_e32 vcc_lo, 32, v10
	v_cndmask_b32_e32 v10, v14, v10, vcc_lo
	ds_bpermute_b32 v12, v13, v8
	ds_bpermute_b32 v13, v13, v9
	s_wait_dscnt 0x0
	v_dual_add_f64 v[8:9], v[8:9], v[12:13] :: v_dual_lshlrev_b32 v13, 2, v10
	ds_bpermute_b32 v10, v13, v0
	ds_bpermute_b32 v11, v13, v1
	s_wait_dscnt 0x0
	v_add_f64_e32 v[0:1], v[0:1], v[10:11]
	v_xor_b32_e32 v10, 8, v14
	s_delay_alu instid0(VALU_DEP_1)
	v_cmp_gt_i32_e32 vcc_lo, 32, v10
	v_cndmask_b32_e32 v10, v14, v10, vcc_lo
	ds_bpermute_b32 v12, v13, v8
	ds_bpermute_b32 v13, v13, v9
	s_wait_dscnt 0x0
	v_dual_add_f64 v[8:9], v[8:9], v[12:13] :: v_dual_lshlrev_b32 v13, 2, v10
	ds_bpermute_b32 v10, v13, v0
	ds_bpermute_b32 v11, v13, v1
	s_wait_dscnt 0x0
	v_add_f64_e32 v[0:1], v[0:1], v[10:11]
	v_xor_b32_e32 v10, 4, v14
	s_delay_alu instid0(VALU_DEP_1)
	v_cmp_gt_i32_e32 vcc_lo, 32, v10
	v_cndmask_b32_e32 v10, v14, v10, vcc_lo
	ds_bpermute_b32 v12, v13, v8
	ds_bpermute_b32 v13, v13, v9
	s_wait_dscnt 0x0
	v_dual_add_f64 v[8:9], v[8:9], v[12:13] :: v_dual_lshlrev_b32 v13, 2, v10
	ds_bpermute_b32 v10, v13, v0
	ds_bpermute_b32 v11, v13, v1
	s_wait_dscnt 0x0
	v_add_f64_e32 v[0:1], v[0:1], v[10:11]
	v_xor_b32_e32 v10, 2, v14
	s_delay_alu instid0(VALU_DEP_1)
	v_cmp_gt_i32_e32 vcc_lo, 32, v10
	v_cndmask_b32_e32 v10, v14, v10, vcc_lo
	ds_bpermute_b32 v12, v13, v8
	ds_bpermute_b32 v13, v13, v9
	s_wait_dscnt 0x0
	v_dual_add_f64 v[8:9], v[8:9], v[12:13] :: v_dual_lshlrev_b32 v13, 2, v10
	ds_bpermute_b32 v10, v13, v0
	ds_bpermute_b32 v11, v13, v1
	s_wait_dscnt 0x0
	v_add_f64_e32 v[0:1], v[0:1], v[10:11]
	ds_bpermute_b32 v12, v13, v8
	ds_bpermute_b32 v13, v13, v9
	s_wait_dscnt 0x0
	v_dual_add_f64 v[10:11], v[8:9], v[12:13] :: v_dual_bitop2_b32 v8, 1, v14 bitop3:0x14
	s_delay_alu instid0(VALU_DEP_1) | instskip(SKIP_2) | instid1(VALU_DEP_2)
	v_cmp_gt_i32_e32 vcc_lo, 32, v8
	v_cndmask_b32_e32 v8, v14, v8, vcc_lo
	v_cmp_eq_u32_e32 vcc_lo, 63, v7
	v_lshlrev_b32_e32 v13, 2, v8
	ds_bpermute_b32 v8, v13, v0
	ds_bpermute_b32 v9, v13, v1
	;; [unrolled: 1-line block ×4, first 2 shown]
	s_and_b32 exec_lo, exec_lo, vcc_lo
	s_cbranch_execz .LBB80_23
; %bb.19:
	s_wait_dscnt 0x2
	v_add_f64_e32 v[8:9], v[0:1], v[8:9]
	s_wait_dscnt 0x0
	v_add_f64_e32 v[0:1], v[10:11], v[12:13]
	s_load_b64 s[0:1], s[0:1], 0x38
	s_mov_b32 s2, exec_lo
	v_cmpx_eq_f64_e32 0, v[4:5]
	s_xor_b32 s2, exec_lo, s2
	s_cbranch_execz .LBB80_21
; %bb.20:
	s_delay_alu instid0(VALU_DEP_3) | instskip(NEXT) | instid1(VALU_DEP_3)
	v_mul_f64_e32 v[8:9], v[2:3], v[8:9]
	v_dual_mul_f64 v[10:11], v[2:3], v[0:1] :: v_dual_lshlrev_b32 v0, 1, v6
                                        ; implicit-def: $vgpr6
                                        ; implicit-def: $vgpr2_vgpr3
                                        ; implicit-def: $vgpr4_vgpr5
	s_delay_alu instid0(VALU_DEP_1) | instskip(SKIP_1) | instid1(VALU_DEP_1)
	v_ashrrev_i32_e32 v1, 31, v0
	s_wait_kmcnt 0x0
	v_lshl_add_u64 v[0:1], v[0:1], 3, s[0:1]
	global_store_b128 v[0:1], v[8:11], off
                                        ; implicit-def: $vgpr8_vgpr9
                                        ; implicit-def: $vgpr0_vgpr1
.LBB80_21:
	s_wait_xcnt 0x0
	s_and_not1_saveexec_b32 s2, s2
	s_cbranch_execz .LBB80_23
; %bb.22:
	v_lshlrev_b32_e32 v6, 1, v6
	s_delay_alu instid0(VALU_DEP_1) | instskip(SKIP_1) | instid1(VALU_DEP_1)
	v_ashrrev_i32_e32 v7, 31, v6
	s_wait_kmcnt 0x0
	v_lshl_add_u64 v[14:15], v[6:7], 3, s[0:1]
	v_mul_f64_e32 v[6:7], v[2:3], v[8:9]
	v_mul_f64_e32 v[8:9], v[2:3], v[0:1]
	global_load_b128 v[10:13], v[14:15], off
	s_wait_loadcnt 0x0
	v_fmac_f64_e32 v[6:7], v[4:5], v[10:11]
	v_fmac_f64_e32 v[8:9], v[4:5], v[12:13]
	global_store_b128 v[14:15], v[6:9], off
.LBB80_23:
	s_endpgm
	.section	.rodata,"a",@progbits
	.p2align	6, 0x0
	.amdhsa_kernel _ZN9rocsparseL19gebsrmvn_2xn_kernelILj128ELj1ELj64EdEEvi20rocsparse_direction_NS_24const_host_device_scalarIT2_EEPKiS6_PKS3_S8_S4_PS3_21rocsparse_index_base_b
		.amdhsa_group_segment_fixed_size 0
		.amdhsa_private_segment_fixed_size 0
		.amdhsa_kernarg_size 72
		.amdhsa_user_sgpr_count 2
		.amdhsa_user_sgpr_dispatch_ptr 0
		.amdhsa_user_sgpr_queue_ptr 0
		.amdhsa_user_sgpr_kernarg_segment_ptr 1
		.amdhsa_user_sgpr_dispatch_id 0
		.amdhsa_user_sgpr_kernarg_preload_length 0
		.amdhsa_user_sgpr_kernarg_preload_offset 0
		.amdhsa_user_sgpr_private_segment_size 0
		.amdhsa_wavefront_size32 1
		.amdhsa_uses_dynamic_stack 0
		.amdhsa_enable_private_segment 0
		.amdhsa_system_sgpr_workgroup_id_x 1
		.amdhsa_system_sgpr_workgroup_id_y 0
		.amdhsa_system_sgpr_workgroup_id_z 0
		.amdhsa_system_sgpr_workgroup_info 0
		.amdhsa_system_vgpr_workitem_id 0
		.amdhsa_next_free_vgpr 24
		.amdhsa_next_free_sgpr 14
		.amdhsa_named_barrier_count 0
		.amdhsa_reserve_vcc 1
		.amdhsa_float_round_mode_32 0
		.amdhsa_float_round_mode_16_64 0
		.amdhsa_float_denorm_mode_32 3
		.amdhsa_float_denorm_mode_16_64 3
		.amdhsa_fp16_overflow 0
		.amdhsa_memory_ordered 1
		.amdhsa_forward_progress 1
		.amdhsa_inst_pref_size 10
		.amdhsa_round_robin_scheduling 0
		.amdhsa_exception_fp_ieee_invalid_op 0
		.amdhsa_exception_fp_denorm_src 0
		.amdhsa_exception_fp_ieee_div_zero 0
		.amdhsa_exception_fp_ieee_overflow 0
		.amdhsa_exception_fp_ieee_underflow 0
		.amdhsa_exception_fp_ieee_inexact 0
		.amdhsa_exception_int_div_zero 0
	.end_amdhsa_kernel
	.section	.text._ZN9rocsparseL19gebsrmvn_2xn_kernelILj128ELj1ELj64EdEEvi20rocsparse_direction_NS_24const_host_device_scalarIT2_EEPKiS6_PKS3_S8_S4_PS3_21rocsparse_index_base_b,"axG",@progbits,_ZN9rocsparseL19gebsrmvn_2xn_kernelILj128ELj1ELj64EdEEvi20rocsparse_direction_NS_24const_host_device_scalarIT2_EEPKiS6_PKS3_S8_S4_PS3_21rocsparse_index_base_b,comdat
.Lfunc_end80:
	.size	_ZN9rocsparseL19gebsrmvn_2xn_kernelILj128ELj1ELj64EdEEvi20rocsparse_direction_NS_24const_host_device_scalarIT2_EEPKiS6_PKS3_S8_S4_PS3_21rocsparse_index_base_b, .Lfunc_end80-_ZN9rocsparseL19gebsrmvn_2xn_kernelILj128ELj1ELj64EdEEvi20rocsparse_direction_NS_24const_host_device_scalarIT2_EEPKiS6_PKS3_S8_S4_PS3_21rocsparse_index_base_b
                                        ; -- End function
	.set _ZN9rocsparseL19gebsrmvn_2xn_kernelILj128ELj1ELj64EdEEvi20rocsparse_direction_NS_24const_host_device_scalarIT2_EEPKiS6_PKS3_S8_S4_PS3_21rocsparse_index_base_b.num_vgpr, 24
	.set _ZN9rocsparseL19gebsrmvn_2xn_kernelILj128ELj1ELj64EdEEvi20rocsparse_direction_NS_24const_host_device_scalarIT2_EEPKiS6_PKS3_S8_S4_PS3_21rocsparse_index_base_b.num_agpr, 0
	.set _ZN9rocsparseL19gebsrmvn_2xn_kernelILj128ELj1ELj64EdEEvi20rocsparse_direction_NS_24const_host_device_scalarIT2_EEPKiS6_PKS3_S8_S4_PS3_21rocsparse_index_base_b.numbered_sgpr, 14
	.set _ZN9rocsparseL19gebsrmvn_2xn_kernelILj128ELj1ELj64EdEEvi20rocsparse_direction_NS_24const_host_device_scalarIT2_EEPKiS6_PKS3_S8_S4_PS3_21rocsparse_index_base_b.num_named_barrier, 0
	.set _ZN9rocsparseL19gebsrmvn_2xn_kernelILj128ELj1ELj64EdEEvi20rocsparse_direction_NS_24const_host_device_scalarIT2_EEPKiS6_PKS3_S8_S4_PS3_21rocsparse_index_base_b.private_seg_size, 0
	.set _ZN9rocsparseL19gebsrmvn_2xn_kernelILj128ELj1ELj64EdEEvi20rocsparse_direction_NS_24const_host_device_scalarIT2_EEPKiS6_PKS3_S8_S4_PS3_21rocsparse_index_base_b.uses_vcc, 1
	.set _ZN9rocsparseL19gebsrmvn_2xn_kernelILj128ELj1ELj64EdEEvi20rocsparse_direction_NS_24const_host_device_scalarIT2_EEPKiS6_PKS3_S8_S4_PS3_21rocsparse_index_base_b.uses_flat_scratch, 0
	.set _ZN9rocsparseL19gebsrmvn_2xn_kernelILj128ELj1ELj64EdEEvi20rocsparse_direction_NS_24const_host_device_scalarIT2_EEPKiS6_PKS3_S8_S4_PS3_21rocsparse_index_base_b.has_dyn_sized_stack, 0
	.set _ZN9rocsparseL19gebsrmvn_2xn_kernelILj128ELj1ELj64EdEEvi20rocsparse_direction_NS_24const_host_device_scalarIT2_EEPKiS6_PKS3_S8_S4_PS3_21rocsparse_index_base_b.has_recursion, 0
	.set _ZN9rocsparseL19gebsrmvn_2xn_kernelILj128ELj1ELj64EdEEvi20rocsparse_direction_NS_24const_host_device_scalarIT2_EEPKiS6_PKS3_S8_S4_PS3_21rocsparse_index_base_b.has_indirect_call, 0
	.section	.AMDGPU.csdata,"",@progbits
; Kernel info:
; codeLenInByte = 1220
; TotalNumSgprs: 16
; NumVgprs: 24
; ScratchSize: 0
; MemoryBound: 0
; FloatMode: 240
; IeeeMode: 1
; LDSByteSize: 0 bytes/workgroup (compile time only)
; SGPRBlocks: 0
; VGPRBlocks: 1
; NumSGPRsForWavesPerEU: 16
; NumVGPRsForWavesPerEU: 24
; NamedBarCnt: 0
; Occupancy: 16
; WaveLimiterHint : 1
; COMPUTE_PGM_RSRC2:SCRATCH_EN: 0
; COMPUTE_PGM_RSRC2:USER_SGPR: 2
; COMPUTE_PGM_RSRC2:TRAP_HANDLER: 0
; COMPUTE_PGM_RSRC2:TGID_X_EN: 1
; COMPUTE_PGM_RSRC2:TGID_Y_EN: 0
; COMPUTE_PGM_RSRC2:TGID_Z_EN: 0
; COMPUTE_PGM_RSRC2:TIDIG_COMP_CNT: 0
	.section	.text._ZN9rocsparseL19gebsrmvn_2xn_kernelILj128ELj3ELj4EdEEvi20rocsparse_direction_NS_24const_host_device_scalarIT2_EEPKiS6_PKS3_S8_S4_PS3_21rocsparse_index_base_b,"axG",@progbits,_ZN9rocsparseL19gebsrmvn_2xn_kernelILj128ELj3ELj4EdEEvi20rocsparse_direction_NS_24const_host_device_scalarIT2_EEPKiS6_PKS3_S8_S4_PS3_21rocsparse_index_base_b,comdat
	.globl	_ZN9rocsparseL19gebsrmvn_2xn_kernelILj128ELj3ELj4EdEEvi20rocsparse_direction_NS_24const_host_device_scalarIT2_EEPKiS6_PKS3_S8_S4_PS3_21rocsparse_index_base_b ; -- Begin function _ZN9rocsparseL19gebsrmvn_2xn_kernelILj128ELj3ELj4EdEEvi20rocsparse_direction_NS_24const_host_device_scalarIT2_EEPKiS6_PKS3_S8_S4_PS3_21rocsparse_index_base_b
	.p2align	8
	.type	_ZN9rocsparseL19gebsrmvn_2xn_kernelILj128ELj3ELj4EdEEvi20rocsparse_direction_NS_24const_host_device_scalarIT2_EEPKiS6_PKS3_S8_S4_PS3_21rocsparse_index_base_b,@function
_ZN9rocsparseL19gebsrmvn_2xn_kernelILj128ELj3ELj4EdEEvi20rocsparse_direction_NS_24const_host_device_scalarIT2_EEPKiS6_PKS3_S8_S4_PS3_21rocsparse_index_base_b: ; @_ZN9rocsparseL19gebsrmvn_2xn_kernelILj128ELj3ELj4EdEEvi20rocsparse_direction_NS_24const_host_device_scalarIT2_EEPKiS6_PKS3_S8_S4_PS3_21rocsparse_index_base_b
; %bb.0:
	s_clause 0x2
	s_load_b64 s[12:13], s[0:1], 0x40
	s_load_b64 s[4:5], s[0:1], 0x8
	;; [unrolled: 1-line block ×3, first 2 shown]
	s_wait_kmcnt 0x0
	s_bitcmp1_b32 s13, 0
	v_mov_b64_e32 v[2:3], s[4:5]
	s_cselect_b32 s6, -1, 0
	s_delay_alu instid0(SALU_CYCLE_1)
	s_and_b32 vcc_lo, exec_lo, s6
	s_xor_b32 s6, s6, -1
	s_cbranch_vccnz .LBB81_2
; %bb.1:
	v_mov_b32_e32 v1, 0
	flat_load_b64 v[2:3], v1, s[4:5]
.LBB81_2:
	v_mov_b64_e32 v[4:5], s[2:3]
	s_and_not1_b32 vcc_lo, exec_lo, s6
	s_cbranch_vccnz .LBB81_4
; %bb.3:
	s_wait_xcnt 0x0
	v_mov_b32_e32 v1, 0
	flat_load_b64 v[4:5], v1, s[2:3]
.LBB81_4:
	s_wait_loadcnt_dscnt 0x0
	v_cmp_neq_f64_e32 vcc_lo, 0, v[2:3]
	s_delay_alu instid0(VALU_DEP_2) | instskip(SKIP_1) | instid1(SALU_CYCLE_1)
	v_cmp_neq_f64_e64 s2, 1.0, v[4:5]
	s_or_b32 s2, vcc_lo, s2
	s_and_saveexec_b32 s3, s2
	s_cbranch_execz .LBB81_23
; %bb.5:
	s_load_b64 s[2:3], s[0:1], 0x0
	s_bfe_u32 s4, ttmp6, 0x4000c
	s_and_b32 s5, ttmp6, 15
	s_add_co_i32 s4, s4, 1
	s_getreg_b32 s6, hwreg(HW_REG_IB_STS2, 6, 4)
	s_mul_i32 s4, ttmp9, s4
	v_lshrrev_b32_e32 v1, 2, v0
	s_add_co_i32 s5, s5, s4
	s_cmp_eq_u32 s6, 0
	s_cselect_b32 s4, ttmp9, s5
	s_delay_alu instid0(VALU_DEP_1) | instid1(SALU_CYCLE_1)
	v_lshl_or_b32 v6, s4, 5, v1
	s_wait_kmcnt 0x0
	s_delay_alu instid0(VALU_DEP_1)
	v_cmp_gt_i32_e32 vcc_lo, s2, v6
	s_and_b32 exec_lo, exec_lo, vcc_lo
	s_cbranch_execz .LBB81_23
; %bb.6:
	s_load_b256 s[4:11], s[0:1], 0x10
	v_ashrrev_i32_e32 v7, 31, v6
	s_cmp_lg_u32 s3, 0
	s_wait_kmcnt 0x0
	s_delay_alu instid0(VALU_DEP_1)
	v_lshl_add_u64 v[8:9], v[6:7], 2, s[4:5]
	v_and_b32_e32 v7, 3, v0
	global_load_b64 v[8:9], v[8:9], off
	s_wait_loadcnt 0x0
	v_subrev_nc_u32_e32 v0, s12, v8
	v_subrev_nc_u32_e32 v12, s12, v9
	s_delay_alu instid0(VALU_DEP_2) | instskip(NEXT) | instid1(VALU_DEP_1)
	v_add_nc_u32_e32 v13, v0, v7
	v_cmp_lt_i32_e64 s2, v13, v12
	s_cbranch_scc0 .LBB81_12
; %bb.7:
	v_mov_b64_e32 v[0:1], 0
	v_mov_b64_e32 v[8:9], 0
	s_and_saveexec_b32 s3, s2
	s_cbranch_execz .LBB81_11
; %bb.8:
	v_mul_lo_u32 v10, v13, 6
	v_mov_b64_e32 v[0:1], 0
	v_mov_b64_e32 v[8:9], 0
	v_dual_mov_b32 v11, 0 :: v_dual_mov_b32 v14, v13
	s_mov_b32 s4, 0
.LBB81_9:                               ; =>This Inner Loop Header: Depth=1
	global_load_b32 v15, v14, s[6:7] scale_offset
	v_lshl_add_u64 v[20:21], v[10:11], 3, s[8:9]
	s_wait_xcnt 0x0
	v_add_nc_u32_e32 v14, 4, v14
	s_delay_alu instid0(VALU_DEP_1) | instskip(SKIP_3) | instid1(VALU_DEP_1)
	v_cmp_ge_i32_e32 vcc_lo, v14, v12
	s_or_b32 s4, vcc_lo, s4
	s_wait_loadcnt 0x0
	v_subrev_nc_u32_e32 v15, s12, v15
	v_lshl_add_u32 v15, v15, 1, v15
	global_load_b128 v[16:19], v[20:21], off
	global_load_b64 v[28:29], v15, s[10:11] scale_offset
	s_wait_xcnt 0x1
	v_dual_mov_b32 v21, v11 :: v_dual_add_nc_u32 v20, 2, v10
	s_wait_xcnt 0x0
	v_dual_add_nc_u32 v26, 1, v15 :: v_dual_add_nc_u32 v15, 2, v15
	s_delay_alu instid0(VALU_DEP_2)
	v_lshl_add_u64 v[24:25], v[20:21], 3, s[8:9]
	global_load_b128 v[20:23], v[24:25], off
	global_load_b64 v[30:31], v26, s[10:11] scale_offset
	s_wait_xcnt 0x1
	v_dual_mov_b32 v25, v11 :: v_dual_add_nc_u32 v24, 4, v10
	v_add_nc_u32_e32 v10, 24, v10
	s_delay_alu instid0(VALU_DEP_2)
	v_lshl_add_u64 v[32:33], v[24:25], 3, s[8:9]
	global_load_b128 v[24:27], v[32:33], off
	global_load_b64 v[34:35], v15, s[10:11] scale_offset
	s_wait_loadcnt 0x4
	v_fmac_f64_e32 v[0:1], v[16:17], v[28:29]
	v_fmac_f64_e32 v[8:9], v[18:19], v[28:29]
	s_wait_loadcnt 0x2
	s_delay_alu instid0(VALU_DEP_2) | instskip(NEXT) | instid1(VALU_DEP_2)
	v_fmac_f64_e32 v[0:1], v[20:21], v[30:31]
	v_fmac_f64_e32 v[8:9], v[22:23], v[30:31]
	s_wait_loadcnt 0x0
	s_delay_alu instid0(VALU_DEP_2) | instskip(NEXT) | instid1(VALU_DEP_2)
	v_fmac_f64_e32 v[0:1], v[24:25], v[34:35]
	v_fmac_f64_e32 v[8:9], v[26:27], v[34:35]
	s_and_not1_b32 exec_lo, exec_lo, s4
	s_cbranch_execnz .LBB81_9
; %bb.10:
	s_or_b32 exec_lo, exec_lo, s4
.LBB81_11:
	s_delay_alu instid0(SALU_CYCLE_1)
	s_or_b32 exec_lo, exec_lo, s3
	s_cbranch_execz .LBB81_13
	s_branch .LBB81_18
.LBB81_12:
                                        ; implicit-def: $vgpr0_vgpr1
                                        ; implicit-def: $vgpr8_vgpr9
.LBB81_13:
	v_mov_b64_e32 v[0:1], 0
	v_mov_b64_e32 v[8:9], 0
	s_and_saveexec_b32 s3, s2
	s_cbranch_execz .LBB81_17
; %bb.14:
	v_mad_u32 v14, v13, 6, 5
	v_mov_b64_e32 v[0:1], 0
	v_mov_b64_e32 v[8:9], 0
	v_mov_b32_e32 v11, 0
	s_mov_b32 s2, 0
.LBB81_15:                              ; =>This Inner Loop Header: Depth=1
	global_load_b32 v15, v13, s[6:7] scale_offset
	v_dual_add_nc_u32 v10, -5, v14 :: v_dual_add_nc_u32 v26, -2, v14
	s_wait_xcnt 0x0
	v_add_nc_u32_e32 v13, 4, v13
	s_delay_alu instid0(VALU_DEP_2) | instskip(NEXT) | instid1(VALU_DEP_2)
	v_lshl_add_u64 v[20:21], v[10:11], 3, s[8:9]
	v_cmp_ge_i32_e32 vcc_lo, v13, v12
	s_or_b32 s2, vcc_lo, s2
	s_wait_loadcnt 0x0
	v_subrev_nc_u32_e32 v15, s12, v15
	s_delay_alu instid0(VALU_DEP_1)
	v_lshl_add_u32 v10, v15, 1, v15
	s_clause 0x1
	global_load_b128 v[16:19], v[20:21], off
	global_load_b64 v[22:23], v26, s[8:9] scale_offset
	global_load_b64 v[24:25], v10, s[10:11] scale_offset
	v_add_nc_u32_e32 v15, -1, v14
	s_wait_xcnt 0x0
	v_dual_add_nc_u32 v28, 1, v10 :: v_dual_add_nc_u32 v10, 2, v10
	global_load_b64 v[20:21], v15, s[8:9] scale_offset
	global_load_b64 v[26:27], v28, s[10:11] scale_offset
	s_wait_xcnt 0x1
	v_add_nc_u32_e32 v15, -3, v14
	s_clause 0x1
	global_load_b64 v[28:29], v14, s[8:9] scale_offset
	global_load_b64 v[30:31], v15, s[8:9] scale_offset
	;; [unrolled: 1-line block ×3, first 2 shown]
	s_wait_xcnt 0x2
	v_add_nc_u32_e32 v14, 24, v14
	s_wait_loadcnt 0x5
	v_fmac_f64_e32 v[0:1], v[16:17], v[24:25]
	v_fmac_f64_e32 v[8:9], v[22:23], v[24:25]
	s_wait_loadcnt 0x3
	s_delay_alu instid0(VALU_DEP_2) | instskip(NEXT) | instid1(VALU_DEP_2)
	v_fmac_f64_e32 v[0:1], v[18:19], v[26:27]
	v_fmac_f64_e32 v[8:9], v[20:21], v[26:27]
	s_wait_loadcnt 0x0
	s_delay_alu instid0(VALU_DEP_2) | instskip(NEXT) | instid1(VALU_DEP_2)
	v_fmac_f64_e32 v[0:1], v[30:31], v[32:33]
	v_fmac_f64_e32 v[8:9], v[28:29], v[32:33]
	s_and_not1_b32 exec_lo, exec_lo, s2
	s_cbranch_execnz .LBB81_15
; %bb.16:
	s_or_b32 exec_lo, exec_lo, s2
.LBB81_17:
	s_delay_alu instid0(SALU_CYCLE_1)
	s_or_b32 exec_lo, exec_lo, s3
.LBB81_18:
	v_mbcnt_lo_u32_b32 v14, -1, 0
	s_delay_alu instid0(VALU_DEP_1) | instskip(NEXT) | instid1(VALU_DEP_1)
	v_xor_b32_e32 v10, 2, v14
	v_cmp_gt_i32_e32 vcc_lo, 32, v10
	v_cndmask_b32_e32 v10, v14, v10, vcc_lo
	s_delay_alu instid0(VALU_DEP_1)
	v_lshlrev_b32_e32 v13, 2, v10
	ds_bpermute_b32 v10, v13, v0
	ds_bpermute_b32 v11, v13, v1
	;; [unrolled: 1-line block ×4, first 2 shown]
	s_wait_dscnt 0x2
	v_add_f64_e32 v[0:1], v[0:1], v[10:11]
	s_wait_dscnt 0x0
	v_dual_add_f64 v[10:11], v[8:9], v[12:13] :: v_dual_bitop2_b32 v8, 1, v14 bitop3:0x14
	s_delay_alu instid0(VALU_DEP_1) | instskip(SKIP_2) | instid1(VALU_DEP_2)
	v_cmp_gt_i32_e32 vcc_lo, 32, v8
	v_cndmask_b32_e32 v8, v14, v8, vcc_lo
	v_cmp_eq_u32_e32 vcc_lo, 3, v7
	v_lshlrev_b32_e32 v13, 2, v8
	ds_bpermute_b32 v8, v13, v0
	ds_bpermute_b32 v9, v13, v1
	ds_bpermute_b32 v12, v13, v10
	ds_bpermute_b32 v13, v13, v11
	s_and_b32 exec_lo, exec_lo, vcc_lo
	s_cbranch_execz .LBB81_23
; %bb.19:
	s_wait_dscnt 0x2
	v_add_f64_e32 v[8:9], v[0:1], v[8:9]
	s_wait_dscnt 0x0
	v_add_f64_e32 v[0:1], v[10:11], v[12:13]
	s_load_b64 s[0:1], s[0:1], 0x38
	s_mov_b32 s2, exec_lo
	v_cmpx_eq_f64_e32 0, v[4:5]
	s_xor_b32 s2, exec_lo, s2
	s_cbranch_execz .LBB81_21
; %bb.20:
	s_delay_alu instid0(VALU_DEP_3) | instskip(NEXT) | instid1(VALU_DEP_3)
	v_mul_f64_e32 v[8:9], v[2:3], v[8:9]
	v_dual_mul_f64 v[10:11], v[2:3], v[0:1] :: v_dual_lshlrev_b32 v0, 1, v6
                                        ; implicit-def: $vgpr6
                                        ; implicit-def: $vgpr2_vgpr3
                                        ; implicit-def: $vgpr4_vgpr5
	s_delay_alu instid0(VALU_DEP_1) | instskip(SKIP_1) | instid1(VALU_DEP_1)
	v_ashrrev_i32_e32 v1, 31, v0
	s_wait_kmcnt 0x0
	v_lshl_add_u64 v[0:1], v[0:1], 3, s[0:1]
	global_store_b128 v[0:1], v[8:11], off
                                        ; implicit-def: $vgpr8_vgpr9
                                        ; implicit-def: $vgpr0_vgpr1
.LBB81_21:
	s_wait_xcnt 0x0
	s_and_not1_saveexec_b32 s2, s2
	s_cbranch_execz .LBB81_23
; %bb.22:
	v_lshlrev_b32_e32 v6, 1, v6
	s_delay_alu instid0(VALU_DEP_1) | instskip(SKIP_1) | instid1(VALU_DEP_1)
	v_ashrrev_i32_e32 v7, 31, v6
	s_wait_kmcnt 0x0
	v_lshl_add_u64 v[14:15], v[6:7], 3, s[0:1]
	v_mul_f64_e32 v[6:7], v[2:3], v[8:9]
	v_mul_f64_e32 v[8:9], v[2:3], v[0:1]
	global_load_b128 v[10:13], v[14:15], off
	s_wait_loadcnt 0x0
	v_fmac_f64_e32 v[6:7], v[4:5], v[10:11]
	v_fmac_f64_e32 v[8:9], v[4:5], v[12:13]
	global_store_b128 v[14:15], v[6:9], off
.LBB81_23:
	s_endpgm
	.section	.rodata,"a",@progbits
	.p2align	6, 0x0
	.amdhsa_kernel _ZN9rocsparseL19gebsrmvn_2xn_kernelILj128ELj3ELj4EdEEvi20rocsparse_direction_NS_24const_host_device_scalarIT2_EEPKiS6_PKS3_S8_S4_PS3_21rocsparse_index_base_b
		.amdhsa_group_segment_fixed_size 0
		.amdhsa_private_segment_fixed_size 0
		.amdhsa_kernarg_size 72
		.amdhsa_user_sgpr_count 2
		.amdhsa_user_sgpr_dispatch_ptr 0
		.amdhsa_user_sgpr_queue_ptr 0
		.amdhsa_user_sgpr_kernarg_segment_ptr 1
		.amdhsa_user_sgpr_dispatch_id 0
		.amdhsa_user_sgpr_kernarg_preload_length 0
		.amdhsa_user_sgpr_kernarg_preload_offset 0
		.amdhsa_user_sgpr_private_segment_size 0
		.amdhsa_wavefront_size32 1
		.amdhsa_uses_dynamic_stack 0
		.amdhsa_enable_private_segment 0
		.amdhsa_system_sgpr_workgroup_id_x 1
		.amdhsa_system_sgpr_workgroup_id_y 0
		.amdhsa_system_sgpr_workgroup_id_z 0
		.amdhsa_system_sgpr_workgroup_info 0
		.amdhsa_system_vgpr_workitem_id 0
		.amdhsa_next_free_vgpr 36
		.amdhsa_next_free_sgpr 14
		.amdhsa_named_barrier_count 0
		.amdhsa_reserve_vcc 1
		.amdhsa_float_round_mode_32 0
		.amdhsa_float_round_mode_16_64 0
		.amdhsa_float_denorm_mode_32 3
		.amdhsa_float_denorm_mode_16_64 3
		.amdhsa_fp16_overflow 0
		.amdhsa_memory_ordered 1
		.amdhsa_forward_progress 1
		.amdhsa_inst_pref_size 10
		.amdhsa_round_robin_scheduling 0
		.amdhsa_exception_fp_ieee_invalid_op 0
		.amdhsa_exception_fp_denorm_src 0
		.amdhsa_exception_fp_ieee_div_zero 0
		.amdhsa_exception_fp_ieee_overflow 0
		.amdhsa_exception_fp_ieee_underflow 0
		.amdhsa_exception_fp_ieee_inexact 0
		.amdhsa_exception_int_div_zero 0
	.end_amdhsa_kernel
	.section	.text._ZN9rocsparseL19gebsrmvn_2xn_kernelILj128ELj3ELj4EdEEvi20rocsparse_direction_NS_24const_host_device_scalarIT2_EEPKiS6_PKS3_S8_S4_PS3_21rocsparse_index_base_b,"axG",@progbits,_ZN9rocsparseL19gebsrmvn_2xn_kernelILj128ELj3ELj4EdEEvi20rocsparse_direction_NS_24const_host_device_scalarIT2_EEPKiS6_PKS3_S8_S4_PS3_21rocsparse_index_base_b,comdat
.Lfunc_end81:
	.size	_ZN9rocsparseL19gebsrmvn_2xn_kernelILj128ELj3ELj4EdEEvi20rocsparse_direction_NS_24const_host_device_scalarIT2_EEPKiS6_PKS3_S8_S4_PS3_21rocsparse_index_base_b, .Lfunc_end81-_ZN9rocsparseL19gebsrmvn_2xn_kernelILj128ELj3ELj4EdEEvi20rocsparse_direction_NS_24const_host_device_scalarIT2_EEPKiS6_PKS3_S8_S4_PS3_21rocsparse_index_base_b
                                        ; -- End function
	.set _ZN9rocsparseL19gebsrmvn_2xn_kernelILj128ELj3ELj4EdEEvi20rocsparse_direction_NS_24const_host_device_scalarIT2_EEPKiS6_PKS3_S8_S4_PS3_21rocsparse_index_base_b.num_vgpr, 36
	.set _ZN9rocsparseL19gebsrmvn_2xn_kernelILj128ELj3ELj4EdEEvi20rocsparse_direction_NS_24const_host_device_scalarIT2_EEPKiS6_PKS3_S8_S4_PS3_21rocsparse_index_base_b.num_agpr, 0
	.set _ZN9rocsparseL19gebsrmvn_2xn_kernelILj128ELj3ELj4EdEEvi20rocsparse_direction_NS_24const_host_device_scalarIT2_EEPKiS6_PKS3_S8_S4_PS3_21rocsparse_index_base_b.numbered_sgpr, 14
	.set _ZN9rocsparseL19gebsrmvn_2xn_kernelILj128ELj3ELj4EdEEvi20rocsparse_direction_NS_24const_host_device_scalarIT2_EEPKiS6_PKS3_S8_S4_PS3_21rocsparse_index_base_b.num_named_barrier, 0
	.set _ZN9rocsparseL19gebsrmvn_2xn_kernelILj128ELj3ELj4EdEEvi20rocsparse_direction_NS_24const_host_device_scalarIT2_EEPKiS6_PKS3_S8_S4_PS3_21rocsparse_index_base_b.private_seg_size, 0
	.set _ZN9rocsparseL19gebsrmvn_2xn_kernelILj128ELj3ELj4EdEEvi20rocsparse_direction_NS_24const_host_device_scalarIT2_EEPKiS6_PKS3_S8_S4_PS3_21rocsparse_index_base_b.uses_vcc, 1
	.set _ZN9rocsparseL19gebsrmvn_2xn_kernelILj128ELj3ELj4EdEEvi20rocsparse_direction_NS_24const_host_device_scalarIT2_EEPKiS6_PKS3_S8_S4_PS3_21rocsparse_index_base_b.uses_flat_scratch, 0
	.set _ZN9rocsparseL19gebsrmvn_2xn_kernelILj128ELj3ELj4EdEEvi20rocsparse_direction_NS_24const_host_device_scalarIT2_EEPKiS6_PKS3_S8_S4_PS3_21rocsparse_index_base_b.has_dyn_sized_stack, 0
	.set _ZN9rocsparseL19gebsrmvn_2xn_kernelILj128ELj3ELj4EdEEvi20rocsparse_direction_NS_24const_host_device_scalarIT2_EEPKiS6_PKS3_S8_S4_PS3_21rocsparse_index_base_b.has_recursion, 0
	.set _ZN9rocsparseL19gebsrmvn_2xn_kernelILj128ELj3ELj4EdEEvi20rocsparse_direction_NS_24const_host_device_scalarIT2_EEPKiS6_PKS3_S8_S4_PS3_21rocsparse_index_base_b.has_indirect_call, 0
	.section	.AMDGPU.csdata,"",@progbits
; Kernel info:
; codeLenInByte = 1252
; TotalNumSgprs: 16
; NumVgprs: 36
; ScratchSize: 0
; MemoryBound: 0
; FloatMode: 240
; IeeeMode: 1
; LDSByteSize: 0 bytes/workgroup (compile time only)
; SGPRBlocks: 0
; VGPRBlocks: 2
; NumSGPRsForWavesPerEU: 16
; NumVGPRsForWavesPerEU: 36
; NamedBarCnt: 0
; Occupancy: 16
; WaveLimiterHint : 1
; COMPUTE_PGM_RSRC2:SCRATCH_EN: 0
; COMPUTE_PGM_RSRC2:USER_SGPR: 2
; COMPUTE_PGM_RSRC2:TRAP_HANDLER: 0
; COMPUTE_PGM_RSRC2:TGID_X_EN: 1
; COMPUTE_PGM_RSRC2:TGID_Y_EN: 0
; COMPUTE_PGM_RSRC2:TGID_Z_EN: 0
; COMPUTE_PGM_RSRC2:TIDIG_COMP_CNT: 0
	.section	.text._ZN9rocsparseL19gebsrmvn_2xn_kernelILj128ELj3ELj8EdEEvi20rocsparse_direction_NS_24const_host_device_scalarIT2_EEPKiS6_PKS3_S8_S4_PS3_21rocsparse_index_base_b,"axG",@progbits,_ZN9rocsparseL19gebsrmvn_2xn_kernelILj128ELj3ELj8EdEEvi20rocsparse_direction_NS_24const_host_device_scalarIT2_EEPKiS6_PKS3_S8_S4_PS3_21rocsparse_index_base_b,comdat
	.globl	_ZN9rocsparseL19gebsrmvn_2xn_kernelILj128ELj3ELj8EdEEvi20rocsparse_direction_NS_24const_host_device_scalarIT2_EEPKiS6_PKS3_S8_S4_PS3_21rocsparse_index_base_b ; -- Begin function _ZN9rocsparseL19gebsrmvn_2xn_kernelILj128ELj3ELj8EdEEvi20rocsparse_direction_NS_24const_host_device_scalarIT2_EEPKiS6_PKS3_S8_S4_PS3_21rocsparse_index_base_b
	.p2align	8
	.type	_ZN9rocsparseL19gebsrmvn_2xn_kernelILj128ELj3ELj8EdEEvi20rocsparse_direction_NS_24const_host_device_scalarIT2_EEPKiS6_PKS3_S8_S4_PS3_21rocsparse_index_base_b,@function
_ZN9rocsparseL19gebsrmvn_2xn_kernelILj128ELj3ELj8EdEEvi20rocsparse_direction_NS_24const_host_device_scalarIT2_EEPKiS6_PKS3_S8_S4_PS3_21rocsparse_index_base_b: ; @_ZN9rocsparseL19gebsrmvn_2xn_kernelILj128ELj3ELj8EdEEvi20rocsparse_direction_NS_24const_host_device_scalarIT2_EEPKiS6_PKS3_S8_S4_PS3_21rocsparse_index_base_b
; %bb.0:
	s_clause 0x2
	s_load_b64 s[12:13], s[0:1], 0x40
	s_load_b64 s[4:5], s[0:1], 0x8
	;; [unrolled: 1-line block ×3, first 2 shown]
	s_wait_kmcnt 0x0
	s_bitcmp1_b32 s13, 0
	v_mov_b64_e32 v[2:3], s[4:5]
	s_cselect_b32 s6, -1, 0
	s_delay_alu instid0(SALU_CYCLE_1)
	s_and_b32 vcc_lo, exec_lo, s6
	s_xor_b32 s6, s6, -1
	s_cbranch_vccnz .LBB82_2
; %bb.1:
	v_mov_b32_e32 v1, 0
	flat_load_b64 v[2:3], v1, s[4:5]
.LBB82_2:
	v_mov_b64_e32 v[4:5], s[2:3]
	s_and_not1_b32 vcc_lo, exec_lo, s6
	s_cbranch_vccnz .LBB82_4
; %bb.3:
	s_wait_xcnt 0x0
	v_mov_b32_e32 v1, 0
	flat_load_b64 v[4:5], v1, s[2:3]
.LBB82_4:
	s_wait_loadcnt_dscnt 0x0
	v_cmp_neq_f64_e32 vcc_lo, 0, v[2:3]
	s_delay_alu instid0(VALU_DEP_2) | instskip(SKIP_1) | instid1(SALU_CYCLE_1)
	v_cmp_neq_f64_e64 s2, 1.0, v[4:5]
	s_or_b32 s2, vcc_lo, s2
	s_and_saveexec_b32 s3, s2
	s_cbranch_execz .LBB82_23
; %bb.5:
	s_load_b64 s[2:3], s[0:1], 0x0
	s_bfe_u32 s4, ttmp6, 0x4000c
	s_and_b32 s5, ttmp6, 15
	s_add_co_i32 s4, s4, 1
	s_getreg_b32 s6, hwreg(HW_REG_IB_STS2, 6, 4)
	s_mul_i32 s4, ttmp9, s4
	v_lshrrev_b32_e32 v1, 3, v0
	s_add_co_i32 s5, s5, s4
	s_cmp_eq_u32 s6, 0
	s_cselect_b32 s4, ttmp9, s5
	s_delay_alu instid0(VALU_DEP_1) | instid1(SALU_CYCLE_1)
	v_lshl_or_b32 v6, s4, 4, v1
	s_wait_kmcnt 0x0
	s_delay_alu instid0(VALU_DEP_1)
	v_cmp_gt_i32_e32 vcc_lo, s2, v6
	s_and_b32 exec_lo, exec_lo, vcc_lo
	s_cbranch_execz .LBB82_23
; %bb.6:
	s_load_b256 s[4:11], s[0:1], 0x10
	v_ashrrev_i32_e32 v7, 31, v6
	s_cmp_lg_u32 s3, 0
	s_wait_kmcnt 0x0
	s_delay_alu instid0(VALU_DEP_1)
	v_lshl_add_u64 v[8:9], v[6:7], 2, s[4:5]
	v_and_b32_e32 v7, 7, v0
	global_load_b64 v[8:9], v[8:9], off
	s_wait_loadcnt 0x0
	v_subrev_nc_u32_e32 v0, s12, v8
	v_subrev_nc_u32_e32 v12, s12, v9
	s_delay_alu instid0(VALU_DEP_2) | instskip(NEXT) | instid1(VALU_DEP_1)
	v_add_nc_u32_e32 v13, v0, v7
	v_cmp_lt_i32_e64 s2, v13, v12
	s_cbranch_scc0 .LBB82_12
; %bb.7:
	v_mov_b64_e32 v[0:1], 0
	v_mov_b64_e32 v[8:9], 0
	s_and_saveexec_b32 s3, s2
	s_cbranch_execz .LBB82_11
; %bb.8:
	v_mul_lo_u32 v10, v13, 6
	v_mov_b64_e32 v[0:1], 0
	v_mov_b64_e32 v[8:9], 0
	v_dual_mov_b32 v11, 0 :: v_dual_mov_b32 v14, v13
	s_mov_b32 s4, 0
.LBB82_9:                               ; =>This Inner Loop Header: Depth=1
	global_load_b32 v15, v14, s[6:7] scale_offset
	v_lshl_add_u64 v[20:21], v[10:11], 3, s[8:9]
	s_wait_xcnt 0x0
	v_add_nc_u32_e32 v14, 8, v14
	s_delay_alu instid0(VALU_DEP_1) | instskip(SKIP_3) | instid1(VALU_DEP_1)
	v_cmp_ge_i32_e32 vcc_lo, v14, v12
	s_or_b32 s4, vcc_lo, s4
	s_wait_loadcnt 0x0
	v_subrev_nc_u32_e32 v15, s12, v15
	v_lshl_add_u32 v15, v15, 1, v15
	global_load_b128 v[16:19], v[20:21], off
	global_load_b64 v[28:29], v15, s[10:11] scale_offset
	s_wait_xcnt 0x1
	v_dual_mov_b32 v21, v11 :: v_dual_add_nc_u32 v20, 2, v10
	s_wait_xcnt 0x0
	v_dual_add_nc_u32 v26, 1, v15 :: v_dual_add_nc_u32 v15, 2, v15
	s_delay_alu instid0(VALU_DEP_2)
	v_lshl_add_u64 v[24:25], v[20:21], 3, s[8:9]
	global_load_b128 v[20:23], v[24:25], off
	global_load_b64 v[30:31], v26, s[10:11] scale_offset
	s_wait_xcnt 0x1
	v_dual_mov_b32 v25, v11 :: v_dual_add_nc_u32 v24, 4, v10
	v_add_nc_u32_e32 v10, 48, v10
	s_delay_alu instid0(VALU_DEP_2)
	v_lshl_add_u64 v[32:33], v[24:25], 3, s[8:9]
	global_load_b128 v[24:27], v[32:33], off
	global_load_b64 v[34:35], v15, s[10:11] scale_offset
	s_wait_loadcnt 0x4
	v_fmac_f64_e32 v[0:1], v[16:17], v[28:29]
	v_fmac_f64_e32 v[8:9], v[18:19], v[28:29]
	s_wait_loadcnt 0x2
	s_delay_alu instid0(VALU_DEP_2) | instskip(NEXT) | instid1(VALU_DEP_2)
	v_fmac_f64_e32 v[0:1], v[20:21], v[30:31]
	v_fmac_f64_e32 v[8:9], v[22:23], v[30:31]
	s_wait_loadcnt 0x0
	s_delay_alu instid0(VALU_DEP_2) | instskip(NEXT) | instid1(VALU_DEP_2)
	v_fmac_f64_e32 v[0:1], v[24:25], v[34:35]
	v_fmac_f64_e32 v[8:9], v[26:27], v[34:35]
	s_and_not1_b32 exec_lo, exec_lo, s4
	s_cbranch_execnz .LBB82_9
; %bb.10:
	s_or_b32 exec_lo, exec_lo, s4
.LBB82_11:
	s_delay_alu instid0(SALU_CYCLE_1)
	s_or_b32 exec_lo, exec_lo, s3
	s_cbranch_execz .LBB82_13
	s_branch .LBB82_18
.LBB82_12:
                                        ; implicit-def: $vgpr0_vgpr1
                                        ; implicit-def: $vgpr8_vgpr9
.LBB82_13:
	v_mov_b64_e32 v[0:1], 0
	v_mov_b64_e32 v[8:9], 0
	s_and_saveexec_b32 s3, s2
	s_cbranch_execz .LBB82_17
; %bb.14:
	v_mad_u32 v14, v13, 6, 5
	v_mov_b64_e32 v[0:1], 0
	v_mov_b64_e32 v[8:9], 0
	v_mov_b32_e32 v11, 0
	s_mov_b32 s2, 0
.LBB82_15:                              ; =>This Inner Loop Header: Depth=1
	global_load_b32 v15, v13, s[6:7] scale_offset
	v_dual_add_nc_u32 v10, -5, v14 :: v_dual_add_nc_u32 v26, -2, v14
	s_wait_xcnt 0x0
	v_add_nc_u32_e32 v13, 8, v13
	s_delay_alu instid0(VALU_DEP_2) | instskip(NEXT) | instid1(VALU_DEP_2)
	v_lshl_add_u64 v[20:21], v[10:11], 3, s[8:9]
	v_cmp_ge_i32_e32 vcc_lo, v13, v12
	s_or_b32 s2, vcc_lo, s2
	s_wait_loadcnt 0x0
	v_subrev_nc_u32_e32 v15, s12, v15
	s_delay_alu instid0(VALU_DEP_1)
	v_lshl_add_u32 v10, v15, 1, v15
	s_clause 0x1
	global_load_b128 v[16:19], v[20:21], off
	global_load_b64 v[22:23], v26, s[8:9] scale_offset
	global_load_b64 v[24:25], v10, s[10:11] scale_offset
	v_add_nc_u32_e32 v15, -1, v14
	s_wait_xcnt 0x0
	v_dual_add_nc_u32 v28, 1, v10 :: v_dual_add_nc_u32 v10, 2, v10
	global_load_b64 v[20:21], v15, s[8:9] scale_offset
	global_load_b64 v[26:27], v28, s[10:11] scale_offset
	s_wait_xcnt 0x1
	v_add_nc_u32_e32 v15, -3, v14
	s_clause 0x1
	global_load_b64 v[28:29], v14, s[8:9] scale_offset
	global_load_b64 v[30:31], v15, s[8:9] scale_offset
	;; [unrolled: 1-line block ×3, first 2 shown]
	s_wait_xcnt 0x2
	v_add_nc_u32_e32 v14, 48, v14
	s_wait_loadcnt 0x5
	v_fmac_f64_e32 v[0:1], v[16:17], v[24:25]
	v_fmac_f64_e32 v[8:9], v[22:23], v[24:25]
	s_wait_loadcnt 0x3
	s_delay_alu instid0(VALU_DEP_2) | instskip(NEXT) | instid1(VALU_DEP_2)
	v_fmac_f64_e32 v[0:1], v[18:19], v[26:27]
	v_fmac_f64_e32 v[8:9], v[20:21], v[26:27]
	s_wait_loadcnt 0x0
	s_delay_alu instid0(VALU_DEP_2) | instskip(NEXT) | instid1(VALU_DEP_2)
	v_fmac_f64_e32 v[0:1], v[30:31], v[32:33]
	v_fmac_f64_e32 v[8:9], v[28:29], v[32:33]
	s_and_not1_b32 exec_lo, exec_lo, s2
	s_cbranch_execnz .LBB82_15
; %bb.16:
	s_or_b32 exec_lo, exec_lo, s2
.LBB82_17:
	s_delay_alu instid0(SALU_CYCLE_1)
	s_or_b32 exec_lo, exec_lo, s3
.LBB82_18:
	v_mbcnt_lo_u32_b32 v14, -1, 0
	s_delay_alu instid0(VALU_DEP_1) | instskip(NEXT) | instid1(VALU_DEP_1)
	v_xor_b32_e32 v10, 4, v14
	v_cmp_gt_i32_e32 vcc_lo, 32, v10
	v_cndmask_b32_e32 v10, v14, v10, vcc_lo
	s_delay_alu instid0(VALU_DEP_1)
	v_lshlrev_b32_e32 v13, 2, v10
	ds_bpermute_b32 v10, v13, v0
	ds_bpermute_b32 v11, v13, v1
	s_wait_dscnt 0x0
	v_add_f64_e32 v[0:1], v[0:1], v[10:11]
	v_xor_b32_e32 v10, 2, v14
	s_delay_alu instid0(VALU_DEP_1)
	v_cmp_gt_i32_e32 vcc_lo, 32, v10
	v_cndmask_b32_e32 v10, v14, v10, vcc_lo
	ds_bpermute_b32 v12, v13, v8
	ds_bpermute_b32 v13, v13, v9
	s_wait_dscnt 0x0
	v_dual_add_f64 v[8:9], v[8:9], v[12:13] :: v_dual_lshlrev_b32 v13, 2, v10
	ds_bpermute_b32 v10, v13, v0
	ds_bpermute_b32 v11, v13, v1
	s_wait_dscnt 0x0
	v_add_f64_e32 v[0:1], v[0:1], v[10:11]
	ds_bpermute_b32 v12, v13, v8
	ds_bpermute_b32 v13, v13, v9
	s_wait_dscnt 0x0
	v_dual_add_f64 v[10:11], v[8:9], v[12:13] :: v_dual_bitop2_b32 v8, 1, v14 bitop3:0x14
	s_delay_alu instid0(VALU_DEP_1) | instskip(SKIP_2) | instid1(VALU_DEP_2)
	v_cmp_gt_i32_e32 vcc_lo, 32, v8
	v_cndmask_b32_e32 v8, v14, v8, vcc_lo
	v_cmp_eq_u32_e32 vcc_lo, 7, v7
	v_lshlrev_b32_e32 v13, 2, v8
	ds_bpermute_b32 v8, v13, v0
	ds_bpermute_b32 v9, v13, v1
	;; [unrolled: 1-line block ×4, first 2 shown]
	s_and_b32 exec_lo, exec_lo, vcc_lo
	s_cbranch_execz .LBB82_23
; %bb.19:
	s_wait_dscnt 0x2
	v_add_f64_e32 v[8:9], v[0:1], v[8:9]
	s_wait_dscnt 0x0
	v_add_f64_e32 v[0:1], v[10:11], v[12:13]
	s_load_b64 s[0:1], s[0:1], 0x38
	s_mov_b32 s2, exec_lo
	v_cmpx_eq_f64_e32 0, v[4:5]
	s_xor_b32 s2, exec_lo, s2
	s_cbranch_execz .LBB82_21
; %bb.20:
	s_delay_alu instid0(VALU_DEP_3) | instskip(NEXT) | instid1(VALU_DEP_3)
	v_mul_f64_e32 v[8:9], v[2:3], v[8:9]
	v_dual_mul_f64 v[10:11], v[2:3], v[0:1] :: v_dual_lshlrev_b32 v0, 1, v6
                                        ; implicit-def: $vgpr6
                                        ; implicit-def: $vgpr2_vgpr3
                                        ; implicit-def: $vgpr4_vgpr5
	s_delay_alu instid0(VALU_DEP_1) | instskip(SKIP_1) | instid1(VALU_DEP_1)
	v_ashrrev_i32_e32 v1, 31, v0
	s_wait_kmcnt 0x0
	v_lshl_add_u64 v[0:1], v[0:1], 3, s[0:1]
	global_store_b128 v[0:1], v[8:11], off
                                        ; implicit-def: $vgpr8_vgpr9
                                        ; implicit-def: $vgpr0_vgpr1
.LBB82_21:
	s_wait_xcnt 0x0
	s_and_not1_saveexec_b32 s2, s2
	s_cbranch_execz .LBB82_23
; %bb.22:
	v_lshlrev_b32_e32 v6, 1, v6
	s_delay_alu instid0(VALU_DEP_1) | instskip(SKIP_1) | instid1(VALU_DEP_1)
	v_ashrrev_i32_e32 v7, 31, v6
	s_wait_kmcnt 0x0
	v_lshl_add_u64 v[14:15], v[6:7], 3, s[0:1]
	v_mul_f64_e32 v[6:7], v[2:3], v[8:9]
	v_mul_f64_e32 v[8:9], v[2:3], v[0:1]
	global_load_b128 v[10:13], v[14:15], off
	s_wait_loadcnt 0x0
	v_fmac_f64_e32 v[6:7], v[4:5], v[10:11]
	v_fmac_f64_e32 v[8:9], v[4:5], v[12:13]
	global_store_b128 v[14:15], v[6:9], off
.LBB82_23:
	s_endpgm
	.section	.rodata,"a",@progbits
	.p2align	6, 0x0
	.amdhsa_kernel _ZN9rocsparseL19gebsrmvn_2xn_kernelILj128ELj3ELj8EdEEvi20rocsparse_direction_NS_24const_host_device_scalarIT2_EEPKiS6_PKS3_S8_S4_PS3_21rocsparse_index_base_b
		.amdhsa_group_segment_fixed_size 0
		.amdhsa_private_segment_fixed_size 0
		.amdhsa_kernarg_size 72
		.amdhsa_user_sgpr_count 2
		.amdhsa_user_sgpr_dispatch_ptr 0
		.amdhsa_user_sgpr_queue_ptr 0
		.amdhsa_user_sgpr_kernarg_segment_ptr 1
		.amdhsa_user_sgpr_dispatch_id 0
		.amdhsa_user_sgpr_kernarg_preload_length 0
		.amdhsa_user_sgpr_kernarg_preload_offset 0
		.amdhsa_user_sgpr_private_segment_size 0
		.amdhsa_wavefront_size32 1
		.amdhsa_uses_dynamic_stack 0
		.amdhsa_enable_private_segment 0
		.amdhsa_system_sgpr_workgroup_id_x 1
		.amdhsa_system_sgpr_workgroup_id_y 0
		.amdhsa_system_sgpr_workgroup_id_z 0
		.amdhsa_system_sgpr_workgroup_info 0
		.amdhsa_system_vgpr_workitem_id 0
		.amdhsa_next_free_vgpr 36
		.amdhsa_next_free_sgpr 14
		.amdhsa_named_barrier_count 0
		.amdhsa_reserve_vcc 1
		.amdhsa_float_round_mode_32 0
		.amdhsa_float_round_mode_16_64 0
		.amdhsa_float_denorm_mode_32 3
		.amdhsa_float_denorm_mode_16_64 3
		.amdhsa_fp16_overflow 0
		.amdhsa_memory_ordered 1
		.amdhsa_forward_progress 1
		.amdhsa_inst_pref_size 11
		.amdhsa_round_robin_scheduling 0
		.amdhsa_exception_fp_ieee_invalid_op 0
		.amdhsa_exception_fp_denorm_src 0
		.amdhsa_exception_fp_ieee_div_zero 0
		.amdhsa_exception_fp_ieee_overflow 0
		.amdhsa_exception_fp_ieee_underflow 0
		.amdhsa_exception_fp_ieee_inexact 0
		.amdhsa_exception_int_div_zero 0
	.end_amdhsa_kernel
	.section	.text._ZN9rocsparseL19gebsrmvn_2xn_kernelILj128ELj3ELj8EdEEvi20rocsparse_direction_NS_24const_host_device_scalarIT2_EEPKiS6_PKS3_S8_S4_PS3_21rocsparse_index_base_b,"axG",@progbits,_ZN9rocsparseL19gebsrmvn_2xn_kernelILj128ELj3ELj8EdEEvi20rocsparse_direction_NS_24const_host_device_scalarIT2_EEPKiS6_PKS3_S8_S4_PS3_21rocsparse_index_base_b,comdat
.Lfunc_end82:
	.size	_ZN9rocsparseL19gebsrmvn_2xn_kernelILj128ELj3ELj8EdEEvi20rocsparse_direction_NS_24const_host_device_scalarIT2_EEPKiS6_PKS3_S8_S4_PS3_21rocsparse_index_base_b, .Lfunc_end82-_ZN9rocsparseL19gebsrmvn_2xn_kernelILj128ELj3ELj8EdEEvi20rocsparse_direction_NS_24const_host_device_scalarIT2_EEPKiS6_PKS3_S8_S4_PS3_21rocsparse_index_base_b
                                        ; -- End function
	.set _ZN9rocsparseL19gebsrmvn_2xn_kernelILj128ELj3ELj8EdEEvi20rocsparse_direction_NS_24const_host_device_scalarIT2_EEPKiS6_PKS3_S8_S4_PS3_21rocsparse_index_base_b.num_vgpr, 36
	.set _ZN9rocsparseL19gebsrmvn_2xn_kernelILj128ELj3ELj8EdEEvi20rocsparse_direction_NS_24const_host_device_scalarIT2_EEPKiS6_PKS3_S8_S4_PS3_21rocsparse_index_base_b.num_agpr, 0
	.set _ZN9rocsparseL19gebsrmvn_2xn_kernelILj128ELj3ELj8EdEEvi20rocsparse_direction_NS_24const_host_device_scalarIT2_EEPKiS6_PKS3_S8_S4_PS3_21rocsparse_index_base_b.numbered_sgpr, 14
	.set _ZN9rocsparseL19gebsrmvn_2xn_kernelILj128ELj3ELj8EdEEvi20rocsparse_direction_NS_24const_host_device_scalarIT2_EEPKiS6_PKS3_S8_S4_PS3_21rocsparse_index_base_b.num_named_barrier, 0
	.set _ZN9rocsparseL19gebsrmvn_2xn_kernelILj128ELj3ELj8EdEEvi20rocsparse_direction_NS_24const_host_device_scalarIT2_EEPKiS6_PKS3_S8_S4_PS3_21rocsparse_index_base_b.private_seg_size, 0
	.set _ZN9rocsparseL19gebsrmvn_2xn_kernelILj128ELj3ELj8EdEEvi20rocsparse_direction_NS_24const_host_device_scalarIT2_EEPKiS6_PKS3_S8_S4_PS3_21rocsparse_index_base_b.uses_vcc, 1
	.set _ZN9rocsparseL19gebsrmvn_2xn_kernelILj128ELj3ELj8EdEEvi20rocsparse_direction_NS_24const_host_device_scalarIT2_EEPKiS6_PKS3_S8_S4_PS3_21rocsparse_index_base_b.uses_flat_scratch, 0
	.set _ZN9rocsparseL19gebsrmvn_2xn_kernelILj128ELj3ELj8EdEEvi20rocsparse_direction_NS_24const_host_device_scalarIT2_EEPKiS6_PKS3_S8_S4_PS3_21rocsparse_index_base_b.has_dyn_sized_stack, 0
	.set _ZN9rocsparseL19gebsrmvn_2xn_kernelILj128ELj3ELj8EdEEvi20rocsparse_direction_NS_24const_host_device_scalarIT2_EEPKiS6_PKS3_S8_S4_PS3_21rocsparse_index_base_b.has_recursion, 0
	.set _ZN9rocsparseL19gebsrmvn_2xn_kernelILj128ELj3ELj8EdEEvi20rocsparse_direction_NS_24const_host_device_scalarIT2_EEPKiS6_PKS3_S8_S4_PS3_21rocsparse_index_base_b.has_indirect_call, 0
	.section	.AMDGPU.csdata,"",@progbits
; Kernel info:
; codeLenInByte = 1324
; TotalNumSgprs: 16
; NumVgprs: 36
; ScratchSize: 0
; MemoryBound: 0
; FloatMode: 240
; IeeeMode: 1
; LDSByteSize: 0 bytes/workgroup (compile time only)
; SGPRBlocks: 0
; VGPRBlocks: 2
; NumSGPRsForWavesPerEU: 16
; NumVGPRsForWavesPerEU: 36
; NamedBarCnt: 0
; Occupancy: 16
; WaveLimiterHint : 1
; COMPUTE_PGM_RSRC2:SCRATCH_EN: 0
; COMPUTE_PGM_RSRC2:USER_SGPR: 2
; COMPUTE_PGM_RSRC2:TRAP_HANDLER: 0
; COMPUTE_PGM_RSRC2:TGID_X_EN: 1
; COMPUTE_PGM_RSRC2:TGID_Y_EN: 0
; COMPUTE_PGM_RSRC2:TGID_Z_EN: 0
; COMPUTE_PGM_RSRC2:TIDIG_COMP_CNT: 0
	.section	.text._ZN9rocsparseL19gebsrmvn_2xn_kernelILj128ELj3ELj16EdEEvi20rocsparse_direction_NS_24const_host_device_scalarIT2_EEPKiS6_PKS3_S8_S4_PS3_21rocsparse_index_base_b,"axG",@progbits,_ZN9rocsparseL19gebsrmvn_2xn_kernelILj128ELj3ELj16EdEEvi20rocsparse_direction_NS_24const_host_device_scalarIT2_EEPKiS6_PKS3_S8_S4_PS3_21rocsparse_index_base_b,comdat
	.globl	_ZN9rocsparseL19gebsrmvn_2xn_kernelILj128ELj3ELj16EdEEvi20rocsparse_direction_NS_24const_host_device_scalarIT2_EEPKiS6_PKS3_S8_S4_PS3_21rocsparse_index_base_b ; -- Begin function _ZN9rocsparseL19gebsrmvn_2xn_kernelILj128ELj3ELj16EdEEvi20rocsparse_direction_NS_24const_host_device_scalarIT2_EEPKiS6_PKS3_S8_S4_PS3_21rocsparse_index_base_b
	.p2align	8
	.type	_ZN9rocsparseL19gebsrmvn_2xn_kernelILj128ELj3ELj16EdEEvi20rocsparse_direction_NS_24const_host_device_scalarIT2_EEPKiS6_PKS3_S8_S4_PS3_21rocsparse_index_base_b,@function
_ZN9rocsparseL19gebsrmvn_2xn_kernelILj128ELj3ELj16EdEEvi20rocsparse_direction_NS_24const_host_device_scalarIT2_EEPKiS6_PKS3_S8_S4_PS3_21rocsparse_index_base_b: ; @_ZN9rocsparseL19gebsrmvn_2xn_kernelILj128ELj3ELj16EdEEvi20rocsparse_direction_NS_24const_host_device_scalarIT2_EEPKiS6_PKS3_S8_S4_PS3_21rocsparse_index_base_b
; %bb.0:
	s_clause 0x2
	s_load_b64 s[12:13], s[0:1], 0x40
	s_load_b64 s[4:5], s[0:1], 0x8
	;; [unrolled: 1-line block ×3, first 2 shown]
	s_wait_kmcnt 0x0
	s_bitcmp1_b32 s13, 0
	v_mov_b64_e32 v[2:3], s[4:5]
	s_cselect_b32 s6, -1, 0
	s_delay_alu instid0(SALU_CYCLE_1)
	s_and_b32 vcc_lo, exec_lo, s6
	s_xor_b32 s6, s6, -1
	s_cbranch_vccnz .LBB83_2
; %bb.1:
	v_mov_b32_e32 v1, 0
	flat_load_b64 v[2:3], v1, s[4:5]
.LBB83_2:
	v_mov_b64_e32 v[4:5], s[2:3]
	s_and_not1_b32 vcc_lo, exec_lo, s6
	s_cbranch_vccnz .LBB83_4
; %bb.3:
	s_wait_xcnt 0x0
	v_mov_b32_e32 v1, 0
	flat_load_b64 v[4:5], v1, s[2:3]
.LBB83_4:
	s_wait_loadcnt_dscnt 0x0
	v_cmp_neq_f64_e32 vcc_lo, 0, v[2:3]
	s_delay_alu instid0(VALU_DEP_2) | instskip(SKIP_1) | instid1(SALU_CYCLE_1)
	v_cmp_neq_f64_e64 s2, 1.0, v[4:5]
	s_or_b32 s2, vcc_lo, s2
	s_and_saveexec_b32 s3, s2
	s_cbranch_execz .LBB83_23
; %bb.5:
	s_load_b64 s[2:3], s[0:1], 0x0
	s_bfe_u32 s4, ttmp6, 0x4000c
	s_and_b32 s5, ttmp6, 15
	s_add_co_i32 s4, s4, 1
	s_getreg_b32 s6, hwreg(HW_REG_IB_STS2, 6, 4)
	s_mul_i32 s4, ttmp9, s4
	v_lshrrev_b32_e32 v1, 4, v0
	s_add_co_i32 s5, s5, s4
	s_cmp_eq_u32 s6, 0
	s_cselect_b32 s4, ttmp9, s5
	s_delay_alu instid0(VALU_DEP_1) | instid1(SALU_CYCLE_1)
	v_lshl_or_b32 v6, s4, 3, v1
	s_wait_kmcnt 0x0
	s_delay_alu instid0(VALU_DEP_1)
	v_cmp_gt_i32_e32 vcc_lo, s2, v6
	s_and_b32 exec_lo, exec_lo, vcc_lo
	s_cbranch_execz .LBB83_23
; %bb.6:
	s_load_b256 s[4:11], s[0:1], 0x10
	v_ashrrev_i32_e32 v7, 31, v6
	s_cmp_lg_u32 s3, 0
	s_wait_kmcnt 0x0
	s_delay_alu instid0(VALU_DEP_1)
	v_lshl_add_u64 v[8:9], v[6:7], 2, s[4:5]
	v_and_b32_e32 v7, 15, v0
	global_load_b64 v[8:9], v[8:9], off
	s_wait_loadcnt 0x0
	v_subrev_nc_u32_e32 v0, s12, v8
	v_subrev_nc_u32_e32 v12, s12, v9
	s_delay_alu instid0(VALU_DEP_2) | instskip(NEXT) | instid1(VALU_DEP_1)
	v_add_nc_u32_e32 v13, v0, v7
	v_cmp_lt_i32_e64 s2, v13, v12
	s_cbranch_scc0 .LBB83_12
; %bb.7:
	v_mov_b64_e32 v[0:1], 0
	v_mov_b64_e32 v[8:9], 0
	s_and_saveexec_b32 s3, s2
	s_cbranch_execz .LBB83_11
; %bb.8:
	v_mul_lo_u32 v10, v13, 6
	v_mov_b64_e32 v[0:1], 0
	v_mov_b64_e32 v[8:9], 0
	v_dual_mov_b32 v11, 0 :: v_dual_mov_b32 v14, v13
	s_mov_b32 s4, 0
.LBB83_9:                               ; =>This Inner Loop Header: Depth=1
	global_load_b32 v15, v14, s[6:7] scale_offset
	v_lshl_add_u64 v[20:21], v[10:11], 3, s[8:9]
	s_wait_xcnt 0x0
	v_add_nc_u32_e32 v14, 16, v14
	s_delay_alu instid0(VALU_DEP_1) | instskip(SKIP_3) | instid1(VALU_DEP_1)
	v_cmp_ge_i32_e32 vcc_lo, v14, v12
	s_or_b32 s4, vcc_lo, s4
	s_wait_loadcnt 0x0
	v_subrev_nc_u32_e32 v15, s12, v15
	v_lshl_add_u32 v15, v15, 1, v15
	global_load_b128 v[16:19], v[20:21], off
	global_load_b64 v[28:29], v15, s[10:11] scale_offset
	s_wait_xcnt 0x1
	v_dual_mov_b32 v21, v11 :: v_dual_add_nc_u32 v20, 2, v10
	s_wait_xcnt 0x0
	v_dual_add_nc_u32 v26, 1, v15 :: v_dual_add_nc_u32 v15, 2, v15
	s_delay_alu instid0(VALU_DEP_2)
	v_lshl_add_u64 v[24:25], v[20:21], 3, s[8:9]
	global_load_b128 v[20:23], v[24:25], off
	global_load_b64 v[30:31], v26, s[10:11] scale_offset
	s_wait_xcnt 0x1
	v_dual_mov_b32 v25, v11 :: v_dual_add_nc_u32 v24, 4, v10
	v_add_nc_u32_e32 v10, 0x60, v10
	s_delay_alu instid0(VALU_DEP_2)
	v_lshl_add_u64 v[32:33], v[24:25], 3, s[8:9]
	global_load_b128 v[24:27], v[32:33], off
	global_load_b64 v[34:35], v15, s[10:11] scale_offset
	s_wait_loadcnt 0x4
	v_fmac_f64_e32 v[0:1], v[16:17], v[28:29]
	v_fmac_f64_e32 v[8:9], v[18:19], v[28:29]
	s_wait_loadcnt 0x2
	s_delay_alu instid0(VALU_DEP_2) | instskip(NEXT) | instid1(VALU_DEP_2)
	v_fmac_f64_e32 v[0:1], v[20:21], v[30:31]
	v_fmac_f64_e32 v[8:9], v[22:23], v[30:31]
	s_wait_loadcnt 0x0
	s_delay_alu instid0(VALU_DEP_2) | instskip(NEXT) | instid1(VALU_DEP_2)
	v_fmac_f64_e32 v[0:1], v[24:25], v[34:35]
	v_fmac_f64_e32 v[8:9], v[26:27], v[34:35]
	s_and_not1_b32 exec_lo, exec_lo, s4
	s_cbranch_execnz .LBB83_9
; %bb.10:
	s_or_b32 exec_lo, exec_lo, s4
.LBB83_11:
	s_delay_alu instid0(SALU_CYCLE_1)
	s_or_b32 exec_lo, exec_lo, s3
	s_cbranch_execz .LBB83_13
	s_branch .LBB83_18
.LBB83_12:
                                        ; implicit-def: $vgpr0_vgpr1
                                        ; implicit-def: $vgpr8_vgpr9
.LBB83_13:
	v_mov_b64_e32 v[0:1], 0
	v_mov_b64_e32 v[8:9], 0
	s_and_saveexec_b32 s3, s2
	s_cbranch_execz .LBB83_17
; %bb.14:
	v_mad_u32 v14, v13, 6, 5
	v_mov_b64_e32 v[0:1], 0
	v_mov_b64_e32 v[8:9], 0
	v_mov_b32_e32 v11, 0
	s_mov_b32 s2, 0
.LBB83_15:                              ; =>This Inner Loop Header: Depth=1
	global_load_b32 v15, v13, s[6:7] scale_offset
	v_dual_add_nc_u32 v10, -5, v14 :: v_dual_add_nc_u32 v26, -2, v14
	s_wait_xcnt 0x0
	v_add_nc_u32_e32 v13, 16, v13
	s_delay_alu instid0(VALU_DEP_2) | instskip(NEXT) | instid1(VALU_DEP_2)
	v_lshl_add_u64 v[20:21], v[10:11], 3, s[8:9]
	v_cmp_ge_i32_e32 vcc_lo, v13, v12
	s_or_b32 s2, vcc_lo, s2
	s_wait_loadcnt 0x0
	v_subrev_nc_u32_e32 v15, s12, v15
	s_delay_alu instid0(VALU_DEP_1)
	v_lshl_add_u32 v10, v15, 1, v15
	s_clause 0x1
	global_load_b128 v[16:19], v[20:21], off
	global_load_b64 v[22:23], v26, s[8:9] scale_offset
	global_load_b64 v[24:25], v10, s[10:11] scale_offset
	v_add_nc_u32_e32 v15, -1, v14
	s_wait_xcnt 0x0
	v_dual_add_nc_u32 v28, 1, v10 :: v_dual_add_nc_u32 v10, 2, v10
	global_load_b64 v[20:21], v15, s[8:9] scale_offset
	global_load_b64 v[26:27], v28, s[10:11] scale_offset
	s_wait_xcnt 0x1
	v_add_nc_u32_e32 v15, -3, v14
	s_clause 0x1
	global_load_b64 v[28:29], v14, s[8:9] scale_offset
	global_load_b64 v[30:31], v15, s[8:9] scale_offset
	;; [unrolled: 1-line block ×3, first 2 shown]
	s_wait_xcnt 0x2
	v_add_nc_u32_e32 v14, 0x60, v14
	s_wait_loadcnt 0x5
	v_fmac_f64_e32 v[0:1], v[16:17], v[24:25]
	v_fmac_f64_e32 v[8:9], v[22:23], v[24:25]
	s_wait_loadcnt 0x3
	s_delay_alu instid0(VALU_DEP_2) | instskip(NEXT) | instid1(VALU_DEP_2)
	v_fmac_f64_e32 v[0:1], v[18:19], v[26:27]
	v_fmac_f64_e32 v[8:9], v[20:21], v[26:27]
	s_wait_loadcnt 0x0
	s_delay_alu instid0(VALU_DEP_2) | instskip(NEXT) | instid1(VALU_DEP_2)
	v_fmac_f64_e32 v[0:1], v[30:31], v[32:33]
	v_fmac_f64_e32 v[8:9], v[28:29], v[32:33]
	s_and_not1_b32 exec_lo, exec_lo, s2
	s_cbranch_execnz .LBB83_15
; %bb.16:
	s_or_b32 exec_lo, exec_lo, s2
.LBB83_17:
	s_delay_alu instid0(SALU_CYCLE_1)
	s_or_b32 exec_lo, exec_lo, s3
.LBB83_18:
	v_mbcnt_lo_u32_b32 v14, -1, 0
	s_delay_alu instid0(VALU_DEP_1) | instskip(NEXT) | instid1(VALU_DEP_1)
	v_xor_b32_e32 v10, 8, v14
	v_cmp_gt_i32_e32 vcc_lo, 32, v10
	v_cndmask_b32_e32 v10, v14, v10, vcc_lo
	s_delay_alu instid0(VALU_DEP_1)
	v_lshlrev_b32_e32 v13, 2, v10
	ds_bpermute_b32 v10, v13, v0
	ds_bpermute_b32 v11, v13, v1
	s_wait_dscnt 0x0
	v_add_f64_e32 v[0:1], v[0:1], v[10:11]
	v_xor_b32_e32 v10, 4, v14
	s_delay_alu instid0(VALU_DEP_1)
	v_cmp_gt_i32_e32 vcc_lo, 32, v10
	v_cndmask_b32_e32 v10, v14, v10, vcc_lo
	ds_bpermute_b32 v12, v13, v8
	ds_bpermute_b32 v13, v13, v9
	s_wait_dscnt 0x0
	v_dual_add_f64 v[8:9], v[8:9], v[12:13] :: v_dual_lshlrev_b32 v13, 2, v10
	ds_bpermute_b32 v10, v13, v0
	ds_bpermute_b32 v11, v13, v1
	s_wait_dscnt 0x0
	v_add_f64_e32 v[0:1], v[0:1], v[10:11]
	v_xor_b32_e32 v10, 2, v14
	s_delay_alu instid0(VALU_DEP_1)
	v_cmp_gt_i32_e32 vcc_lo, 32, v10
	v_cndmask_b32_e32 v10, v14, v10, vcc_lo
	ds_bpermute_b32 v12, v13, v8
	ds_bpermute_b32 v13, v13, v9
	s_wait_dscnt 0x0
	v_dual_add_f64 v[8:9], v[8:9], v[12:13] :: v_dual_lshlrev_b32 v13, 2, v10
	ds_bpermute_b32 v10, v13, v0
	ds_bpermute_b32 v11, v13, v1
	s_wait_dscnt 0x0
	v_add_f64_e32 v[0:1], v[0:1], v[10:11]
	ds_bpermute_b32 v12, v13, v8
	ds_bpermute_b32 v13, v13, v9
	s_wait_dscnt 0x0
	v_dual_add_f64 v[10:11], v[8:9], v[12:13] :: v_dual_bitop2_b32 v8, 1, v14 bitop3:0x14
	s_delay_alu instid0(VALU_DEP_1) | instskip(SKIP_2) | instid1(VALU_DEP_2)
	v_cmp_gt_i32_e32 vcc_lo, 32, v8
	v_cndmask_b32_e32 v8, v14, v8, vcc_lo
	v_cmp_eq_u32_e32 vcc_lo, 15, v7
	v_lshlrev_b32_e32 v13, 2, v8
	ds_bpermute_b32 v8, v13, v0
	ds_bpermute_b32 v9, v13, v1
	;; [unrolled: 1-line block ×4, first 2 shown]
	s_and_b32 exec_lo, exec_lo, vcc_lo
	s_cbranch_execz .LBB83_23
; %bb.19:
	s_wait_dscnt 0x2
	v_add_f64_e32 v[8:9], v[0:1], v[8:9]
	s_wait_dscnt 0x0
	v_add_f64_e32 v[0:1], v[10:11], v[12:13]
	s_load_b64 s[0:1], s[0:1], 0x38
	s_mov_b32 s2, exec_lo
	v_cmpx_eq_f64_e32 0, v[4:5]
	s_xor_b32 s2, exec_lo, s2
	s_cbranch_execz .LBB83_21
; %bb.20:
	s_delay_alu instid0(VALU_DEP_3) | instskip(NEXT) | instid1(VALU_DEP_3)
	v_mul_f64_e32 v[8:9], v[2:3], v[8:9]
	v_dual_mul_f64 v[10:11], v[2:3], v[0:1] :: v_dual_lshlrev_b32 v0, 1, v6
                                        ; implicit-def: $vgpr6
                                        ; implicit-def: $vgpr2_vgpr3
                                        ; implicit-def: $vgpr4_vgpr5
	s_delay_alu instid0(VALU_DEP_1) | instskip(SKIP_1) | instid1(VALU_DEP_1)
	v_ashrrev_i32_e32 v1, 31, v0
	s_wait_kmcnt 0x0
	v_lshl_add_u64 v[0:1], v[0:1], 3, s[0:1]
	global_store_b128 v[0:1], v[8:11], off
                                        ; implicit-def: $vgpr8_vgpr9
                                        ; implicit-def: $vgpr0_vgpr1
.LBB83_21:
	s_wait_xcnt 0x0
	s_and_not1_saveexec_b32 s2, s2
	s_cbranch_execz .LBB83_23
; %bb.22:
	v_lshlrev_b32_e32 v6, 1, v6
	s_delay_alu instid0(VALU_DEP_1) | instskip(SKIP_1) | instid1(VALU_DEP_1)
	v_ashrrev_i32_e32 v7, 31, v6
	s_wait_kmcnt 0x0
	v_lshl_add_u64 v[14:15], v[6:7], 3, s[0:1]
	v_mul_f64_e32 v[6:7], v[2:3], v[8:9]
	v_mul_f64_e32 v[8:9], v[2:3], v[0:1]
	global_load_b128 v[10:13], v[14:15], off
	s_wait_loadcnt 0x0
	v_fmac_f64_e32 v[6:7], v[4:5], v[10:11]
	v_fmac_f64_e32 v[8:9], v[4:5], v[12:13]
	global_store_b128 v[14:15], v[6:9], off
.LBB83_23:
	s_endpgm
	.section	.rodata,"a",@progbits
	.p2align	6, 0x0
	.amdhsa_kernel _ZN9rocsparseL19gebsrmvn_2xn_kernelILj128ELj3ELj16EdEEvi20rocsparse_direction_NS_24const_host_device_scalarIT2_EEPKiS6_PKS3_S8_S4_PS3_21rocsparse_index_base_b
		.amdhsa_group_segment_fixed_size 0
		.amdhsa_private_segment_fixed_size 0
		.amdhsa_kernarg_size 72
		.amdhsa_user_sgpr_count 2
		.amdhsa_user_sgpr_dispatch_ptr 0
		.amdhsa_user_sgpr_queue_ptr 0
		.amdhsa_user_sgpr_kernarg_segment_ptr 1
		.amdhsa_user_sgpr_dispatch_id 0
		.amdhsa_user_sgpr_kernarg_preload_length 0
		.amdhsa_user_sgpr_kernarg_preload_offset 0
		.amdhsa_user_sgpr_private_segment_size 0
		.amdhsa_wavefront_size32 1
		.amdhsa_uses_dynamic_stack 0
		.amdhsa_enable_private_segment 0
		.amdhsa_system_sgpr_workgroup_id_x 1
		.amdhsa_system_sgpr_workgroup_id_y 0
		.amdhsa_system_sgpr_workgroup_id_z 0
		.amdhsa_system_sgpr_workgroup_info 0
		.amdhsa_system_vgpr_workitem_id 0
		.amdhsa_next_free_vgpr 36
		.amdhsa_next_free_sgpr 14
		.amdhsa_named_barrier_count 0
		.amdhsa_reserve_vcc 1
		.amdhsa_float_round_mode_32 0
		.amdhsa_float_round_mode_16_64 0
		.amdhsa_float_denorm_mode_32 3
		.amdhsa_float_denorm_mode_16_64 3
		.amdhsa_fp16_overflow 0
		.amdhsa_memory_ordered 1
		.amdhsa_forward_progress 1
		.amdhsa_inst_pref_size 11
		.amdhsa_round_robin_scheduling 0
		.amdhsa_exception_fp_ieee_invalid_op 0
		.amdhsa_exception_fp_denorm_src 0
		.amdhsa_exception_fp_ieee_div_zero 0
		.amdhsa_exception_fp_ieee_overflow 0
		.amdhsa_exception_fp_ieee_underflow 0
		.amdhsa_exception_fp_ieee_inexact 0
		.amdhsa_exception_int_div_zero 0
	.end_amdhsa_kernel
	.section	.text._ZN9rocsparseL19gebsrmvn_2xn_kernelILj128ELj3ELj16EdEEvi20rocsparse_direction_NS_24const_host_device_scalarIT2_EEPKiS6_PKS3_S8_S4_PS3_21rocsparse_index_base_b,"axG",@progbits,_ZN9rocsparseL19gebsrmvn_2xn_kernelILj128ELj3ELj16EdEEvi20rocsparse_direction_NS_24const_host_device_scalarIT2_EEPKiS6_PKS3_S8_S4_PS3_21rocsparse_index_base_b,comdat
.Lfunc_end83:
	.size	_ZN9rocsparseL19gebsrmvn_2xn_kernelILj128ELj3ELj16EdEEvi20rocsparse_direction_NS_24const_host_device_scalarIT2_EEPKiS6_PKS3_S8_S4_PS3_21rocsparse_index_base_b, .Lfunc_end83-_ZN9rocsparseL19gebsrmvn_2xn_kernelILj128ELj3ELj16EdEEvi20rocsparse_direction_NS_24const_host_device_scalarIT2_EEPKiS6_PKS3_S8_S4_PS3_21rocsparse_index_base_b
                                        ; -- End function
	.set _ZN9rocsparseL19gebsrmvn_2xn_kernelILj128ELj3ELj16EdEEvi20rocsparse_direction_NS_24const_host_device_scalarIT2_EEPKiS6_PKS3_S8_S4_PS3_21rocsparse_index_base_b.num_vgpr, 36
	.set _ZN9rocsparseL19gebsrmvn_2xn_kernelILj128ELj3ELj16EdEEvi20rocsparse_direction_NS_24const_host_device_scalarIT2_EEPKiS6_PKS3_S8_S4_PS3_21rocsparse_index_base_b.num_agpr, 0
	.set _ZN9rocsparseL19gebsrmvn_2xn_kernelILj128ELj3ELj16EdEEvi20rocsparse_direction_NS_24const_host_device_scalarIT2_EEPKiS6_PKS3_S8_S4_PS3_21rocsparse_index_base_b.numbered_sgpr, 14
	.set _ZN9rocsparseL19gebsrmvn_2xn_kernelILj128ELj3ELj16EdEEvi20rocsparse_direction_NS_24const_host_device_scalarIT2_EEPKiS6_PKS3_S8_S4_PS3_21rocsparse_index_base_b.num_named_barrier, 0
	.set _ZN9rocsparseL19gebsrmvn_2xn_kernelILj128ELj3ELj16EdEEvi20rocsparse_direction_NS_24const_host_device_scalarIT2_EEPKiS6_PKS3_S8_S4_PS3_21rocsparse_index_base_b.private_seg_size, 0
	.set _ZN9rocsparseL19gebsrmvn_2xn_kernelILj128ELj3ELj16EdEEvi20rocsparse_direction_NS_24const_host_device_scalarIT2_EEPKiS6_PKS3_S8_S4_PS3_21rocsparse_index_base_b.uses_vcc, 1
	.set _ZN9rocsparseL19gebsrmvn_2xn_kernelILj128ELj3ELj16EdEEvi20rocsparse_direction_NS_24const_host_device_scalarIT2_EEPKiS6_PKS3_S8_S4_PS3_21rocsparse_index_base_b.uses_flat_scratch, 0
	.set _ZN9rocsparseL19gebsrmvn_2xn_kernelILj128ELj3ELj16EdEEvi20rocsparse_direction_NS_24const_host_device_scalarIT2_EEPKiS6_PKS3_S8_S4_PS3_21rocsparse_index_base_b.has_dyn_sized_stack, 0
	.set _ZN9rocsparseL19gebsrmvn_2xn_kernelILj128ELj3ELj16EdEEvi20rocsparse_direction_NS_24const_host_device_scalarIT2_EEPKiS6_PKS3_S8_S4_PS3_21rocsparse_index_base_b.has_recursion, 0
	.set _ZN9rocsparseL19gebsrmvn_2xn_kernelILj128ELj3ELj16EdEEvi20rocsparse_direction_NS_24const_host_device_scalarIT2_EEPKiS6_PKS3_S8_S4_PS3_21rocsparse_index_base_b.has_indirect_call, 0
	.section	.AMDGPU.csdata,"",@progbits
; Kernel info:
; codeLenInByte = 1404
; TotalNumSgprs: 16
; NumVgprs: 36
; ScratchSize: 0
; MemoryBound: 0
; FloatMode: 240
; IeeeMode: 1
; LDSByteSize: 0 bytes/workgroup (compile time only)
; SGPRBlocks: 0
; VGPRBlocks: 2
; NumSGPRsForWavesPerEU: 16
; NumVGPRsForWavesPerEU: 36
; NamedBarCnt: 0
; Occupancy: 16
; WaveLimiterHint : 1
; COMPUTE_PGM_RSRC2:SCRATCH_EN: 0
; COMPUTE_PGM_RSRC2:USER_SGPR: 2
; COMPUTE_PGM_RSRC2:TRAP_HANDLER: 0
; COMPUTE_PGM_RSRC2:TGID_X_EN: 1
; COMPUTE_PGM_RSRC2:TGID_Y_EN: 0
; COMPUTE_PGM_RSRC2:TGID_Z_EN: 0
; COMPUTE_PGM_RSRC2:TIDIG_COMP_CNT: 0
	.section	.text._ZN9rocsparseL19gebsrmvn_2xn_kernelILj128ELj3ELj32EdEEvi20rocsparse_direction_NS_24const_host_device_scalarIT2_EEPKiS6_PKS3_S8_S4_PS3_21rocsparse_index_base_b,"axG",@progbits,_ZN9rocsparseL19gebsrmvn_2xn_kernelILj128ELj3ELj32EdEEvi20rocsparse_direction_NS_24const_host_device_scalarIT2_EEPKiS6_PKS3_S8_S4_PS3_21rocsparse_index_base_b,comdat
	.globl	_ZN9rocsparseL19gebsrmvn_2xn_kernelILj128ELj3ELj32EdEEvi20rocsparse_direction_NS_24const_host_device_scalarIT2_EEPKiS6_PKS3_S8_S4_PS3_21rocsparse_index_base_b ; -- Begin function _ZN9rocsparseL19gebsrmvn_2xn_kernelILj128ELj3ELj32EdEEvi20rocsparse_direction_NS_24const_host_device_scalarIT2_EEPKiS6_PKS3_S8_S4_PS3_21rocsparse_index_base_b
	.p2align	8
	.type	_ZN9rocsparseL19gebsrmvn_2xn_kernelILj128ELj3ELj32EdEEvi20rocsparse_direction_NS_24const_host_device_scalarIT2_EEPKiS6_PKS3_S8_S4_PS3_21rocsparse_index_base_b,@function
_ZN9rocsparseL19gebsrmvn_2xn_kernelILj128ELj3ELj32EdEEvi20rocsparse_direction_NS_24const_host_device_scalarIT2_EEPKiS6_PKS3_S8_S4_PS3_21rocsparse_index_base_b: ; @_ZN9rocsparseL19gebsrmvn_2xn_kernelILj128ELj3ELj32EdEEvi20rocsparse_direction_NS_24const_host_device_scalarIT2_EEPKiS6_PKS3_S8_S4_PS3_21rocsparse_index_base_b
; %bb.0:
	s_clause 0x2
	s_load_b64 s[12:13], s[0:1], 0x40
	s_load_b64 s[4:5], s[0:1], 0x8
	;; [unrolled: 1-line block ×3, first 2 shown]
	s_wait_kmcnt 0x0
	s_bitcmp1_b32 s13, 0
	v_mov_b64_e32 v[2:3], s[4:5]
	s_cselect_b32 s6, -1, 0
	s_delay_alu instid0(SALU_CYCLE_1)
	s_and_b32 vcc_lo, exec_lo, s6
	s_xor_b32 s6, s6, -1
	s_cbranch_vccnz .LBB84_2
; %bb.1:
	v_mov_b32_e32 v1, 0
	flat_load_b64 v[2:3], v1, s[4:5]
.LBB84_2:
	v_mov_b64_e32 v[4:5], s[2:3]
	s_and_not1_b32 vcc_lo, exec_lo, s6
	s_cbranch_vccnz .LBB84_4
; %bb.3:
	s_wait_xcnt 0x0
	v_mov_b32_e32 v1, 0
	flat_load_b64 v[4:5], v1, s[2:3]
.LBB84_4:
	s_wait_loadcnt_dscnt 0x0
	v_cmp_neq_f64_e32 vcc_lo, 0, v[2:3]
	s_delay_alu instid0(VALU_DEP_2) | instskip(SKIP_1) | instid1(SALU_CYCLE_1)
	v_cmp_neq_f64_e64 s2, 1.0, v[4:5]
	s_or_b32 s2, vcc_lo, s2
	s_and_saveexec_b32 s3, s2
	s_cbranch_execz .LBB84_23
; %bb.5:
	s_load_b64 s[2:3], s[0:1], 0x0
	s_bfe_u32 s4, ttmp6, 0x4000c
	s_and_b32 s5, ttmp6, 15
	s_add_co_i32 s4, s4, 1
	s_getreg_b32 s6, hwreg(HW_REG_IB_STS2, 6, 4)
	s_mul_i32 s4, ttmp9, s4
	v_lshrrev_b32_e32 v1, 5, v0
	s_add_co_i32 s5, s5, s4
	s_cmp_eq_u32 s6, 0
	s_cselect_b32 s4, ttmp9, s5
	s_delay_alu instid0(VALU_DEP_1) | instid1(SALU_CYCLE_1)
	v_lshl_or_b32 v6, s4, 2, v1
	s_wait_kmcnt 0x0
	s_delay_alu instid0(VALU_DEP_1)
	v_cmp_gt_i32_e32 vcc_lo, s2, v6
	s_and_b32 exec_lo, exec_lo, vcc_lo
	s_cbranch_execz .LBB84_23
; %bb.6:
	s_load_b256 s[4:11], s[0:1], 0x10
	v_ashrrev_i32_e32 v7, 31, v6
	s_cmp_lg_u32 s3, 0
	s_wait_kmcnt 0x0
	s_delay_alu instid0(VALU_DEP_1)
	v_lshl_add_u64 v[8:9], v[6:7], 2, s[4:5]
	v_and_b32_e32 v7, 31, v0
	global_load_b64 v[8:9], v[8:9], off
	s_wait_loadcnt 0x0
	v_subrev_nc_u32_e32 v0, s12, v8
	v_subrev_nc_u32_e32 v12, s12, v9
	s_delay_alu instid0(VALU_DEP_2) | instskip(NEXT) | instid1(VALU_DEP_1)
	v_add_nc_u32_e32 v13, v0, v7
	v_cmp_lt_i32_e64 s2, v13, v12
	s_cbranch_scc0 .LBB84_12
; %bb.7:
	v_mov_b64_e32 v[0:1], 0
	v_mov_b64_e32 v[8:9], 0
	s_and_saveexec_b32 s3, s2
	s_cbranch_execz .LBB84_11
; %bb.8:
	v_mul_lo_u32 v10, v13, 6
	v_mov_b64_e32 v[0:1], 0
	v_mov_b64_e32 v[8:9], 0
	v_dual_mov_b32 v11, 0 :: v_dual_mov_b32 v14, v13
	s_mov_b32 s4, 0
.LBB84_9:                               ; =>This Inner Loop Header: Depth=1
	global_load_b32 v15, v14, s[6:7] scale_offset
	v_lshl_add_u64 v[20:21], v[10:11], 3, s[8:9]
	s_wait_xcnt 0x0
	v_add_nc_u32_e32 v14, 32, v14
	s_delay_alu instid0(VALU_DEP_1) | instskip(SKIP_3) | instid1(VALU_DEP_1)
	v_cmp_ge_i32_e32 vcc_lo, v14, v12
	s_or_b32 s4, vcc_lo, s4
	s_wait_loadcnt 0x0
	v_subrev_nc_u32_e32 v15, s12, v15
	v_lshl_add_u32 v15, v15, 1, v15
	global_load_b128 v[16:19], v[20:21], off
	global_load_b64 v[28:29], v15, s[10:11] scale_offset
	s_wait_xcnt 0x1
	v_dual_mov_b32 v21, v11 :: v_dual_add_nc_u32 v20, 2, v10
	s_wait_xcnt 0x0
	v_dual_add_nc_u32 v26, 1, v15 :: v_dual_add_nc_u32 v15, 2, v15
	s_delay_alu instid0(VALU_DEP_2)
	v_lshl_add_u64 v[24:25], v[20:21], 3, s[8:9]
	global_load_b128 v[20:23], v[24:25], off
	global_load_b64 v[30:31], v26, s[10:11] scale_offset
	s_wait_xcnt 0x1
	v_dual_mov_b32 v25, v11 :: v_dual_add_nc_u32 v24, 4, v10
	v_add_nc_u32_e32 v10, 0xc0, v10
	s_delay_alu instid0(VALU_DEP_2)
	v_lshl_add_u64 v[32:33], v[24:25], 3, s[8:9]
	global_load_b128 v[24:27], v[32:33], off
	global_load_b64 v[34:35], v15, s[10:11] scale_offset
	s_wait_loadcnt 0x4
	v_fmac_f64_e32 v[0:1], v[16:17], v[28:29]
	v_fmac_f64_e32 v[8:9], v[18:19], v[28:29]
	s_wait_loadcnt 0x2
	s_delay_alu instid0(VALU_DEP_2) | instskip(NEXT) | instid1(VALU_DEP_2)
	v_fmac_f64_e32 v[0:1], v[20:21], v[30:31]
	v_fmac_f64_e32 v[8:9], v[22:23], v[30:31]
	s_wait_loadcnt 0x0
	s_delay_alu instid0(VALU_DEP_2) | instskip(NEXT) | instid1(VALU_DEP_2)
	v_fmac_f64_e32 v[0:1], v[24:25], v[34:35]
	v_fmac_f64_e32 v[8:9], v[26:27], v[34:35]
	s_and_not1_b32 exec_lo, exec_lo, s4
	s_cbranch_execnz .LBB84_9
; %bb.10:
	s_or_b32 exec_lo, exec_lo, s4
.LBB84_11:
	s_delay_alu instid0(SALU_CYCLE_1)
	s_or_b32 exec_lo, exec_lo, s3
	s_cbranch_execz .LBB84_13
	s_branch .LBB84_18
.LBB84_12:
                                        ; implicit-def: $vgpr0_vgpr1
                                        ; implicit-def: $vgpr8_vgpr9
.LBB84_13:
	v_mov_b64_e32 v[0:1], 0
	v_mov_b64_e32 v[8:9], 0
	s_and_saveexec_b32 s3, s2
	s_cbranch_execz .LBB84_17
; %bb.14:
	v_mad_u32 v14, v13, 6, 5
	v_mov_b64_e32 v[0:1], 0
	v_mov_b64_e32 v[8:9], 0
	v_mov_b32_e32 v11, 0
	s_mov_b32 s2, 0
.LBB84_15:                              ; =>This Inner Loop Header: Depth=1
	global_load_b32 v15, v13, s[6:7] scale_offset
	v_dual_add_nc_u32 v10, -5, v14 :: v_dual_add_nc_u32 v26, -2, v14
	s_wait_xcnt 0x0
	v_add_nc_u32_e32 v13, 32, v13
	s_delay_alu instid0(VALU_DEP_2) | instskip(NEXT) | instid1(VALU_DEP_2)
	v_lshl_add_u64 v[20:21], v[10:11], 3, s[8:9]
	v_cmp_ge_i32_e32 vcc_lo, v13, v12
	s_or_b32 s2, vcc_lo, s2
	s_wait_loadcnt 0x0
	v_subrev_nc_u32_e32 v15, s12, v15
	s_delay_alu instid0(VALU_DEP_1)
	v_lshl_add_u32 v10, v15, 1, v15
	s_clause 0x1
	global_load_b128 v[16:19], v[20:21], off
	global_load_b64 v[22:23], v26, s[8:9] scale_offset
	global_load_b64 v[24:25], v10, s[10:11] scale_offset
	v_add_nc_u32_e32 v15, -1, v14
	s_wait_xcnt 0x0
	v_dual_add_nc_u32 v28, 1, v10 :: v_dual_add_nc_u32 v10, 2, v10
	global_load_b64 v[20:21], v15, s[8:9] scale_offset
	global_load_b64 v[26:27], v28, s[10:11] scale_offset
	s_wait_xcnt 0x1
	v_add_nc_u32_e32 v15, -3, v14
	s_clause 0x1
	global_load_b64 v[28:29], v14, s[8:9] scale_offset
	global_load_b64 v[30:31], v15, s[8:9] scale_offset
	;; [unrolled: 1-line block ×3, first 2 shown]
	s_wait_xcnt 0x2
	v_add_nc_u32_e32 v14, 0xc0, v14
	s_wait_loadcnt 0x5
	v_fmac_f64_e32 v[0:1], v[16:17], v[24:25]
	v_fmac_f64_e32 v[8:9], v[22:23], v[24:25]
	s_wait_loadcnt 0x3
	s_delay_alu instid0(VALU_DEP_2) | instskip(NEXT) | instid1(VALU_DEP_2)
	v_fmac_f64_e32 v[0:1], v[18:19], v[26:27]
	v_fmac_f64_e32 v[8:9], v[20:21], v[26:27]
	s_wait_loadcnt 0x0
	s_delay_alu instid0(VALU_DEP_2) | instskip(NEXT) | instid1(VALU_DEP_2)
	v_fmac_f64_e32 v[0:1], v[30:31], v[32:33]
	v_fmac_f64_e32 v[8:9], v[28:29], v[32:33]
	s_and_not1_b32 exec_lo, exec_lo, s2
	s_cbranch_execnz .LBB84_15
; %bb.16:
	s_or_b32 exec_lo, exec_lo, s2
.LBB84_17:
	s_delay_alu instid0(SALU_CYCLE_1)
	s_or_b32 exec_lo, exec_lo, s3
.LBB84_18:
	v_mbcnt_lo_u32_b32 v14, -1, 0
	s_delay_alu instid0(VALU_DEP_1) | instskip(NEXT) | instid1(VALU_DEP_1)
	v_xor_b32_e32 v10, 16, v14
	v_cmp_gt_i32_e32 vcc_lo, 32, v10
	v_cndmask_b32_e32 v10, v14, v10, vcc_lo
	s_delay_alu instid0(VALU_DEP_1)
	v_lshlrev_b32_e32 v13, 2, v10
	ds_bpermute_b32 v10, v13, v0
	ds_bpermute_b32 v11, v13, v1
	s_wait_dscnt 0x0
	v_add_f64_e32 v[0:1], v[0:1], v[10:11]
	v_xor_b32_e32 v10, 8, v14
	s_delay_alu instid0(VALU_DEP_1)
	v_cmp_gt_i32_e32 vcc_lo, 32, v10
	v_cndmask_b32_e32 v10, v14, v10, vcc_lo
	ds_bpermute_b32 v12, v13, v8
	ds_bpermute_b32 v13, v13, v9
	s_wait_dscnt 0x0
	v_dual_add_f64 v[8:9], v[8:9], v[12:13] :: v_dual_lshlrev_b32 v13, 2, v10
	ds_bpermute_b32 v10, v13, v0
	ds_bpermute_b32 v11, v13, v1
	s_wait_dscnt 0x0
	v_add_f64_e32 v[0:1], v[0:1], v[10:11]
	v_xor_b32_e32 v10, 4, v14
	s_delay_alu instid0(VALU_DEP_1)
	v_cmp_gt_i32_e32 vcc_lo, 32, v10
	v_cndmask_b32_e32 v10, v14, v10, vcc_lo
	ds_bpermute_b32 v12, v13, v8
	ds_bpermute_b32 v13, v13, v9
	s_wait_dscnt 0x0
	v_dual_add_f64 v[8:9], v[8:9], v[12:13] :: v_dual_lshlrev_b32 v13, 2, v10
	;; [unrolled: 12-line block ×3, first 2 shown]
	ds_bpermute_b32 v10, v13, v0
	ds_bpermute_b32 v11, v13, v1
	s_wait_dscnt 0x0
	v_add_f64_e32 v[0:1], v[0:1], v[10:11]
	ds_bpermute_b32 v12, v13, v8
	ds_bpermute_b32 v13, v13, v9
	s_wait_dscnt 0x0
	v_dual_add_f64 v[10:11], v[8:9], v[12:13] :: v_dual_bitop2_b32 v8, 1, v14 bitop3:0x14
	s_delay_alu instid0(VALU_DEP_1) | instskip(SKIP_2) | instid1(VALU_DEP_2)
	v_cmp_gt_i32_e32 vcc_lo, 32, v8
	v_cndmask_b32_e32 v8, v14, v8, vcc_lo
	v_cmp_eq_u32_e32 vcc_lo, 31, v7
	v_lshlrev_b32_e32 v13, 2, v8
	ds_bpermute_b32 v8, v13, v0
	ds_bpermute_b32 v9, v13, v1
	;; [unrolled: 1-line block ×4, first 2 shown]
	s_and_b32 exec_lo, exec_lo, vcc_lo
	s_cbranch_execz .LBB84_23
; %bb.19:
	s_wait_dscnt 0x2
	v_add_f64_e32 v[8:9], v[0:1], v[8:9]
	s_wait_dscnt 0x0
	v_add_f64_e32 v[0:1], v[10:11], v[12:13]
	s_load_b64 s[0:1], s[0:1], 0x38
	s_mov_b32 s2, exec_lo
	v_cmpx_eq_f64_e32 0, v[4:5]
	s_xor_b32 s2, exec_lo, s2
	s_cbranch_execz .LBB84_21
; %bb.20:
	s_delay_alu instid0(VALU_DEP_3) | instskip(NEXT) | instid1(VALU_DEP_3)
	v_mul_f64_e32 v[8:9], v[2:3], v[8:9]
	v_dual_mul_f64 v[10:11], v[2:3], v[0:1] :: v_dual_lshlrev_b32 v0, 1, v6
                                        ; implicit-def: $vgpr6
                                        ; implicit-def: $vgpr2_vgpr3
                                        ; implicit-def: $vgpr4_vgpr5
	s_delay_alu instid0(VALU_DEP_1) | instskip(SKIP_1) | instid1(VALU_DEP_1)
	v_ashrrev_i32_e32 v1, 31, v0
	s_wait_kmcnt 0x0
	v_lshl_add_u64 v[0:1], v[0:1], 3, s[0:1]
	global_store_b128 v[0:1], v[8:11], off
                                        ; implicit-def: $vgpr8_vgpr9
                                        ; implicit-def: $vgpr0_vgpr1
.LBB84_21:
	s_wait_xcnt 0x0
	s_and_not1_saveexec_b32 s2, s2
	s_cbranch_execz .LBB84_23
; %bb.22:
	v_lshlrev_b32_e32 v6, 1, v6
	s_delay_alu instid0(VALU_DEP_1) | instskip(SKIP_1) | instid1(VALU_DEP_1)
	v_ashrrev_i32_e32 v7, 31, v6
	s_wait_kmcnt 0x0
	v_lshl_add_u64 v[14:15], v[6:7], 3, s[0:1]
	v_mul_f64_e32 v[6:7], v[2:3], v[8:9]
	v_mul_f64_e32 v[8:9], v[2:3], v[0:1]
	global_load_b128 v[10:13], v[14:15], off
	s_wait_loadcnt 0x0
	v_fmac_f64_e32 v[6:7], v[4:5], v[10:11]
	v_fmac_f64_e32 v[8:9], v[4:5], v[12:13]
	global_store_b128 v[14:15], v[6:9], off
.LBB84_23:
	s_endpgm
	.section	.rodata,"a",@progbits
	.p2align	6, 0x0
	.amdhsa_kernel _ZN9rocsparseL19gebsrmvn_2xn_kernelILj128ELj3ELj32EdEEvi20rocsparse_direction_NS_24const_host_device_scalarIT2_EEPKiS6_PKS3_S8_S4_PS3_21rocsparse_index_base_b
		.amdhsa_group_segment_fixed_size 0
		.amdhsa_private_segment_fixed_size 0
		.amdhsa_kernarg_size 72
		.amdhsa_user_sgpr_count 2
		.amdhsa_user_sgpr_dispatch_ptr 0
		.amdhsa_user_sgpr_queue_ptr 0
		.amdhsa_user_sgpr_kernarg_segment_ptr 1
		.amdhsa_user_sgpr_dispatch_id 0
		.amdhsa_user_sgpr_kernarg_preload_length 0
		.amdhsa_user_sgpr_kernarg_preload_offset 0
		.amdhsa_user_sgpr_private_segment_size 0
		.amdhsa_wavefront_size32 1
		.amdhsa_uses_dynamic_stack 0
		.amdhsa_enable_private_segment 0
		.amdhsa_system_sgpr_workgroup_id_x 1
		.amdhsa_system_sgpr_workgroup_id_y 0
		.amdhsa_system_sgpr_workgroup_id_z 0
		.amdhsa_system_sgpr_workgroup_info 0
		.amdhsa_system_vgpr_workitem_id 0
		.amdhsa_next_free_vgpr 36
		.amdhsa_next_free_sgpr 14
		.amdhsa_named_barrier_count 0
		.amdhsa_reserve_vcc 1
		.amdhsa_float_round_mode_32 0
		.amdhsa_float_round_mode_16_64 0
		.amdhsa_float_denorm_mode_32 3
		.amdhsa_float_denorm_mode_16_64 3
		.amdhsa_fp16_overflow 0
		.amdhsa_memory_ordered 1
		.amdhsa_forward_progress 1
		.amdhsa_inst_pref_size 12
		.amdhsa_round_robin_scheduling 0
		.amdhsa_exception_fp_ieee_invalid_op 0
		.amdhsa_exception_fp_denorm_src 0
		.amdhsa_exception_fp_ieee_div_zero 0
		.amdhsa_exception_fp_ieee_overflow 0
		.amdhsa_exception_fp_ieee_underflow 0
		.amdhsa_exception_fp_ieee_inexact 0
		.amdhsa_exception_int_div_zero 0
	.end_amdhsa_kernel
	.section	.text._ZN9rocsparseL19gebsrmvn_2xn_kernelILj128ELj3ELj32EdEEvi20rocsparse_direction_NS_24const_host_device_scalarIT2_EEPKiS6_PKS3_S8_S4_PS3_21rocsparse_index_base_b,"axG",@progbits,_ZN9rocsparseL19gebsrmvn_2xn_kernelILj128ELj3ELj32EdEEvi20rocsparse_direction_NS_24const_host_device_scalarIT2_EEPKiS6_PKS3_S8_S4_PS3_21rocsparse_index_base_b,comdat
.Lfunc_end84:
	.size	_ZN9rocsparseL19gebsrmvn_2xn_kernelILj128ELj3ELj32EdEEvi20rocsparse_direction_NS_24const_host_device_scalarIT2_EEPKiS6_PKS3_S8_S4_PS3_21rocsparse_index_base_b, .Lfunc_end84-_ZN9rocsparseL19gebsrmvn_2xn_kernelILj128ELj3ELj32EdEEvi20rocsparse_direction_NS_24const_host_device_scalarIT2_EEPKiS6_PKS3_S8_S4_PS3_21rocsparse_index_base_b
                                        ; -- End function
	.set _ZN9rocsparseL19gebsrmvn_2xn_kernelILj128ELj3ELj32EdEEvi20rocsparse_direction_NS_24const_host_device_scalarIT2_EEPKiS6_PKS3_S8_S4_PS3_21rocsparse_index_base_b.num_vgpr, 36
	.set _ZN9rocsparseL19gebsrmvn_2xn_kernelILj128ELj3ELj32EdEEvi20rocsparse_direction_NS_24const_host_device_scalarIT2_EEPKiS6_PKS3_S8_S4_PS3_21rocsparse_index_base_b.num_agpr, 0
	.set _ZN9rocsparseL19gebsrmvn_2xn_kernelILj128ELj3ELj32EdEEvi20rocsparse_direction_NS_24const_host_device_scalarIT2_EEPKiS6_PKS3_S8_S4_PS3_21rocsparse_index_base_b.numbered_sgpr, 14
	.set _ZN9rocsparseL19gebsrmvn_2xn_kernelILj128ELj3ELj32EdEEvi20rocsparse_direction_NS_24const_host_device_scalarIT2_EEPKiS6_PKS3_S8_S4_PS3_21rocsparse_index_base_b.num_named_barrier, 0
	.set _ZN9rocsparseL19gebsrmvn_2xn_kernelILj128ELj3ELj32EdEEvi20rocsparse_direction_NS_24const_host_device_scalarIT2_EEPKiS6_PKS3_S8_S4_PS3_21rocsparse_index_base_b.private_seg_size, 0
	.set _ZN9rocsparseL19gebsrmvn_2xn_kernelILj128ELj3ELj32EdEEvi20rocsparse_direction_NS_24const_host_device_scalarIT2_EEPKiS6_PKS3_S8_S4_PS3_21rocsparse_index_base_b.uses_vcc, 1
	.set _ZN9rocsparseL19gebsrmvn_2xn_kernelILj128ELj3ELj32EdEEvi20rocsparse_direction_NS_24const_host_device_scalarIT2_EEPKiS6_PKS3_S8_S4_PS3_21rocsparse_index_base_b.uses_flat_scratch, 0
	.set _ZN9rocsparseL19gebsrmvn_2xn_kernelILj128ELj3ELj32EdEEvi20rocsparse_direction_NS_24const_host_device_scalarIT2_EEPKiS6_PKS3_S8_S4_PS3_21rocsparse_index_base_b.has_dyn_sized_stack, 0
	.set _ZN9rocsparseL19gebsrmvn_2xn_kernelILj128ELj3ELj32EdEEvi20rocsparse_direction_NS_24const_host_device_scalarIT2_EEPKiS6_PKS3_S8_S4_PS3_21rocsparse_index_base_b.has_recursion, 0
	.set _ZN9rocsparseL19gebsrmvn_2xn_kernelILj128ELj3ELj32EdEEvi20rocsparse_direction_NS_24const_host_device_scalarIT2_EEPKiS6_PKS3_S8_S4_PS3_21rocsparse_index_base_b.has_indirect_call, 0
	.section	.AMDGPU.csdata,"",@progbits
; Kernel info:
; codeLenInByte = 1476
; TotalNumSgprs: 16
; NumVgprs: 36
; ScratchSize: 0
; MemoryBound: 0
; FloatMode: 240
; IeeeMode: 1
; LDSByteSize: 0 bytes/workgroup (compile time only)
; SGPRBlocks: 0
; VGPRBlocks: 2
; NumSGPRsForWavesPerEU: 16
; NumVGPRsForWavesPerEU: 36
; NamedBarCnt: 0
; Occupancy: 16
; WaveLimiterHint : 1
; COMPUTE_PGM_RSRC2:SCRATCH_EN: 0
; COMPUTE_PGM_RSRC2:USER_SGPR: 2
; COMPUTE_PGM_RSRC2:TRAP_HANDLER: 0
; COMPUTE_PGM_RSRC2:TGID_X_EN: 1
; COMPUTE_PGM_RSRC2:TGID_Y_EN: 0
; COMPUTE_PGM_RSRC2:TGID_Z_EN: 0
; COMPUTE_PGM_RSRC2:TIDIG_COMP_CNT: 0
	.section	.text._ZN9rocsparseL19gebsrmvn_2xn_kernelILj128ELj3ELj64EdEEvi20rocsparse_direction_NS_24const_host_device_scalarIT2_EEPKiS6_PKS3_S8_S4_PS3_21rocsparse_index_base_b,"axG",@progbits,_ZN9rocsparseL19gebsrmvn_2xn_kernelILj128ELj3ELj64EdEEvi20rocsparse_direction_NS_24const_host_device_scalarIT2_EEPKiS6_PKS3_S8_S4_PS3_21rocsparse_index_base_b,comdat
	.globl	_ZN9rocsparseL19gebsrmvn_2xn_kernelILj128ELj3ELj64EdEEvi20rocsparse_direction_NS_24const_host_device_scalarIT2_EEPKiS6_PKS3_S8_S4_PS3_21rocsparse_index_base_b ; -- Begin function _ZN9rocsparseL19gebsrmvn_2xn_kernelILj128ELj3ELj64EdEEvi20rocsparse_direction_NS_24const_host_device_scalarIT2_EEPKiS6_PKS3_S8_S4_PS3_21rocsparse_index_base_b
	.p2align	8
	.type	_ZN9rocsparseL19gebsrmvn_2xn_kernelILj128ELj3ELj64EdEEvi20rocsparse_direction_NS_24const_host_device_scalarIT2_EEPKiS6_PKS3_S8_S4_PS3_21rocsparse_index_base_b,@function
_ZN9rocsparseL19gebsrmvn_2xn_kernelILj128ELj3ELj64EdEEvi20rocsparse_direction_NS_24const_host_device_scalarIT2_EEPKiS6_PKS3_S8_S4_PS3_21rocsparse_index_base_b: ; @_ZN9rocsparseL19gebsrmvn_2xn_kernelILj128ELj3ELj64EdEEvi20rocsparse_direction_NS_24const_host_device_scalarIT2_EEPKiS6_PKS3_S8_S4_PS3_21rocsparse_index_base_b
; %bb.0:
	s_clause 0x2
	s_load_b64 s[12:13], s[0:1], 0x40
	s_load_b64 s[4:5], s[0:1], 0x8
	;; [unrolled: 1-line block ×3, first 2 shown]
	s_wait_kmcnt 0x0
	s_bitcmp1_b32 s13, 0
	v_mov_b64_e32 v[2:3], s[4:5]
	s_cselect_b32 s6, -1, 0
	s_delay_alu instid0(SALU_CYCLE_1)
	s_and_b32 vcc_lo, exec_lo, s6
	s_xor_b32 s6, s6, -1
	s_cbranch_vccnz .LBB85_2
; %bb.1:
	v_mov_b32_e32 v1, 0
	flat_load_b64 v[2:3], v1, s[4:5]
.LBB85_2:
	v_mov_b64_e32 v[4:5], s[2:3]
	s_and_not1_b32 vcc_lo, exec_lo, s6
	s_cbranch_vccnz .LBB85_4
; %bb.3:
	s_wait_xcnt 0x0
	v_mov_b32_e32 v1, 0
	flat_load_b64 v[4:5], v1, s[2:3]
.LBB85_4:
	s_wait_loadcnt_dscnt 0x0
	v_cmp_neq_f64_e32 vcc_lo, 0, v[2:3]
	s_delay_alu instid0(VALU_DEP_2) | instskip(SKIP_1) | instid1(SALU_CYCLE_1)
	v_cmp_neq_f64_e64 s2, 1.0, v[4:5]
	s_or_b32 s2, vcc_lo, s2
	s_and_saveexec_b32 s3, s2
	s_cbranch_execz .LBB85_23
; %bb.5:
	s_load_b64 s[2:3], s[0:1], 0x0
	s_bfe_u32 s4, ttmp6, 0x4000c
	s_and_b32 s5, ttmp6, 15
	s_add_co_i32 s4, s4, 1
	s_getreg_b32 s6, hwreg(HW_REG_IB_STS2, 6, 4)
	s_mul_i32 s4, ttmp9, s4
	v_lshrrev_b32_e32 v1, 6, v0
	s_add_co_i32 s5, s5, s4
	s_cmp_eq_u32 s6, 0
	s_cselect_b32 s4, ttmp9, s5
	s_delay_alu instid0(VALU_DEP_1) | instid1(SALU_CYCLE_1)
	v_lshl_or_b32 v6, s4, 1, v1
	s_wait_kmcnt 0x0
	s_delay_alu instid0(VALU_DEP_1)
	v_cmp_gt_i32_e32 vcc_lo, s2, v6
	s_and_b32 exec_lo, exec_lo, vcc_lo
	s_cbranch_execz .LBB85_23
; %bb.6:
	s_load_b256 s[4:11], s[0:1], 0x10
	v_ashrrev_i32_e32 v7, 31, v6
	s_cmp_lg_u32 s3, 0
	s_wait_kmcnt 0x0
	s_delay_alu instid0(VALU_DEP_1)
	v_lshl_add_u64 v[8:9], v[6:7], 2, s[4:5]
	v_and_b32_e32 v7, 63, v0
	global_load_b64 v[8:9], v[8:9], off
	s_wait_loadcnt 0x0
	v_subrev_nc_u32_e32 v0, s12, v8
	v_subrev_nc_u32_e32 v12, s12, v9
	s_delay_alu instid0(VALU_DEP_2) | instskip(NEXT) | instid1(VALU_DEP_1)
	v_add_nc_u32_e32 v13, v0, v7
	v_cmp_lt_i32_e64 s2, v13, v12
	s_cbranch_scc0 .LBB85_12
; %bb.7:
	v_mov_b64_e32 v[0:1], 0
	v_mov_b64_e32 v[8:9], 0
	s_and_saveexec_b32 s3, s2
	s_cbranch_execz .LBB85_11
; %bb.8:
	v_mul_lo_u32 v10, v13, 6
	v_mov_b64_e32 v[0:1], 0
	v_mov_b64_e32 v[8:9], 0
	v_dual_mov_b32 v11, 0 :: v_dual_mov_b32 v14, v13
	s_mov_b32 s4, 0
.LBB85_9:                               ; =>This Inner Loop Header: Depth=1
	global_load_b32 v15, v14, s[6:7] scale_offset
	v_lshl_add_u64 v[20:21], v[10:11], 3, s[8:9]
	s_wait_xcnt 0x0
	v_add_nc_u32_e32 v14, 64, v14
	s_delay_alu instid0(VALU_DEP_1) | instskip(SKIP_3) | instid1(VALU_DEP_1)
	v_cmp_ge_i32_e32 vcc_lo, v14, v12
	s_or_b32 s4, vcc_lo, s4
	s_wait_loadcnt 0x0
	v_subrev_nc_u32_e32 v15, s12, v15
	v_lshl_add_u32 v15, v15, 1, v15
	global_load_b128 v[16:19], v[20:21], off
	global_load_b64 v[28:29], v15, s[10:11] scale_offset
	s_wait_xcnt 0x1
	v_dual_mov_b32 v21, v11 :: v_dual_add_nc_u32 v20, 2, v10
	s_wait_xcnt 0x0
	v_dual_add_nc_u32 v26, 1, v15 :: v_dual_add_nc_u32 v15, 2, v15
	s_delay_alu instid0(VALU_DEP_2)
	v_lshl_add_u64 v[24:25], v[20:21], 3, s[8:9]
	global_load_b128 v[20:23], v[24:25], off
	global_load_b64 v[30:31], v26, s[10:11] scale_offset
	s_wait_xcnt 0x1
	v_dual_mov_b32 v25, v11 :: v_dual_add_nc_u32 v24, 4, v10
	v_add_nc_u32_e32 v10, 0x180, v10
	s_delay_alu instid0(VALU_DEP_2)
	v_lshl_add_u64 v[32:33], v[24:25], 3, s[8:9]
	global_load_b128 v[24:27], v[32:33], off
	global_load_b64 v[34:35], v15, s[10:11] scale_offset
	s_wait_loadcnt 0x4
	v_fmac_f64_e32 v[0:1], v[16:17], v[28:29]
	v_fmac_f64_e32 v[8:9], v[18:19], v[28:29]
	s_wait_loadcnt 0x2
	s_delay_alu instid0(VALU_DEP_2) | instskip(NEXT) | instid1(VALU_DEP_2)
	v_fmac_f64_e32 v[0:1], v[20:21], v[30:31]
	v_fmac_f64_e32 v[8:9], v[22:23], v[30:31]
	s_wait_loadcnt 0x0
	s_delay_alu instid0(VALU_DEP_2) | instskip(NEXT) | instid1(VALU_DEP_2)
	v_fmac_f64_e32 v[0:1], v[24:25], v[34:35]
	v_fmac_f64_e32 v[8:9], v[26:27], v[34:35]
	s_and_not1_b32 exec_lo, exec_lo, s4
	s_cbranch_execnz .LBB85_9
; %bb.10:
	s_or_b32 exec_lo, exec_lo, s4
.LBB85_11:
	s_delay_alu instid0(SALU_CYCLE_1)
	s_or_b32 exec_lo, exec_lo, s3
	s_cbranch_execz .LBB85_13
	s_branch .LBB85_18
.LBB85_12:
                                        ; implicit-def: $vgpr0_vgpr1
                                        ; implicit-def: $vgpr8_vgpr9
.LBB85_13:
	v_mov_b64_e32 v[0:1], 0
	v_mov_b64_e32 v[8:9], 0
	s_and_saveexec_b32 s3, s2
	s_cbranch_execz .LBB85_17
; %bb.14:
	v_mad_u32 v14, v13, 6, 5
	v_mov_b64_e32 v[0:1], 0
	v_mov_b64_e32 v[8:9], 0
	v_mov_b32_e32 v11, 0
	s_mov_b32 s2, 0
.LBB85_15:                              ; =>This Inner Loop Header: Depth=1
	global_load_b32 v15, v13, s[6:7] scale_offset
	v_dual_add_nc_u32 v10, -5, v14 :: v_dual_add_nc_u32 v26, -2, v14
	s_wait_xcnt 0x0
	v_add_nc_u32_e32 v13, 64, v13
	s_delay_alu instid0(VALU_DEP_2) | instskip(NEXT) | instid1(VALU_DEP_2)
	v_lshl_add_u64 v[20:21], v[10:11], 3, s[8:9]
	v_cmp_ge_i32_e32 vcc_lo, v13, v12
	s_or_b32 s2, vcc_lo, s2
	s_wait_loadcnt 0x0
	v_subrev_nc_u32_e32 v15, s12, v15
	s_delay_alu instid0(VALU_DEP_1)
	v_lshl_add_u32 v10, v15, 1, v15
	s_clause 0x1
	global_load_b128 v[16:19], v[20:21], off
	global_load_b64 v[22:23], v26, s[8:9] scale_offset
	global_load_b64 v[24:25], v10, s[10:11] scale_offset
	v_add_nc_u32_e32 v15, -1, v14
	s_wait_xcnt 0x0
	v_dual_add_nc_u32 v28, 1, v10 :: v_dual_add_nc_u32 v10, 2, v10
	global_load_b64 v[20:21], v15, s[8:9] scale_offset
	global_load_b64 v[26:27], v28, s[10:11] scale_offset
	s_wait_xcnt 0x1
	v_add_nc_u32_e32 v15, -3, v14
	s_clause 0x1
	global_load_b64 v[28:29], v14, s[8:9] scale_offset
	global_load_b64 v[30:31], v15, s[8:9] scale_offset
	;; [unrolled: 1-line block ×3, first 2 shown]
	s_wait_xcnt 0x2
	v_add_nc_u32_e32 v14, 0x180, v14
	s_wait_loadcnt 0x5
	v_fmac_f64_e32 v[0:1], v[16:17], v[24:25]
	v_fmac_f64_e32 v[8:9], v[22:23], v[24:25]
	s_wait_loadcnt 0x3
	s_delay_alu instid0(VALU_DEP_2) | instskip(NEXT) | instid1(VALU_DEP_2)
	v_fmac_f64_e32 v[0:1], v[18:19], v[26:27]
	v_fmac_f64_e32 v[8:9], v[20:21], v[26:27]
	s_wait_loadcnt 0x0
	s_delay_alu instid0(VALU_DEP_2) | instskip(NEXT) | instid1(VALU_DEP_2)
	v_fmac_f64_e32 v[0:1], v[30:31], v[32:33]
	v_fmac_f64_e32 v[8:9], v[28:29], v[32:33]
	s_and_not1_b32 exec_lo, exec_lo, s2
	s_cbranch_execnz .LBB85_15
; %bb.16:
	s_or_b32 exec_lo, exec_lo, s2
.LBB85_17:
	s_delay_alu instid0(SALU_CYCLE_1)
	s_or_b32 exec_lo, exec_lo, s3
.LBB85_18:
	v_mbcnt_lo_u32_b32 v14, -1, 0
	s_delay_alu instid0(VALU_DEP_1) | instskip(NEXT) | instid1(VALU_DEP_1)
	v_or_b32_e32 v10, 32, v14
	v_cmp_gt_i32_e32 vcc_lo, 32, v10
	v_cndmask_b32_e32 v10, v14, v10, vcc_lo
	s_delay_alu instid0(VALU_DEP_1)
	v_lshlrev_b32_e32 v13, 2, v10
	ds_bpermute_b32 v10, v13, v0
	ds_bpermute_b32 v11, v13, v1
	s_wait_dscnt 0x0
	v_add_f64_e32 v[0:1], v[0:1], v[10:11]
	v_xor_b32_e32 v10, 16, v14
	s_delay_alu instid0(VALU_DEP_1)
	v_cmp_gt_i32_e32 vcc_lo, 32, v10
	v_cndmask_b32_e32 v10, v14, v10, vcc_lo
	ds_bpermute_b32 v12, v13, v8
	ds_bpermute_b32 v13, v13, v9
	s_wait_dscnt 0x0
	v_dual_add_f64 v[8:9], v[8:9], v[12:13] :: v_dual_lshlrev_b32 v13, 2, v10
	ds_bpermute_b32 v10, v13, v0
	ds_bpermute_b32 v11, v13, v1
	s_wait_dscnt 0x0
	v_add_f64_e32 v[0:1], v[0:1], v[10:11]
	v_xor_b32_e32 v10, 8, v14
	s_delay_alu instid0(VALU_DEP_1)
	v_cmp_gt_i32_e32 vcc_lo, 32, v10
	v_cndmask_b32_e32 v10, v14, v10, vcc_lo
	ds_bpermute_b32 v12, v13, v8
	ds_bpermute_b32 v13, v13, v9
	s_wait_dscnt 0x0
	v_dual_add_f64 v[8:9], v[8:9], v[12:13] :: v_dual_lshlrev_b32 v13, 2, v10
	;; [unrolled: 12-line block ×4, first 2 shown]
	ds_bpermute_b32 v10, v13, v0
	ds_bpermute_b32 v11, v13, v1
	s_wait_dscnt 0x0
	v_add_f64_e32 v[0:1], v[0:1], v[10:11]
	ds_bpermute_b32 v12, v13, v8
	ds_bpermute_b32 v13, v13, v9
	s_wait_dscnt 0x0
	v_dual_add_f64 v[10:11], v[8:9], v[12:13] :: v_dual_bitop2_b32 v8, 1, v14 bitop3:0x14
	s_delay_alu instid0(VALU_DEP_1) | instskip(SKIP_2) | instid1(VALU_DEP_2)
	v_cmp_gt_i32_e32 vcc_lo, 32, v8
	v_cndmask_b32_e32 v8, v14, v8, vcc_lo
	v_cmp_eq_u32_e32 vcc_lo, 63, v7
	v_lshlrev_b32_e32 v13, 2, v8
	ds_bpermute_b32 v8, v13, v0
	ds_bpermute_b32 v9, v13, v1
	;; [unrolled: 1-line block ×4, first 2 shown]
	s_and_b32 exec_lo, exec_lo, vcc_lo
	s_cbranch_execz .LBB85_23
; %bb.19:
	s_wait_dscnt 0x2
	v_add_f64_e32 v[8:9], v[0:1], v[8:9]
	s_wait_dscnt 0x0
	v_add_f64_e32 v[0:1], v[10:11], v[12:13]
	s_load_b64 s[0:1], s[0:1], 0x38
	s_mov_b32 s2, exec_lo
	v_cmpx_eq_f64_e32 0, v[4:5]
	s_xor_b32 s2, exec_lo, s2
	s_cbranch_execz .LBB85_21
; %bb.20:
	s_delay_alu instid0(VALU_DEP_3) | instskip(NEXT) | instid1(VALU_DEP_3)
	v_mul_f64_e32 v[8:9], v[2:3], v[8:9]
	v_dual_mul_f64 v[10:11], v[2:3], v[0:1] :: v_dual_lshlrev_b32 v0, 1, v6
                                        ; implicit-def: $vgpr6
                                        ; implicit-def: $vgpr2_vgpr3
                                        ; implicit-def: $vgpr4_vgpr5
	s_delay_alu instid0(VALU_DEP_1) | instskip(SKIP_1) | instid1(VALU_DEP_1)
	v_ashrrev_i32_e32 v1, 31, v0
	s_wait_kmcnt 0x0
	v_lshl_add_u64 v[0:1], v[0:1], 3, s[0:1]
	global_store_b128 v[0:1], v[8:11], off
                                        ; implicit-def: $vgpr8_vgpr9
                                        ; implicit-def: $vgpr0_vgpr1
.LBB85_21:
	s_wait_xcnt 0x0
	s_and_not1_saveexec_b32 s2, s2
	s_cbranch_execz .LBB85_23
; %bb.22:
	v_lshlrev_b32_e32 v6, 1, v6
	s_delay_alu instid0(VALU_DEP_1) | instskip(SKIP_1) | instid1(VALU_DEP_1)
	v_ashrrev_i32_e32 v7, 31, v6
	s_wait_kmcnt 0x0
	v_lshl_add_u64 v[14:15], v[6:7], 3, s[0:1]
	v_mul_f64_e32 v[6:7], v[2:3], v[8:9]
	v_mul_f64_e32 v[8:9], v[2:3], v[0:1]
	global_load_b128 v[10:13], v[14:15], off
	s_wait_loadcnt 0x0
	v_fmac_f64_e32 v[6:7], v[4:5], v[10:11]
	v_fmac_f64_e32 v[8:9], v[4:5], v[12:13]
	global_store_b128 v[14:15], v[6:9], off
.LBB85_23:
	s_endpgm
	.section	.rodata,"a",@progbits
	.p2align	6, 0x0
	.amdhsa_kernel _ZN9rocsparseL19gebsrmvn_2xn_kernelILj128ELj3ELj64EdEEvi20rocsparse_direction_NS_24const_host_device_scalarIT2_EEPKiS6_PKS3_S8_S4_PS3_21rocsparse_index_base_b
		.amdhsa_group_segment_fixed_size 0
		.amdhsa_private_segment_fixed_size 0
		.amdhsa_kernarg_size 72
		.amdhsa_user_sgpr_count 2
		.amdhsa_user_sgpr_dispatch_ptr 0
		.amdhsa_user_sgpr_queue_ptr 0
		.amdhsa_user_sgpr_kernarg_segment_ptr 1
		.amdhsa_user_sgpr_dispatch_id 0
		.amdhsa_user_sgpr_kernarg_preload_length 0
		.amdhsa_user_sgpr_kernarg_preload_offset 0
		.amdhsa_user_sgpr_private_segment_size 0
		.amdhsa_wavefront_size32 1
		.amdhsa_uses_dynamic_stack 0
		.amdhsa_enable_private_segment 0
		.amdhsa_system_sgpr_workgroup_id_x 1
		.amdhsa_system_sgpr_workgroup_id_y 0
		.amdhsa_system_sgpr_workgroup_id_z 0
		.amdhsa_system_sgpr_workgroup_info 0
		.amdhsa_system_vgpr_workitem_id 0
		.amdhsa_next_free_vgpr 36
		.amdhsa_next_free_sgpr 14
		.amdhsa_named_barrier_count 0
		.amdhsa_reserve_vcc 1
		.amdhsa_float_round_mode_32 0
		.amdhsa_float_round_mode_16_64 0
		.amdhsa_float_denorm_mode_32 3
		.amdhsa_float_denorm_mode_16_64 3
		.amdhsa_fp16_overflow 0
		.amdhsa_memory_ordered 1
		.amdhsa_forward_progress 1
		.amdhsa_inst_pref_size 13
		.amdhsa_round_robin_scheduling 0
		.amdhsa_exception_fp_ieee_invalid_op 0
		.amdhsa_exception_fp_denorm_src 0
		.amdhsa_exception_fp_ieee_div_zero 0
		.amdhsa_exception_fp_ieee_overflow 0
		.amdhsa_exception_fp_ieee_underflow 0
		.amdhsa_exception_fp_ieee_inexact 0
		.amdhsa_exception_int_div_zero 0
	.end_amdhsa_kernel
	.section	.text._ZN9rocsparseL19gebsrmvn_2xn_kernelILj128ELj3ELj64EdEEvi20rocsparse_direction_NS_24const_host_device_scalarIT2_EEPKiS6_PKS3_S8_S4_PS3_21rocsparse_index_base_b,"axG",@progbits,_ZN9rocsparseL19gebsrmvn_2xn_kernelILj128ELj3ELj64EdEEvi20rocsparse_direction_NS_24const_host_device_scalarIT2_EEPKiS6_PKS3_S8_S4_PS3_21rocsparse_index_base_b,comdat
.Lfunc_end85:
	.size	_ZN9rocsparseL19gebsrmvn_2xn_kernelILj128ELj3ELj64EdEEvi20rocsparse_direction_NS_24const_host_device_scalarIT2_EEPKiS6_PKS3_S8_S4_PS3_21rocsparse_index_base_b, .Lfunc_end85-_ZN9rocsparseL19gebsrmvn_2xn_kernelILj128ELj3ELj64EdEEvi20rocsparse_direction_NS_24const_host_device_scalarIT2_EEPKiS6_PKS3_S8_S4_PS3_21rocsparse_index_base_b
                                        ; -- End function
	.set _ZN9rocsparseL19gebsrmvn_2xn_kernelILj128ELj3ELj64EdEEvi20rocsparse_direction_NS_24const_host_device_scalarIT2_EEPKiS6_PKS3_S8_S4_PS3_21rocsparse_index_base_b.num_vgpr, 36
	.set _ZN9rocsparseL19gebsrmvn_2xn_kernelILj128ELj3ELj64EdEEvi20rocsparse_direction_NS_24const_host_device_scalarIT2_EEPKiS6_PKS3_S8_S4_PS3_21rocsparse_index_base_b.num_agpr, 0
	.set _ZN9rocsparseL19gebsrmvn_2xn_kernelILj128ELj3ELj64EdEEvi20rocsparse_direction_NS_24const_host_device_scalarIT2_EEPKiS6_PKS3_S8_S4_PS3_21rocsparse_index_base_b.numbered_sgpr, 14
	.set _ZN9rocsparseL19gebsrmvn_2xn_kernelILj128ELj3ELj64EdEEvi20rocsparse_direction_NS_24const_host_device_scalarIT2_EEPKiS6_PKS3_S8_S4_PS3_21rocsparse_index_base_b.num_named_barrier, 0
	.set _ZN9rocsparseL19gebsrmvn_2xn_kernelILj128ELj3ELj64EdEEvi20rocsparse_direction_NS_24const_host_device_scalarIT2_EEPKiS6_PKS3_S8_S4_PS3_21rocsparse_index_base_b.private_seg_size, 0
	.set _ZN9rocsparseL19gebsrmvn_2xn_kernelILj128ELj3ELj64EdEEvi20rocsparse_direction_NS_24const_host_device_scalarIT2_EEPKiS6_PKS3_S8_S4_PS3_21rocsparse_index_base_b.uses_vcc, 1
	.set _ZN9rocsparseL19gebsrmvn_2xn_kernelILj128ELj3ELj64EdEEvi20rocsparse_direction_NS_24const_host_device_scalarIT2_EEPKiS6_PKS3_S8_S4_PS3_21rocsparse_index_base_b.uses_flat_scratch, 0
	.set _ZN9rocsparseL19gebsrmvn_2xn_kernelILj128ELj3ELj64EdEEvi20rocsparse_direction_NS_24const_host_device_scalarIT2_EEPKiS6_PKS3_S8_S4_PS3_21rocsparse_index_base_b.has_dyn_sized_stack, 0
	.set _ZN9rocsparseL19gebsrmvn_2xn_kernelILj128ELj3ELj64EdEEvi20rocsparse_direction_NS_24const_host_device_scalarIT2_EEPKiS6_PKS3_S8_S4_PS3_21rocsparse_index_base_b.has_recursion, 0
	.set _ZN9rocsparseL19gebsrmvn_2xn_kernelILj128ELj3ELj64EdEEvi20rocsparse_direction_NS_24const_host_device_scalarIT2_EEPKiS6_PKS3_S8_S4_PS3_21rocsparse_index_base_b.has_indirect_call, 0
	.section	.AMDGPU.csdata,"",@progbits
; Kernel info:
; codeLenInByte = 1548
; TotalNumSgprs: 16
; NumVgprs: 36
; ScratchSize: 0
; MemoryBound: 0
; FloatMode: 240
; IeeeMode: 1
; LDSByteSize: 0 bytes/workgroup (compile time only)
; SGPRBlocks: 0
; VGPRBlocks: 2
; NumSGPRsForWavesPerEU: 16
; NumVGPRsForWavesPerEU: 36
; NamedBarCnt: 0
; Occupancy: 16
; WaveLimiterHint : 1
; COMPUTE_PGM_RSRC2:SCRATCH_EN: 0
; COMPUTE_PGM_RSRC2:USER_SGPR: 2
; COMPUTE_PGM_RSRC2:TRAP_HANDLER: 0
; COMPUTE_PGM_RSRC2:TGID_X_EN: 1
; COMPUTE_PGM_RSRC2:TGID_Y_EN: 0
; COMPUTE_PGM_RSRC2:TGID_Z_EN: 0
; COMPUTE_PGM_RSRC2:TIDIG_COMP_CNT: 0
	.section	.text._ZN9rocsparseL19gebsrmvn_2xn_kernelILj128ELj4ELj4EdEEvi20rocsparse_direction_NS_24const_host_device_scalarIT2_EEPKiS6_PKS3_S8_S4_PS3_21rocsparse_index_base_b,"axG",@progbits,_ZN9rocsparseL19gebsrmvn_2xn_kernelILj128ELj4ELj4EdEEvi20rocsparse_direction_NS_24const_host_device_scalarIT2_EEPKiS6_PKS3_S8_S4_PS3_21rocsparse_index_base_b,comdat
	.globl	_ZN9rocsparseL19gebsrmvn_2xn_kernelILj128ELj4ELj4EdEEvi20rocsparse_direction_NS_24const_host_device_scalarIT2_EEPKiS6_PKS3_S8_S4_PS3_21rocsparse_index_base_b ; -- Begin function _ZN9rocsparseL19gebsrmvn_2xn_kernelILj128ELj4ELj4EdEEvi20rocsparse_direction_NS_24const_host_device_scalarIT2_EEPKiS6_PKS3_S8_S4_PS3_21rocsparse_index_base_b
	.p2align	8
	.type	_ZN9rocsparseL19gebsrmvn_2xn_kernelILj128ELj4ELj4EdEEvi20rocsparse_direction_NS_24const_host_device_scalarIT2_EEPKiS6_PKS3_S8_S4_PS3_21rocsparse_index_base_b,@function
_ZN9rocsparseL19gebsrmvn_2xn_kernelILj128ELj4ELj4EdEEvi20rocsparse_direction_NS_24const_host_device_scalarIT2_EEPKiS6_PKS3_S8_S4_PS3_21rocsparse_index_base_b: ; @_ZN9rocsparseL19gebsrmvn_2xn_kernelILj128ELj4ELj4EdEEvi20rocsparse_direction_NS_24const_host_device_scalarIT2_EEPKiS6_PKS3_S8_S4_PS3_21rocsparse_index_base_b
; %bb.0:
	s_clause 0x2
	s_load_b64 s[12:13], s[0:1], 0x40
	s_load_b64 s[4:5], s[0:1], 0x8
	;; [unrolled: 1-line block ×3, first 2 shown]
	s_wait_kmcnt 0x0
	s_bitcmp1_b32 s13, 0
	v_mov_b64_e32 v[2:3], s[4:5]
	s_cselect_b32 s6, -1, 0
	s_delay_alu instid0(SALU_CYCLE_1)
	s_and_b32 vcc_lo, exec_lo, s6
	s_xor_b32 s6, s6, -1
	s_cbranch_vccnz .LBB86_2
; %bb.1:
	v_mov_b32_e32 v1, 0
	flat_load_b64 v[2:3], v1, s[4:5]
.LBB86_2:
	v_mov_b64_e32 v[4:5], s[2:3]
	s_and_not1_b32 vcc_lo, exec_lo, s6
	s_cbranch_vccnz .LBB86_4
; %bb.3:
	s_wait_xcnt 0x0
	v_mov_b32_e32 v1, 0
	flat_load_b64 v[4:5], v1, s[2:3]
.LBB86_4:
	s_wait_loadcnt_dscnt 0x0
	v_cmp_neq_f64_e32 vcc_lo, 0, v[2:3]
	s_delay_alu instid0(VALU_DEP_2) | instskip(SKIP_1) | instid1(SALU_CYCLE_1)
	v_cmp_neq_f64_e64 s2, 1.0, v[4:5]
	s_or_b32 s2, vcc_lo, s2
	s_and_saveexec_b32 s3, s2
	s_cbranch_execz .LBB86_23
; %bb.5:
	s_load_b64 s[2:3], s[0:1], 0x0
	s_bfe_u32 s4, ttmp6, 0x4000c
	s_and_b32 s5, ttmp6, 15
	s_add_co_i32 s4, s4, 1
	s_getreg_b32 s6, hwreg(HW_REG_IB_STS2, 6, 4)
	s_mul_i32 s4, ttmp9, s4
	v_lshrrev_b32_e32 v1, 2, v0
	s_add_co_i32 s5, s5, s4
	s_cmp_eq_u32 s6, 0
	s_cselect_b32 s4, ttmp9, s5
	s_delay_alu instid0(VALU_DEP_1) | instid1(SALU_CYCLE_1)
	v_lshl_or_b32 v6, s4, 5, v1
	s_wait_kmcnt 0x0
	s_delay_alu instid0(VALU_DEP_1)
	v_cmp_gt_i32_e32 vcc_lo, s2, v6
	s_and_b32 exec_lo, exec_lo, vcc_lo
	s_cbranch_execz .LBB86_23
; %bb.6:
	s_load_b256 s[4:11], s[0:1], 0x10
	v_ashrrev_i32_e32 v7, 31, v6
	s_cmp_lg_u32 s3, 0
	s_wait_kmcnt 0x0
	s_delay_alu instid0(VALU_DEP_1)
	v_lshl_add_u64 v[8:9], v[6:7], 2, s[4:5]
	v_and_b32_e32 v7, 3, v0
	global_load_b64 v[8:9], v[8:9], off
	s_wait_loadcnt 0x0
	v_subrev_nc_u32_e32 v0, s12, v8
	v_subrev_nc_u32_e32 v12, s12, v9
	s_delay_alu instid0(VALU_DEP_2) | instskip(NEXT) | instid1(VALU_DEP_1)
	v_add_nc_u32_e32 v13, v0, v7
	v_cmp_lt_i32_e64 s2, v13, v12
	s_cbranch_scc0 .LBB86_12
; %bb.7:
	v_mov_b64_e32 v[0:1], 0
	v_mov_b64_e32 v[8:9], 0
	s_and_saveexec_b32 s3, s2
	s_cbranch_execz .LBB86_11
; %bb.8:
	v_mov_b64_e32 v[0:1], 0
	v_mov_b64_e32 v[8:9], 0
	v_dual_mov_b32 v11, 0 :: v_dual_lshlrev_b32 v10, 3, v13
	v_mov_b32_e32 v14, v13
	s_mov_b32 s4, 0
.LBB86_9:                               ; =>This Inner Loop Header: Depth=1
	global_load_b32 v15, v14, s[6:7] scale_offset
	v_lshl_add_u64 v[40:41], v[10:11], 3, s[8:9]
	s_wait_xcnt 0x0
	v_add_nc_u32_e32 v14, 4, v14
	v_add_nc_u32_e32 v10, 32, v10
	s_delay_alu instid0(VALU_DEP_2) | instskip(SKIP_3) | instid1(VALU_DEP_1)
	v_cmp_ge_i32_e32 vcc_lo, v14, v12
	s_or_b32 s4, vcc_lo, s4
	s_wait_loadcnt 0x0
	v_subrev_nc_u32_e32 v15, s12, v15
	v_dual_mov_b32 v17, v11 :: v_dual_lshlrev_b32 v16, 2, v15
	s_delay_alu instid0(VALU_DEP_1)
	v_lshl_add_u64 v[42:43], v[16:17], 3, s[10:11]
	s_clause 0x1
	global_load_b128 v[16:19], v[40:41], off offset:16
	global_load_b128 v[20:23], v[40:41], off
	s_clause 0x1
	global_load_b128 v[24:27], v[42:43], off
	global_load_b128 v[28:31], v[42:43], off offset:16
	s_clause 0x1
	global_load_b128 v[32:35], v[40:41], off offset:32
	global_load_b128 v[36:39], v[40:41], off offset:48
	s_wait_loadcnt 0x3
	v_fmac_f64_e32 v[0:1], v[20:21], v[24:25]
	v_fmac_f64_e32 v[8:9], v[22:23], v[24:25]
	s_delay_alu instid0(VALU_DEP_2) | instskip(NEXT) | instid1(VALU_DEP_2)
	v_fmac_f64_e32 v[0:1], v[16:17], v[26:27]
	v_fmac_f64_e32 v[8:9], v[18:19], v[26:27]
	s_wait_loadcnt 0x1
	s_delay_alu instid0(VALU_DEP_2) | instskip(NEXT) | instid1(VALU_DEP_2)
	v_fmac_f64_e32 v[0:1], v[32:33], v[28:29]
	v_fmac_f64_e32 v[8:9], v[34:35], v[28:29]
	s_wait_loadcnt 0x0
	s_delay_alu instid0(VALU_DEP_2) | instskip(NEXT) | instid1(VALU_DEP_2)
	v_fmac_f64_e32 v[0:1], v[36:37], v[30:31]
	v_fmac_f64_e32 v[8:9], v[38:39], v[30:31]
	s_and_not1_b32 exec_lo, exec_lo, s4
	s_cbranch_execnz .LBB86_9
; %bb.10:
	s_or_b32 exec_lo, exec_lo, s4
.LBB86_11:
	s_delay_alu instid0(SALU_CYCLE_1)
	s_or_b32 exec_lo, exec_lo, s3
	s_cbranch_execz .LBB86_13
	s_branch .LBB86_18
.LBB86_12:
                                        ; implicit-def: $vgpr0_vgpr1
                                        ; implicit-def: $vgpr8_vgpr9
.LBB86_13:
	v_mov_b64_e32 v[0:1], 0
	v_mov_b64_e32 v[8:9], 0
	s_and_saveexec_b32 s3, s2
	s_cbranch_execz .LBB86_17
; %bb.14:
	v_mov_b64_e32 v[0:1], 0
	v_mov_b64_e32 v[8:9], 0
	v_dual_mov_b32 v11, 0 :: v_dual_lshlrev_b32 v10, 3, v13
	s_mov_b32 s2, 0
.LBB86_15:                              ; =>This Inner Loop Header: Depth=1
	global_load_b32 v14, v13, s[6:7] scale_offset
	v_lshl_add_u64 v[38:39], v[10:11], 3, s[8:9]
	s_wait_xcnt 0x0
	v_dual_add_nc_u32 v13, 4, v13 :: v_dual_add_nc_u32 v10, 32, v10
	s_delay_alu instid0(VALU_DEP_1) | instskip(SKIP_3) | instid1(VALU_DEP_1)
	v_cmp_ge_i32_e32 vcc_lo, v13, v12
	s_or_b32 s2, vcc_lo, s2
	s_wait_loadcnt 0x0
	v_subrev_nc_u32_e32 v14, s12, v14
	v_dual_mov_b32 v19, v11 :: v_dual_lshlrev_b32 v18, 2, v14
	global_load_b128 v[14:17], v[38:39], off offset:48
	v_lshl_add_u64 v[40:41], v[18:19], 3, s[10:11]
	s_clause 0x2
	global_load_b128 v[18:21], v[38:39], off offset:32
	global_load_b128 v[22:25], v[38:39], off offset:16
	global_load_b128 v[26:29], v[38:39], off
	s_clause 0x1
	global_load_b128 v[30:33], v[40:41], off
	global_load_b128 v[34:37], v[40:41], off offset:16
	s_wait_loadcnt 0x1
	v_fmac_f64_e32 v[0:1], v[26:27], v[30:31]
	v_fmac_f64_e32 v[8:9], v[18:19], v[30:31]
	s_delay_alu instid0(VALU_DEP_2) | instskip(NEXT) | instid1(VALU_DEP_2)
	v_fmac_f64_e32 v[0:1], v[28:29], v[32:33]
	v_fmac_f64_e32 v[8:9], v[20:21], v[32:33]
	s_wait_loadcnt 0x0
	s_delay_alu instid0(VALU_DEP_2) | instskip(NEXT) | instid1(VALU_DEP_2)
	v_fmac_f64_e32 v[0:1], v[22:23], v[34:35]
	v_fmac_f64_e32 v[8:9], v[14:15], v[34:35]
	s_delay_alu instid0(VALU_DEP_2) | instskip(NEXT) | instid1(VALU_DEP_2)
	v_fmac_f64_e32 v[0:1], v[24:25], v[36:37]
	v_fmac_f64_e32 v[8:9], v[16:17], v[36:37]
	s_and_not1_b32 exec_lo, exec_lo, s2
	s_cbranch_execnz .LBB86_15
; %bb.16:
	s_or_b32 exec_lo, exec_lo, s2
.LBB86_17:
	s_delay_alu instid0(SALU_CYCLE_1)
	s_or_b32 exec_lo, exec_lo, s3
.LBB86_18:
	v_mbcnt_lo_u32_b32 v14, -1, 0
	s_delay_alu instid0(VALU_DEP_1) | instskip(NEXT) | instid1(VALU_DEP_1)
	v_xor_b32_e32 v10, 2, v14
	v_cmp_gt_i32_e32 vcc_lo, 32, v10
	v_cndmask_b32_e32 v10, v14, v10, vcc_lo
	s_delay_alu instid0(VALU_DEP_1)
	v_lshlrev_b32_e32 v13, 2, v10
	ds_bpermute_b32 v10, v13, v0
	ds_bpermute_b32 v11, v13, v1
	;; [unrolled: 1-line block ×4, first 2 shown]
	s_wait_dscnt 0x2
	v_add_f64_e32 v[0:1], v[0:1], v[10:11]
	s_wait_dscnt 0x0
	v_dual_add_f64 v[10:11], v[8:9], v[12:13] :: v_dual_bitop2_b32 v8, 1, v14 bitop3:0x14
	s_delay_alu instid0(VALU_DEP_1) | instskip(SKIP_2) | instid1(VALU_DEP_2)
	v_cmp_gt_i32_e32 vcc_lo, 32, v8
	v_cndmask_b32_e32 v8, v14, v8, vcc_lo
	v_cmp_eq_u32_e32 vcc_lo, 3, v7
	v_lshlrev_b32_e32 v13, 2, v8
	ds_bpermute_b32 v8, v13, v0
	ds_bpermute_b32 v9, v13, v1
	;; [unrolled: 1-line block ×4, first 2 shown]
	s_and_b32 exec_lo, exec_lo, vcc_lo
	s_cbranch_execz .LBB86_23
; %bb.19:
	s_wait_dscnt 0x2
	v_add_f64_e32 v[8:9], v[0:1], v[8:9]
	s_wait_dscnt 0x0
	v_add_f64_e32 v[0:1], v[10:11], v[12:13]
	s_load_b64 s[0:1], s[0:1], 0x38
	s_mov_b32 s2, exec_lo
	v_cmpx_eq_f64_e32 0, v[4:5]
	s_xor_b32 s2, exec_lo, s2
	s_cbranch_execz .LBB86_21
; %bb.20:
	s_delay_alu instid0(VALU_DEP_3) | instskip(NEXT) | instid1(VALU_DEP_3)
	v_mul_f64_e32 v[8:9], v[2:3], v[8:9]
	v_dual_mul_f64 v[10:11], v[2:3], v[0:1] :: v_dual_lshlrev_b32 v0, 1, v6
                                        ; implicit-def: $vgpr6
                                        ; implicit-def: $vgpr2_vgpr3
                                        ; implicit-def: $vgpr4_vgpr5
	s_delay_alu instid0(VALU_DEP_1) | instskip(SKIP_1) | instid1(VALU_DEP_1)
	v_ashrrev_i32_e32 v1, 31, v0
	s_wait_kmcnt 0x0
	v_lshl_add_u64 v[0:1], v[0:1], 3, s[0:1]
	global_store_b128 v[0:1], v[8:11], off
                                        ; implicit-def: $vgpr8_vgpr9
                                        ; implicit-def: $vgpr0_vgpr1
.LBB86_21:
	s_wait_xcnt 0x0
	s_and_not1_saveexec_b32 s2, s2
	s_cbranch_execz .LBB86_23
; %bb.22:
	v_lshlrev_b32_e32 v6, 1, v6
	s_delay_alu instid0(VALU_DEP_1) | instskip(SKIP_1) | instid1(VALU_DEP_1)
	v_ashrrev_i32_e32 v7, 31, v6
	s_wait_kmcnt 0x0
	v_lshl_add_u64 v[14:15], v[6:7], 3, s[0:1]
	v_mul_f64_e32 v[6:7], v[2:3], v[8:9]
	v_mul_f64_e32 v[8:9], v[2:3], v[0:1]
	global_load_b128 v[10:13], v[14:15], off
	s_wait_loadcnt 0x0
	v_fmac_f64_e32 v[6:7], v[4:5], v[10:11]
	v_fmac_f64_e32 v[8:9], v[4:5], v[12:13]
	global_store_b128 v[14:15], v[6:9], off
.LBB86_23:
	s_endpgm
	.section	.rodata,"a",@progbits
	.p2align	6, 0x0
	.amdhsa_kernel _ZN9rocsparseL19gebsrmvn_2xn_kernelILj128ELj4ELj4EdEEvi20rocsparse_direction_NS_24const_host_device_scalarIT2_EEPKiS6_PKS3_S8_S4_PS3_21rocsparse_index_base_b
		.amdhsa_group_segment_fixed_size 0
		.amdhsa_private_segment_fixed_size 0
		.amdhsa_kernarg_size 72
		.amdhsa_user_sgpr_count 2
		.amdhsa_user_sgpr_dispatch_ptr 0
		.amdhsa_user_sgpr_queue_ptr 0
		.amdhsa_user_sgpr_kernarg_segment_ptr 1
		.amdhsa_user_sgpr_dispatch_id 0
		.amdhsa_user_sgpr_kernarg_preload_length 0
		.amdhsa_user_sgpr_kernarg_preload_offset 0
		.amdhsa_user_sgpr_private_segment_size 0
		.amdhsa_wavefront_size32 1
		.amdhsa_uses_dynamic_stack 0
		.amdhsa_enable_private_segment 0
		.amdhsa_system_sgpr_workgroup_id_x 1
		.amdhsa_system_sgpr_workgroup_id_y 0
		.amdhsa_system_sgpr_workgroup_id_z 0
		.amdhsa_system_sgpr_workgroup_info 0
		.amdhsa_system_vgpr_workitem_id 0
		.amdhsa_next_free_vgpr 44
		.amdhsa_next_free_sgpr 14
		.amdhsa_named_barrier_count 0
		.amdhsa_reserve_vcc 1
		.amdhsa_float_round_mode_32 0
		.amdhsa_float_round_mode_16_64 0
		.amdhsa_float_denorm_mode_32 3
		.amdhsa_float_denorm_mode_16_64 3
		.amdhsa_fp16_overflow 0
		.amdhsa_memory_ordered 1
		.amdhsa_forward_progress 1
		.amdhsa_inst_pref_size 10
		.amdhsa_round_robin_scheduling 0
		.amdhsa_exception_fp_ieee_invalid_op 0
		.amdhsa_exception_fp_denorm_src 0
		.amdhsa_exception_fp_ieee_div_zero 0
		.amdhsa_exception_fp_ieee_overflow 0
		.amdhsa_exception_fp_ieee_underflow 0
		.amdhsa_exception_fp_ieee_inexact 0
		.amdhsa_exception_int_div_zero 0
	.end_amdhsa_kernel
	.section	.text._ZN9rocsparseL19gebsrmvn_2xn_kernelILj128ELj4ELj4EdEEvi20rocsparse_direction_NS_24const_host_device_scalarIT2_EEPKiS6_PKS3_S8_S4_PS3_21rocsparse_index_base_b,"axG",@progbits,_ZN9rocsparseL19gebsrmvn_2xn_kernelILj128ELj4ELj4EdEEvi20rocsparse_direction_NS_24const_host_device_scalarIT2_EEPKiS6_PKS3_S8_S4_PS3_21rocsparse_index_base_b,comdat
.Lfunc_end86:
	.size	_ZN9rocsparseL19gebsrmvn_2xn_kernelILj128ELj4ELj4EdEEvi20rocsparse_direction_NS_24const_host_device_scalarIT2_EEPKiS6_PKS3_S8_S4_PS3_21rocsparse_index_base_b, .Lfunc_end86-_ZN9rocsparseL19gebsrmvn_2xn_kernelILj128ELj4ELj4EdEEvi20rocsparse_direction_NS_24const_host_device_scalarIT2_EEPKiS6_PKS3_S8_S4_PS3_21rocsparse_index_base_b
                                        ; -- End function
	.set _ZN9rocsparseL19gebsrmvn_2xn_kernelILj128ELj4ELj4EdEEvi20rocsparse_direction_NS_24const_host_device_scalarIT2_EEPKiS6_PKS3_S8_S4_PS3_21rocsparse_index_base_b.num_vgpr, 44
	.set _ZN9rocsparseL19gebsrmvn_2xn_kernelILj128ELj4ELj4EdEEvi20rocsparse_direction_NS_24const_host_device_scalarIT2_EEPKiS6_PKS3_S8_S4_PS3_21rocsparse_index_base_b.num_agpr, 0
	.set _ZN9rocsparseL19gebsrmvn_2xn_kernelILj128ELj4ELj4EdEEvi20rocsparse_direction_NS_24const_host_device_scalarIT2_EEPKiS6_PKS3_S8_S4_PS3_21rocsparse_index_base_b.numbered_sgpr, 14
	.set _ZN9rocsparseL19gebsrmvn_2xn_kernelILj128ELj4ELj4EdEEvi20rocsparse_direction_NS_24const_host_device_scalarIT2_EEPKiS6_PKS3_S8_S4_PS3_21rocsparse_index_base_b.num_named_barrier, 0
	.set _ZN9rocsparseL19gebsrmvn_2xn_kernelILj128ELj4ELj4EdEEvi20rocsparse_direction_NS_24const_host_device_scalarIT2_EEPKiS6_PKS3_S8_S4_PS3_21rocsparse_index_base_b.private_seg_size, 0
	.set _ZN9rocsparseL19gebsrmvn_2xn_kernelILj128ELj4ELj4EdEEvi20rocsparse_direction_NS_24const_host_device_scalarIT2_EEPKiS6_PKS3_S8_S4_PS3_21rocsparse_index_base_b.uses_vcc, 1
	.set _ZN9rocsparseL19gebsrmvn_2xn_kernelILj128ELj4ELj4EdEEvi20rocsparse_direction_NS_24const_host_device_scalarIT2_EEPKiS6_PKS3_S8_S4_PS3_21rocsparse_index_base_b.uses_flat_scratch, 0
	.set _ZN9rocsparseL19gebsrmvn_2xn_kernelILj128ELj4ELj4EdEEvi20rocsparse_direction_NS_24const_host_device_scalarIT2_EEPKiS6_PKS3_S8_S4_PS3_21rocsparse_index_base_b.has_dyn_sized_stack, 0
	.set _ZN9rocsparseL19gebsrmvn_2xn_kernelILj128ELj4ELj4EdEEvi20rocsparse_direction_NS_24const_host_device_scalarIT2_EEPKiS6_PKS3_S8_S4_PS3_21rocsparse_index_base_b.has_recursion, 0
	.set _ZN9rocsparseL19gebsrmvn_2xn_kernelILj128ELj4ELj4EdEEvi20rocsparse_direction_NS_24const_host_device_scalarIT2_EEPKiS6_PKS3_S8_S4_PS3_21rocsparse_index_base_b.has_indirect_call, 0
	.section	.AMDGPU.csdata,"",@progbits
; Kernel info:
; codeLenInByte = 1164
; TotalNumSgprs: 16
; NumVgprs: 44
; ScratchSize: 0
; MemoryBound: 1
; FloatMode: 240
; IeeeMode: 1
; LDSByteSize: 0 bytes/workgroup (compile time only)
; SGPRBlocks: 0
; VGPRBlocks: 2
; NumSGPRsForWavesPerEU: 16
; NumVGPRsForWavesPerEU: 44
; NamedBarCnt: 0
; Occupancy: 16
; WaveLimiterHint : 1
; COMPUTE_PGM_RSRC2:SCRATCH_EN: 0
; COMPUTE_PGM_RSRC2:USER_SGPR: 2
; COMPUTE_PGM_RSRC2:TRAP_HANDLER: 0
; COMPUTE_PGM_RSRC2:TGID_X_EN: 1
; COMPUTE_PGM_RSRC2:TGID_Y_EN: 0
; COMPUTE_PGM_RSRC2:TGID_Z_EN: 0
; COMPUTE_PGM_RSRC2:TIDIG_COMP_CNT: 0
	.section	.text._ZN9rocsparseL19gebsrmvn_2xn_kernelILj128ELj4ELj8EdEEvi20rocsparse_direction_NS_24const_host_device_scalarIT2_EEPKiS6_PKS3_S8_S4_PS3_21rocsparse_index_base_b,"axG",@progbits,_ZN9rocsparseL19gebsrmvn_2xn_kernelILj128ELj4ELj8EdEEvi20rocsparse_direction_NS_24const_host_device_scalarIT2_EEPKiS6_PKS3_S8_S4_PS3_21rocsparse_index_base_b,comdat
	.globl	_ZN9rocsparseL19gebsrmvn_2xn_kernelILj128ELj4ELj8EdEEvi20rocsparse_direction_NS_24const_host_device_scalarIT2_EEPKiS6_PKS3_S8_S4_PS3_21rocsparse_index_base_b ; -- Begin function _ZN9rocsparseL19gebsrmvn_2xn_kernelILj128ELj4ELj8EdEEvi20rocsparse_direction_NS_24const_host_device_scalarIT2_EEPKiS6_PKS3_S8_S4_PS3_21rocsparse_index_base_b
	.p2align	8
	.type	_ZN9rocsparseL19gebsrmvn_2xn_kernelILj128ELj4ELj8EdEEvi20rocsparse_direction_NS_24const_host_device_scalarIT2_EEPKiS6_PKS3_S8_S4_PS3_21rocsparse_index_base_b,@function
_ZN9rocsparseL19gebsrmvn_2xn_kernelILj128ELj4ELj8EdEEvi20rocsparse_direction_NS_24const_host_device_scalarIT2_EEPKiS6_PKS3_S8_S4_PS3_21rocsparse_index_base_b: ; @_ZN9rocsparseL19gebsrmvn_2xn_kernelILj128ELj4ELj8EdEEvi20rocsparse_direction_NS_24const_host_device_scalarIT2_EEPKiS6_PKS3_S8_S4_PS3_21rocsparse_index_base_b
; %bb.0:
	s_clause 0x2
	s_load_b64 s[12:13], s[0:1], 0x40
	s_load_b64 s[4:5], s[0:1], 0x8
	;; [unrolled: 1-line block ×3, first 2 shown]
	s_wait_kmcnt 0x0
	s_bitcmp1_b32 s13, 0
	v_mov_b64_e32 v[2:3], s[4:5]
	s_cselect_b32 s6, -1, 0
	s_delay_alu instid0(SALU_CYCLE_1)
	s_and_b32 vcc_lo, exec_lo, s6
	s_xor_b32 s6, s6, -1
	s_cbranch_vccnz .LBB87_2
; %bb.1:
	v_mov_b32_e32 v1, 0
	flat_load_b64 v[2:3], v1, s[4:5]
.LBB87_2:
	v_mov_b64_e32 v[4:5], s[2:3]
	s_and_not1_b32 vcc_lo, exec_lo, s6
	s_cbranch_vccnz .LBB87_4
; %bb.3:
	s_wait_xcnt 0x0
	v_mov_b32_e32 v1, 0
	flat_load_b64 v[4:5], v1, s[2:3]
.LBB87_4:
	s_wait_loadcnt_dscnt 0x0
	v_cmp_neq_f64_e32 vcc_lo, 0, v[2:3]
	s_delay_alu instid0(VALU_DEP_2) | instskip(SKIP_1) | instid1(SALU_CYCLE_1)
	v_cmp_neq_f64_e64 s2, 1.0, v[4:5]
	s_or_b32 s2, vcc_lo, s2
	s_and_saveexec_b32 s3, s2
	s_cbranch_execz .LBB87_23
; %bb.5:
	s_load_b64 s[2:3], s[0:1], 0x0
	s_bfe_u32 s4, ttmp6, 0x4000c
	s_and_b32 s5, ttmp6, 15
	s_add_co_i32 s4, s4, 1
	s_getreg_b32 s6, hwreg(HW_REG_IB_STS2, 6, 4)
	s_mul_i32 s4, ttmp9, s4
	v_lshrrev_b32_e32 v1, 3, v0
	s_add_co_i32 s5, s5, s4
	s_cmp_eq_u32 s6, 0
	s_cselect_b32 s4, ttmp9, s5
	s_delay_alu instid0(VALU_DEP_1) | instid1(SALU_CYCLE_1)
	v_lshl_or_b32 v6, s4, 4, v1
	s_wait_kmcnt 0x0
	s_delay_alu instid0(VALU_DEP_1)
	v_cmp_gt_i32_e32 vcc_lo, s2, v6
	s_and_b32 exec_lo, exec_lo, vcc_lo
	s_cbranch_execz .LBB87_23
; %bb.6:
	s_load_b256 s[4:11], s[0:1], 0x10
	v_ashrrev_i32_e32 v7, 31, v6
	s_cmp_lg_u32 s3, 0
	s_wait_kmcnt 0x0
	s_delay_alu instid0(VALU_DEP_1)
	v_lshl_add_u64 v[8:9], v[6:7], 2, s[4:5]
	v_and_b32_e32 v7, 7, v0
	global_load_b64 v[8:9], v[8:9], off
	s_wait_loadcnt 0x0
	v_subrev_nc_u32_e32 v0, s12, v8
	v_subrev_nc_u32_e32 v12, s12, v9
	s_delay_alu instid0(VALU_DEP_2) | instskip(NEXT) | instid1(VALU_DEP_1)
	v_add_nc_u32_e32 v13, v0, v7
	v_cmp_lt_i32_e64 s2, v13, v12
	s_cbranch_scc0 .LBB87_12
; %bb.7:
	v_mov_b64_e32 v[0:1], 0
	v_mov_b64_e32 v[8:9], 0
	s_and_saveexec_b32 s3, s2
	s_cbranch_execz .LBB87_11
; %bb.8:
	v_mov_b64_e32 v[0:1], 0
	v_mov_b64_e32 v[8:9], 0
	v_dual_mov_b32 v11, 0 :: v_dual_lshlrev_b32 v10, 3, v13
	v_mov_b32_e32 v14, v13
	s_mov_b32 s4, 0
.LBB87_9:                               ; =>This Inner Loop Header: Depth=1
	global_load_b32 v15, v14, s[6:7] scale_offset
	v_lshl_add_u64 v[40:41], v[10:11], 3, s[8:9]
	s_wait_xcnt 0x0
	v_add_nc_u32_e32 v14, 8, v14
	v_add_nc_u32_e32 v10, 64, v10
	s_delay_alu instid0(VALU_DEP_2) | instskip(SKIP_3) | instid1(VALU_DEP_1)
	v_cmp_ge_i32_e32 vcc_lo, v14, v12
	s_or_b32 s4, vcc_lo, s4
	s_wait_loadcnt 0x0
	v_subrev_nc_u32_e32 v15, s12, v15
	v_dual_mov_b32 v17, v11 :: v_dual_lshlrev_b32 v16, 2, v15
	s_delay_alu instid0(VALU_DEP_1)
	v_lshl_add_u64 v[42:43], v[16:17], 3, s[10:11]
	s_clause 0x1
	global_load_b128 v[16:19], v[40:41], off offset:16
	global_load_b128 v[20:23], v[40:41], off
	s_clause 0x1
	global_load_b128 v[24:27], v[42:43], off
	global_load_b128 v[28:31], v[42:43], off offset:16
	s_clause 0x1
	global_load_b128 v[32:35], v[40:41], off offset:32
	global_load_b128 v[36:39], v[40:41], off offset:48
	s_wait_loadcnt 0x3
	v_fmac_f64_e32 v[0:1], v[20:21], v[24:25]
	v_fmac_f64_e32 v[8:9], v[22:23], v[24:25]
	s_delay_alu instid0(VALU_DEP_2) | instskip(NEXT) | instid1(VALU_DEP_2)
	v_fmac_f64_e32 v[0:1], v[16:17], v[26:27]
	v_fmac_f64_e32 v[8:9], v[18:19], v[26:27]
	s_wait_loadcnt 0x1
	s_delay_alu instid0(VALU_DEP_2) | instskip(NEXT) | instid1(VALU_DEP_2)
	v_fmac_f64_e32 v[0:1], v[32:33], v[28:29]
	v_fmac_f64_e32 v[8:9], v[34:35], v[28:29]
	s_wait_loadcnt 0x0
	s_delay_alu instid0(VALU_DEP_2) | instskip(NEXT) | instid1(VALU_DEP_2)
	v_fmac_f64_e32 v[0:1], v[36:37], v[30:31]
	v_fmac_f64_e32 v[8:9], v[38:39], v[30:31]
	s_and_not1_b32 exec_lo, exec_lo, s4
	s_cbranch_execnz .LBB87_9
; %bb.10:
	s_or_b32 exec_lo, exec_lo, s4
.LBB87_11:
	s_delay_alu instid0(SALU_CYCLE_1)
	s_or_b32 exec_lo, exec_lo, s3
	s_cbranch_execz .LBB87_13
	s_branch .LBB87_18
.LBB87_12:
                                        ; implicit-def: $vgpr0_vgpr1
                                        ; implicit-def: $vgpr8_vgpr9
.LBB87_13:
	v_mov_b64_e32 v[0:1], 0
	v_mov_b64_e32 v[8:9], 0
	s_and_saveexec_b32 s3, s2
	s_cbranch_execz .LBB87_17
; %bb.14:
	v_mov_b64_e32 v[0:1], 0
	v_mov_b64_e32 v[8:9], 0
	v_dual_mov_b32 v11, 0 :: v_dual_lshlrev_b32 v10, 3, v13
	s_mov_b32 s2, 0
.LBB87_15:                              ; =>This Inner Loop Header: Depth=1
	global_load_b32 v14, v13, s[6:7] scale_offset
	v_lshl_add_u64 v[38:39], v[10:11], 3, s[8:9]
	s_wait_xcnt 0x0
	v_dual_add_nc_u32 v13, 8, v13 :: v_dual_add_nc_u32 v10, 64, v10
	s_delay_alu instid0(VALU_DEP_1) | instskip(SKIP_3) | instid1(VALU_DEP_1)
	v_cmp_ge_i32_e32 vcc_lo, v13, v12
	s_or_b32 s2, vcc_lo, s2
	s_wait_loadcnt 0x0
	v_subrev_nc_u32_e32 v14, s12, v14
	v_dual_mov_b32 v19, v11 :: v_dual_lshlrev_b32 v18, 2, v14
	global_load_b128 v[14:17], v[38:39], off offset:48
	v_lshl_add_u64 v[40:41], v[18:19], 3, s[10:11]
	s_clause 0x2
	global_load_b128 v[18:21], v[38:39], off offset:32
	global_load_b128 v[22:25], v[38:39], off offset:16
	global_load_b128 v[26:29], v[38:39], off
	s_clause 0x1
	global_load_b128 v[30:33], v[40:41], off
	global_load_b128 v[34:37], v[40:41], off offset:16
	s_wait_loadcnt 0x1
	v_fmac_f64_e32 v[0:1], v[26:27], v[30:31]
	v_fmac_f64_e32 v[8:9], v[18:19], v[30:31]
	s_delay_alu instid0(VALU_DEP_2) | instskip(NEXT) | instid1(VALU_DEP_2)
	v_fmac_f64_e32 v[0:1], v[28:29], v[32:33]
	v_fmac_f64_e32 v[8:9], v[20:21], v[32:33]
	s_wait_loadcnt 0x0
	s_delay_alu instid0(VALU_DEP_2) | instskip(NEXT) | instid1(VALU_DEP_2)
	v_fmac_f64_e32 v[0:1], v[22:23], v[34:35]
	v_fmac_f64_e32 v[8:9], v[14:15], v[34:35]
	s_delay_alu instid0(VALU_DEP_2) | instskip(NEXT) | instid1(VALU_DEP_2)
	v_fmac_f64_e32 v[0:1], v[24:25], v[36:37]
	v_fmac_f64_e32 v[8:9], v[16:17], v[36:37]
	s_and_not1_b32 exec_lo, exec_lo, s2
	s_cbranch_execnz .LBB87_15
; %bb.16:
	s_or_b32 exec_lo, exec_lo, s2
.LBB87_17:
	s_delay_alu instid0(SALU_CYCLE_1)
	s_or_b32 exec_lo, exec_lo, s3
.LBB87_18:
	v_mbcnt_lo_u32_b32 v14, -1, 0
	s_delay_alu instid0(VALU_DEP_1) | instskip(NEXT) | instid1(VALU_DEP_1)
	v_xor_b32_e32 v10, 4, v14
	v_cmp_gt_i32_e32 vcc_lo, 32, v10
	v_cndmask_b32_e32 v10, v14, v10, vcc_lo
	s_delay_alu instid0(VALU_DEP_1)
	v_lshlrev_b32_e32 v13, 2, v10
	ds_bpermute_b32 v10, v13, v0
	ds_bpermute_b32 v11, v13, v1
	s_wait_dscnt 0x0
	v_add_f64_e32 v[0:1], v[0:1], v[10:11]
	v_xor_b32_e32 v10, 2, v14
	s_delay_alu instid0(VALU_DEP_1)
	v_cmp_gt_i32_e32 vcc_lo, 32, v10
	v_cndmask_b32_e32 v10, v14, v10, vcc_lo
	ds_bpermute_b32 v12, v13, v8
	ds_bpermute_b32 v13, v13, v9
	s_wait_dscnt 0x0
	v_dual_add_f64 v[8:9], v[8:9], v[12:13] :: v_dual_lshlrev_b32 v13, 2, v10
	ds_bpermute_b32 v10, v13, v0
	ds_bpermute_b32 v11, v13, v1
	s_wait_dscnt 0x0
	v_add_f64_e32 v[0:1], v[0:1], v[10:11]
	ds_bpermute_b32 v12, v13, v8
	ds_bpermute_b32 v13, v13, v9
	s_wait_dscnt 0x0
	v_dual_add_f64 v[10:11], v[8:9], v[12:13] :: v_dual_bitop2_b32 v8, 1, v14 bitop3:0x14
	s_delay_alu instid0(VALU_DEP_1) | instskip(SKIP_2) | instid1(VALU_DEP_2)
	v_cmp_gt_i32_e32 vcc_lo, 32, v8
	v_cndmask_b32_e32 v8, v14, v8, vcc_lo
	v_cmp_eq_u32_e32 vcc_lo, 7, v7
	v_lshlrev_b32_e32 v13, 2, v8
	ds_bpermute_b32 v8, v13, v0
	ds_bpermute_b32 v9, v13, v1
	;; [unrolled: 1-line block ×4, first 2 shown]
	s_and_b32 exec_lo, exec_lo, vcc_lo
	s_cbranch_execz .LBB87_23
; %bb.19:
	s_wait_dscnt 0x2
	v_add_f64_e32 v[8:9], v[0:1], v[8:9]
	s_wait_dscnt 0x0
	v_add_f64_e32 v[0:1], v[10:11], v[12:13]
	s_load_b64 s[0:1], s[0:1], 0x38
	s_mov_b32 s2, exec_lo
	v_cmpx_eq_f64_e32 0, v[4:5]
	s_xor_b32 s2, exec_lo, s2
	s_cbranch_execz .LBB87_21
; %bb.20:
	s_delay_alu instid0(VALU_DEP_3) | instskip(NEXT) | instid1(VALU_DEP_3)
	v_mul_f64_e32 v[8:9], v[2:3], v[8:9]
	v_dual_mul_f64 v[10:11], v[2:3], v[0:1] :: v_dual_lshlrev_b32 v0, 1, v6
                                        ; implicit-def: $vgpr6
                                        ; implicit-def: $vgpr2_vgpr3
                                        ; implicit-def: $vgpr4_vgpr5
	s_delay_alu instid0(VALU_DEP_1) | instskip(SKIP_1) | instid1(VALU_DEP_1)
	v_ashrrev_i32_e32 v1, 31, v0
	s_wait_kmcnt 0x0
	v_lshl_add_u64 v[0:1], v[0:1], 3, s[0:1]
	global_store_b128 v[0:1], v[8:11], off
                                        ; implicit-def: $vgpr8_vgpr9
                                        ; implicit-def: $vgpr0_vgpr1
.LBB87_21:
	s_wait_xcnt 0x0
	s_and_not1_saveexec_b32 s2, s2
	s_cbranch_execz .LBB87_23
; %bb.22:
	v_lshlrev_b32_e32 v6, 1, v6
	s_delay_alu instid0(VALU_DEP_1) | instskip(SKIP_1) | instid1(VALU_DEP_1)
	v_ashrrev_i32_e32 v7, 31, v6
	s_wait_kmcnt 0x0
	v_lshl_add_u64 v[14:15], v[6:7], 3, s[0:1]
	v_mul_f64_e32 v[6:7], v[2:3], v[8:9]
	v_mul_f64_e32 v[8:9], v[2:3], v[0:1]
	global_load_b128 v[10:13], v[14:15], off
	s_wait_loadcnt 0x0
	v_fmac_f64_e32 v[6:7], v[4:5], v[10:11]
	v_fmac_f64_e32 v[8:9], v[4:5], v[12:13]
	global_store_b128 v[14:15], v[6:9], off
.LBB87_23:
	s_endpgm
	.section	.rodata,"a",@progbits
	.p2align	6, 0x0
	.amdhsa_kernel _ZN9rocsparseL19gebsrmvn_2xn_kernelILj128ELj4ELj8EdEEvi20rocsparse_direction_NS_24const_host_device_scalarIT2_EEPKiS6_PKS3_S8_S4_PS3_21rocsparse_index_base_b
		.amdhsa_group_segment_fixed_size 0
		.amdhsa_private_segment_fixed_size 0
		.amdhsa_kernarg_size 72
		.amdhsa_user_sgpr_count 2
		.amdhsa_user_sgpr_dispatch_ptr 0
		.amdhsa_user_sgpr_queue_ptr 0
		.amdhsa_user_sgpr_kernarg_segment_ptr 1
		.amdhsa_user_sgpr_dispatch_id 0
		.amdhsa_user_sgpr_kernarg_preload_length 0
		.amdhsa_user_sgpr_kernarg_preload_offset 0
		.amdhsa_user_sgpr_private_segment_size 0
		.amdhsa_wavefront_size32 1
		.amdhsa_uses_dynamic_stack 0
		.amdhsa_enable_private_segment 0
		.amdhsa_system_sgpr_workgroup_id_x 1
		.amdhsa_system_sgpr_workgroup_id_y 0
		.amdhsa_system_sgpr_workgroup_id_z 0
		.amdhsa_system_sgpr_workgroup_info 0
		.amdhsa_system_vgpr_workitem_id 0
		.amdhsa_next_free_vgpr 44
		.amdhsa_next_free_sgpr 14
		.amdhsa_named_barrier_count 0
		.amdhsa_reserve_vcc 1
		.amdhsa_float_round_mode_32 0
		.amdhsa_float_round_mode_16_64 0
		.amdhsa_float_denorm_mode_32 3
		.amdhsa_float_denorm_mode_16_64 3
		.amdhsa_fp16_overflow 0
		.amdhsa_memory_ordered 1
		.amdhsa_forward_progress 1
		.amdhsa_inst_pref_size 10
		.amdhsa_round_robin_scheduling 0
		.amdhsa_exception_fp_ieee_invalid_op 0
		.amdhsa_exception_fp_denorm_src 0
		.amdhsa_exception_fp_ieee_div_zero 0
		.amdhsa_exception_fp_ieee_overflow 0
		.amdhsa_exception_fp_ieee_underflow 0
		.amdhsa_exception_fp_ieee_inexact 0
		.amdhsa_exception_int_div_zero 0
	.end_amdhsa_kernel
	.section	.text._ZN9rocsparseL19gebsrmvn_2xn_kernelILj128ELj4ELj8EdEEvi20rocsparse_direction_NS_24const_host_device_scalarIT2_EEPKiS6_PKS3_S8_S4_PS3_21rocsparse_index_base_b,"axG",@progbits,_ZN9rocsparseL19gebsrmvn_2xn_kernelILj128ELj4ELj8EdEEvi20rocsparse_direction_NS_24const_host_device_scalarIT2_EEPKiS6_PKS3_S8_S4_PS3_21rocsparse_index_base_b,comdat
.Lfunc_end87:
	.size	_ZN9rocsparseL19gebsrmvn_2xn_kernelILj128ELj4ELj8EdEEvi20rocsparse_direction_NS_24const_host_device_scalarIT2_EEPKiS6_PKS3_S8_S4_PS3_21rocsparse_index_base_b, .Lfunc_end87-_ZN9rocsparseL19gebsrmvn_2xn_kernelILj128ELj4ELj8EdEEvi20rocsparse_direction_NS_24const_host_device_scalarIT2_EEPKiS6_PKS3_S8_S4_PS3_21rocsparse_index_base_b
                                        ; -- End function
	.set _ZN9rocsparseL19gebsrmvn_2xn_kernelILj128ELj4ELj8EdEEvi20rocsparse_direction_NS_24const_host_device_scalarIT2_EEPKiS6_PKS3_S8_S4_PS3_21rocsparse_index_base_b.num_vgpr, 44
	.set _ZN9rocsparseL19gebsrmvn_2xn_kernelILj128ELj4ELj8EdEEvi20rocsparse_direction_NS_24const_host_device_scalarIT2_EEPKiS6_PKS3_S8_S4_PS3_21rocsparse_index_base_b.num_agpr, 0
	.set _ZN9rocsparseL19gebsrmvn_2xn_kernelILj128ELj4ELj8EdEEvi20rocsparse_direction_NS_24const_host_device_scalarIT2_EEPKiS6_PKS3_S8_S4_PS3_21rocsparse_index_base_b.numbered_sgpr, 14
	.set _ZN9rocsparseL19gebsrmvn_2xn_kernelILj128ELj4ELj8EdEEvi20rocsparse_direction_NS_24const_host_device_scalarIT2_EEPKiS6_PKS3_S8_S4_PS3_21rocsparse_index_base_b.num_named_barrier, 0
	.set _ZN9rocsparseL19gebsrmvn_2xn_kernelILj128ELj4ELj8EdEEvi20rocsparse_direction_NS_24const_host_device_scalarIT2_EEPKiS6_PKS3_S8_S4_PS3_21rocsparse_index_base_b.private_seg_size, 0
	.set _ZN9rocsparseL19gebsrmvn_2xn_kernelILj128ELj4ELj8EdEEvi20rocsparse_direction_NS_24const_host_device_scalarIT2_EEPKiS6_PKS3_S8_S4_PS3_21rocsparse_index_base_b.uses_vcc, 1
	.set _ZN9rocsparseL19gebsrmvn_2xn_kernelILj128ELj4ELj8EdEEvi20rocsparse_direction_NS_24const_host_device_scalarIT2_EEPKiS6_PKS3_S8_S4_PS3_21rocsparse_index_base_b.uses_flat_scratch, 0
	.set _ZN9rocsparseL19gebsrmvn_2xn_kernelILj128ELj4ELj8EdEEvi20rocsparse_direction_NS_24const_host_device_scalarIT2_EEPKiS6_PKS3_S8_S4_PS3_21rocsparse_index_base_b.has_dyn_sized_stack, 0
	.set _ZN9rocsparseL19gebsrmvn_2xn_kernelILj128ELj4ELj8EdEEvi20rocsparse_direction_NS_24const_host_device_scalarIT2_EEPKiS6_PKS3_S8_S4_PS3_21rocsparse_index_base_b.has_recursion, 0
	.set _ZN9rocsparseL19gebsrmvn_2xn_kernelILj128ELj4ELj8EdEEvi20rocsparse_direction_NS_24const_host_device_scalarIT2_EEPKiS6_PKS3_S8_S4_PS3_21rocsparse_index_base_b.has_indirect_call, 0
	.section	.AMDGPU.csdata,"",@progbits
; Kernel info:
; codeLenInByte = 1236
; TotalNumSgprs: 16
; NumVgprs: 44
; ScratchSize: 0
; MemoryBound: 1
; FloatMode: 240
; IeeeMode: 1
; LDSByteSize: 0 bytes/workgroup (compile time only)
; SGPRBlocks: 0
; VGPRBlocks: 2
; NumSGPRsForWavesPerEU: 16
; NumVGPRsForWavesPerEU: 44
; NamedBarCnt: 0
; Occupancy: 16
; WaveLimiterHint : 1
; COMPUTE_PGM_RSRC2:SCRATCH_EN: 0
; COMPUTE_PGM_RSRC2:USER_SGPR: 2
; COMPUTE_PGM_RSRC2:TRAP_HANDLER: 0
; COMPUTE_PGM_RSRC2:TGID_X_EN: 1
; COMPUTE_PGM_RSRC2:TGID_Y_EN: 0
; COMPUTE_PGM_RSRC2:TGID_Z_EN: 0
; COMPUTE_PGM_RSRC2:TIDIG_COMP_CNT: 0
	.section	.text._ZN9rocsparseL19gebsrmvn_2xn_kernelILj128ELj4ELj16EdEEvi20rocsparse_direction_NS_24const_host_device_scalarIT2_EEPKiS6_PKS3_S8_S4_PS3_21rocsparse_index_base_b,"axG",@progbits,_ZN9rocsparseL19gebsrmvn_2xn_kernelILj128ELj4ELj16EdEEvi20rocsparse_direction_NS_24const_host_device_scalarIT2_EEPKiS6_PKS3_S8_S4_PS3_21rocsparse_index_base_b,comdat
	.globl	_ZN9rocsparseL19gebsrmvn_2xn_kernelILj128ELj4ELj16EdEEvi20rocsparse_direction_NS_24const_host_device_scalarIT2_EEPKiS6_PKS3_S8_S4_PS3_21rocsparse_index_base_b ; -- Begin function _ZN9rocsparseL19gebsrmvn_2xn_kernelILj128ELj4ELj16EdEEvi20rocsparse_direction_NS_24const_host_device_scalarIT2_EEPKiS6_PKS3_S8_S4_PS3_21rocsparse_index_base_b
	.p2align	8
	.type	_ZN9rocsparseL19gebsrmvn_2xn_kernelILj128ELj4ELj16EdEEvi20rocsparse_direction_NS_24const_host_device_scalarIT2_EEPKiS6_PKS3_S8_S4_PS3_21rocsparse_index_base_b,@function
_ZN9rocsparseL19gebsrmvn_2xn_kernelILj128ELj4ELj16EdEEvi20rocsparse_direction_NS_24const_host_device_scalarIT2_EEPKiS6_PKS3_S8_S4_PS3_21rocsparse_index_base_b: ; @_ZN9rocsparseL19gebsrmvn_2xn_kernelILj128ELj4ELj16EdEEvi20rocsparse_direction_NS_24const_host_device_scalarIT2_EEPKiS6_PKS3_S8_S4_PS3_21rocsparse_index_base_b
; %bb.0:
	s_clause 0x2
	s_load_b64 s[12:13], s[0:1], 0x40
	s_load_b64 s[4:5], s[0:1], 0x8
	;; [unrolled: 1-line block ×3, first 2 shown]
	s_wait_kmcnt 0x0
	s_bitcmp1_b32 s13, 0
	v_mov_b64_e32 v[2:3], s[4:5]
	s_cselect_b32 s6, -1, 0
	s_delay_alu instid0(SALU_CYCLE_1)
	s_and_b32 vcc_lo, exec_lo, s6
	s_xor_b32 s6, s6, -1
	s_cbranch_vccnz .LBB88_2
; %bb.1:
	v_mov_b32_e32 v1, 0
	flat_load_b64 v[2:3], v1, s[4:5]
.LBB88_2:
	v_mov_b64_e32 v[4:5], s[2:3]
	s_and_not1_b32 vcc_lo, exec_lo, s6
	s_cbranch_vccnz .LBB88_4
; %bb.3:
	s_wait_xcnt 0x0
	v_mov_b32_e32 v1, 0
	flat_load_b64 v[4:5], v1, s[2:3]
.LBB88_4:
	s_wait_loadcnt_dscnt 0x0
	v_cmp_neq_f64_e32 vcc_lo, 0, v[2:3]
	s_delay_alu instid0(VALU_DEP_2) | instskip(SKIP_1) | instid1(SALU_CYCLE_1)
	v_cmp_neq_f64_e64 s2, 1.0, v[4:5]
	s_or_b32 s2, vcc_lo, s2
	s_and_saveexec_b32 s3, s2
	s_cbranch_execz .LBB88_23
; %bb.5:
	s_load_b64 s[2:3], s[0:1], 0x0
	s_bfe_u32 s4, ttmp6, 0x4000c
	s_and_b32 s5, ttmp6, 15
	s_add_co_i32 s4, s4, 1
	s_getreg_b32 s6, hwreg(HW_REG_IB_STS2, 6, 4)
	s_mul_i32 s4, ttmp9, s4
	v_lshrrev_b32_e32 v1, 4, v0
	s_add_co_i32 s5, s5, s4
	s_cmp_eq_u32 s6, 0
	s_cselect_b32 s4, ttmp9, s5
	s_delay_alu instid0(VALU_DEP_1) | instid1(SALU_CYCLE_1)
	v_lshl_or_b32 v6, s4, 3, v1
	s_wait_kmcnt 0x0
	s_delay_alu instid0(VALU_DEP_1)
	v_cmp_gt_i32_e32 vcc_lo, s2, v6
	s_and_b32 exec_lo, exec_lo, vcc_lo
	s_cbranch_execz .LBB88_23
; %bb.6:
	s_load_b256 s[4:11], s[0:1], 0x10
	v_ashrrev_i32_e32 v7, 31, v6
	s_cmp_lg_u32 s3, 0
	s_wait_kmcnt 0x0
	s_delay_alu instid0(VALU_DEP_1)
	v_lshl_add_u64 v[8:9], v[6:7], 2, s[4:5]
	v_and_b32_e32 v7, 15, v0
	global_load_b64 v[8:9], v[8:9], off
	s_wait_loadcnt 0x0
	v_subrev_nc_u32_e32 v0, s12, v8
	v_subrev_nc_u32_e32 v12, s12, v9
	s_delay_alu instid0(VALU_DEP_2) | instskip(NEXT) | instid1(VALU_DEP_1)
	v_add_nc_u32_e32 v13, v0, v7
	v_cmp_lt_i32_e64 s2, v13, v12
	s_cbranch_scc0 .LBB88_12
; %bb.7:
	v_mov_b64_e32 v[0:1], 0
	v_mov_b64_e32 v[8:9], 0
	s_and_saveexec_b32 s3, s2
	s_cbranch_execz .LBB88_11
; %bb.8:
	v_mov_b64_e32 v[0:1], 0
	v_mov_b64_e32 v[8:9], 0
	v_dual_mov_b32 v11, 0 :: v_dual_lshlrev_b32 v10, 3, v13
	v_mov_b32_e32 v14, v13
	s_mov_b32 s4, 0
.LBB88_9:                               ; =>This Inner Loop Header: Depth=1
	global_load_b32 v15, v14, s[6:7] scale_offset
	v_lshl_add_u64 v[40:41], v[10:11], 3, s[8:9]
	s_wait_xcnt 0x0
	v_add_nc_u32_e32 v14, 16, v14
	v_add_nc_u32_e32 v10, 0x80, v10
	s_delay_alu instid0(VALU_DEP_2) | instskip(SKIP_3) | instid1(VALU_DEP_1)
	v_cmp_ge_i32_e32 vcc_lo, v14, v12
	s_or_b32 s4, vcc_lo, s4
	s_wait_loadcnt 0x0
	v_subrev_nc_u32_e32 v15, s12, v15
	v_dual_mov_b32 v17, v11 :: v_dual_lshlrev_b32 v16, 2, v15
	s_delay_alu instid0(VALU_DEP_1)
	v_lshl_add_u64 v[42:43], v[16:17], 3, s[10:11]
	s_clause 0x1
	global_load_b128 v[16:19], v[40:41], off offset:16
	global_load_b128 v[20:23], v[40:41], off
	s_clause 0x1
	global_load_b128 v[24:27], v[42:43], off
	global_load_b128 v[28:31], v[42:43], off offset:16
	s_clause 0x1
	global_load_b128 v[32:35], v[40:41], off offset:32
	global_load_b128 v[36:39], v[40:41], off offset:48
	s_wait_loadcnt 0x3
	v_fmac_f64_e32 v[0:1], v[20:21], v[24:25]
	v_fmac_f64_e32 v[8:9], v[22:23], v[24:25]
	s_delay_alu instid0(VALU_DEP_2) | instskip(NEXT) | instid1(VALU_DEP_2)
	v_fmac_f64_e32 v[0:1], v[16:17], v[26:27]
	v_fmac_f64_e32 v[8:9], v[18:19], v[26:27]
	s_wait_loadcnt 0x1
	s_delay_alu instid0(VALU_DEP_2) | instskip(NEXT) | instid1(VALU_DEP_2)
	v_fmac_f64_e32 v[0:1], v[32:33], v[28:29]
	v_fmac_f64_e32 v[8:9], v[34:35], v[28:29]
	s_wait_loadcnt 0x0
	s_delay_alu instid0(VALU_DEP_2) | instskip(NEXT) | instid1(VALU_DEP_2)
	v_fmac_f64_e32 v[0:1], v[36:37], v[30:31]
	v_fmac_f64_e32 v[8:9], v[38:39], v[30:31]
	s_and_not1_b32 exec_lo, exec_lo, s4
	s_cbranch_execnz .LBB88_9
; %bb.10:
	s_or_b32 exec_lo, exec_lo, s4
.LBB88_11:
	s_delay_alu instid0(SALU_CYCLE_1)
	s_or_b32 exec_lo, exec_lo, s3
	s_cbranch_execz .LBB88_13
	s_branch .LBB88_18
.LBB88_12:
                                        ; implicit-def: $vgpr0_vgpr1
                                        ; implicit-def: $vgpr8_vgpr9
.LBB88_13:
	v_mov_b64_e32 v[0:1], 0
	v_mov_b64_e32 v[8:9], 0
	s_and_saveexec_b32 s3, s2
	s_cbranch_execz .LBB88_17
; %bb.14:
	v_mov_b64_e32 v[0:1], 0
	v_mov_b64_e32 v[8:9], 0
	v_dual_mov_b32 v11, 0 :: v_dual_lshlrev_b32 v10, 3, v13
	s_mov_b32 s2, 0
.LBB88_15:                              ; =>This Inner Loop Header: Depth=1
	global_load_b32 v14, v13, s[6:7] scale_offset
	v_lshl_add_u64 v[38:39], v[10:11], 3, s[8:9]
	s_wait_xcnt 0x0
	v_add_nc_u32_e32 v13, 16, v13
	v_add_nc_u32_e32 v10, 0x80, v10
	s_delay_alu instid0(VALU_DEP_2) | instskip(SKIP_3) | instid1(VALU_DEP_1)
	v_cmp_ge_i32_e32 vcc_lo, v13, v12
	s_or_b32 s2, vcc_lo, s2
	s_wait_loadcnt 0x0
	v_subrev_nc_u32_e32 v14, s12, v14
	v_dual_mov_b32 v19, v11 :: v_dual_lshlrev_b32 v18, 2, v14
	global_load_b128 v[14:17], v[38:39], off offset:48
	v_lshl_add_u64 v[40:41], v[18:19], 3, s[10:11]
	s_clause 0x2
	global_load_b128 v[18:21], v[38:39], off offset:32
	global_load_b128 v[22:25], v[38:39], off offset:16
	global_load_b128 v[26:29], v[38:39], off
	s_clause 0x1
	global_load_b128 v[30:33], v[40:41], off
	global_load_b128 v[34:37], v[40:41], off offset:16
	s_wait_loadcnt 0x1
	v_fmac_f64_e32 v[0:1], v[26:27], v[30:31]
	v_fmac_f64_e32 v[8:9], v[18:19], v[30:31]
	s_delay_alu instid0(VALU_DEP_2) | instskip(NEXT) | instid1(VALU_DEP_2)
	v_fmac_f64_e32 v[0:1], v[28:29], v[32:33]
	v_fmac_f64_e32 v[8:9], v[20:21], v[32:33]
	s_wait_loadcnt 0x0
	s_delay_alu instid0(VALU_DEP_2) | instskip(NEXT) | instid1(VALU_DEP_2)
	v_fmac_f64_e32 v[0:1], v[22:23], v[34:35]
	v_fmac_f64_e32 v[8:9], v[14:15], v[34:35]
	s_delay_alu instid0(VALU_DEP_2) | instskip(NEXT) | instid1(VALU_DEP_2)
	v_fmac_f64_e32 v[0:1], v[24:25], v[36:37]
	v_fmac_f64_e32 v[8:9], v[16:17], v[36:37]
	s_and_not1_b32 exec_lo, exec_lo, s2
	s_cbranch_execnz .LBB88_15
; %bb.16:
	s_or_b32 exec_lo, exec_lo, s2
.LBB88_17:
	s_delay_alu instid0(SALU_CYCLE_1)
	s_or_b32 exec_lo, exec_lo, s3
.LBB88_18:
	v_mbcnt_lo_u32_b32 v14, -1, 0
	s_delay_alu instid0(VALU_DEP_1) | instskip(NEXT) | instid1(VALU_DEP_1)
	v_xor_b32_e32 v10, 8, v14
	v_cmp_gt_i32_e32 vcc_lo, 32, v10
	v_cndmask_b32_e32 v10, v14, v10, vcc_lo
	s_delay_alu instid0(VALU_DEP_1)
	v_lshlrev_b32_e32 v13, 2, v10
	ds_bpermute_b32 v10, v13, v0
	ds_bpermute_b32 v11, v13, v1
	s_wait_dscnt 0x0
	v_add_f64_e32 v[0:1], v[0:1], v[10:11]
	v_xor_b32_e32 v10, 4, v14
	s_delay_alu instid0(VALU_DEP_1)
	v_cmp_gt_i32_e32 vcc_lo, 32, v10
	v_cndmask_b32_e32 v10, v14, v10, vcc_lo
	ds_bpermute_b32 v12, v13, v8
	ds_bpermute_b32 v13, v13, v9
	s_wait_dscnt 0x0
	v_dual_add_f64 v[8:9], v[8:9], v[12:13] :: v_dual_lshlrev_b32 v13, 2, v10
	ds_bpermute_b32 v10, v13, v0
	ds_bpermute_b32 v11, v13, v1
	s_wait_dscnt 0x0
	v_add_f64_e32 v[0:1], v[0:1], v[10:11]
	v_xor_b32_e32 v10, 2, v14
	s_delay_alu instid0(VALU_DEP_1)
	v_cmp_gt_i32_e32 vcc_lo, 32, v10
	v_cndmask_b32_e32 v10, v14, v10, vcc_lo
	ds_bpermute_b32 v12, v13, v8
	ds_bpermute_b32 v13, v13, v9
	s_wait_dscnt 0x0
	v_dual_add_f64 v[8:9], v[8:9], v[12:13] :: v_dual_lshlrev_b32 v13, 2, v10
	ds_bpermute_b32 v10, v13, v0
	ds_bpermute_b32 v11, v13, v1
	s_wait_dscnt 0x0
	v_add_f64_e32 v[0:1], v[0:1], v[10:11]
	ds_bpermute_b32 v12, v13, v8
	ds_bpermute_b32 v13, v13, v9
	s_wait_dscnt 0x0
	v_dual_add_f64 v[10:11], v[8:9], v[12:13] :: v_dual_bitop2_b32 v8, 1, v14 bitop3:0x14
	s_delay_alu instid0(VALU_DEP_1) | instskip(SKIP_2) | instid1(VALU_DEP_2)
	v_cmp_gt_i32_e32 vcc_lo, 32, v8
	v_cndmask_b32_e32 v8, v14, v8, vcc_lo
	v_cmp_eq_u32_e32 vcc_lo, 15, v7
	v_lshlrev_b32_e32 v13, 2, v8
	ds_bpermute_b32 v8, v13, v0
	ds_bpermute_b32 v9, v13, v1
	;; [unrolled: 1-line block ×4, first 2 shown]
	s_and_b32 exec_lo, exec_lo, vcc_lo
	s_cbranch_execz .LBB88_23
; %bb.19:
	s_wait_dscnt 0x2
	v_add_f64_e32 v[8:9], v[0:1], v[8:9]
	s_wait_dscnt 0x0
	v_add_f64_e32 v[0:1], v[10:11], v[12:13]
	s_load_b64 s[0:1], s[0:1], 0x38
	s_mov_b32 s2, exec_lo
	v_cmpx_eq_f64_e32 0, v[4:5]
	s_xor_b32 s2, exec_lo, s2
	s_cbranch_execz .LBB88_21
; %bb.20:
	s_delay_alu instid0(VALU_DEP_3) | instskip(NEXT) | instid1(VALU_DEP_3)
	v_mul_f64_e32 v[8:9], v[2:3], v[8:9]
	v_dual_mul_f64 v[10:11], v[2:3], v[0:1] :: v_dual_lshlrev_b32 v0, 1, v6
                                        ; implicit-def: $vgpr6
                                        ; implicit-def: $vgpr2_vgpr3
                                        ; implicit-def: $vgpr4_vgpr5
	s_delay_alu instid0(VALU_DEP_1) | instskip(SKIP_1) | instid1(VALU_DEP_1)
	v_ashrrev_i32_e32 v1, 31, v0
	s_wait_kmcnt 0x0
	v_lshl_add_u64 v[0:1], v[0:1], 3, s[0:1]
	global_store_b128 v[0:1], v[8:11], off
                                        ; implicit-def: $vgpr8_vgpr9
                                        ; implicit-def: $vgpr0_vgpr1
.LBB88_21:
	s_wait_xcnt 0x0
	s_and_not1_saveexec_b32 s2, s2
	s_cbranch_execz .LBB88_23
; %bb.22:
	v_lshlrev_b32_e32 v6, 1, v6
	s_delay_alu instid0(VALU_DEP_1) | instskip(SKIP_1) | instid1(VALU_DEP_1)
	v_ashrrev_i32_e32 v7, 31, v6
	s_wait_kmcnt 0x0
	v_lshl_add_u64 v[14:15], v[6:7], 3, s[0:1]
	v_mul_f64_e32 v[6:7], v[2:3], v[8:9]
	v_mul_f64_e32 v[8:9], v[2:3], v[0:1]
	global_load_b128 v[10:13], v[14:15], off
	s_wait_loadcnt 0x0
	v_fmac_f64_e32 v[6:7], v[4:5], v[10:11]
	v_fmac_f64_e32 v[8:9], v[4:5], v[12:13]
	global_store_b128 v[14:15], v[6:9], off
.LBB88_23:
	s_endpgm
	.section	.rodata,"a",@progbits
	.p2align	6, 0x0
	.amdhsa_kernel _ZN9rocsparseL19gebsrmvn_2xn_kernelILj128ELj4ELj16EdEEvi20rocsparse_direction_NS_24const_host_device_scalarIT2_EEPKiS6_PKS3_S8_S4_PS3_21rocsparse_index_base_b
		.amdhsa_group_segment_fixed_size 0
		.amdhsa_private_segment_fixed_size 0
		.amdhsa_kernarg_size 72
		.amdhsa_user_sgpr_count 2
		.amdhsa_user_sgpr_dispatch_ptr 0
		.amdhsa_user_sgpr_queue_ptr 0
		.amdhsa_user_sgpr_kernarg_segment_ptr 1
		.amdhsa_user_sgpr_dispatch_id 0
		.amdhsa_user_sgpr_kernarg_preload_length 0
		.amdhsa_user_sgpr_kernarg_preload_offset 0
		.amdhsa_user_sgpr_private_segment_size 0
		.amdhsa_wavefront_size32 1
		.amdhsa_uses_dynamic_stack 0
		.amdhsa_enable_private_segment 0
		.amdhsa_system_sgpr_workgroup_id_x 1
		.amdhsa_system_sgpr_workgroup_id_y 0
		.amdhsa_system_sgpr_workgroup_id_z 0
		.amdhsa_system_sgpr_workgroup_info 0
		.amdhsa_system_vgpr_workitem_id 0
		.amdhsa_next_free_vgpr 44
		.amdhsa_next_free_sgpr 14
		.amdhsa_named_barrier_count 0
		.amdhsa_reserve_vcc 1
		.amdhsa_float_round_mode_32 0
		.amdhsa_float_round_mode_16_64 0
		.amdhsa_float_denorm_mode_32 3
		.amdhsa_float_denorm_mode_16_64 3
		.amdhsa_fp16_overflow 0
		.amdhsa_memory_ordered 1
		.amdhsa_forward_progress 1
		.amdhsa_inst_pref_size 11
		.amdhsa_round_robin_scheduling 0
		.amdhsa_exception_fp_ieee_invalid_op 0
		.amdhsa_exception_fp_denorm_src 0
		.amdhsa_exception_fp_ieee_div_zero 0
		.amdhsa_exception_fp_ieee_overflow 0
		.amdhsa_exception_fp_ieee_underflow 0
		.amdhsa_exception_fp_ieee_inexact 0
		.amdhsa_exception_int_div_zero 0
	.end_amdhsa_kernel
	.section	.text._ZN9rocsparseL19gebsrmvn_2xn_kernelILj128ELj4ELj16EdEEvi20rocsparse_direction_NS_24const_host_device_scalarIT2_EEPKiS6_PKS3_S8_S4_PS3_21rocsparse_index_base_b,"axG",@progbits,_ZN9rocsparseL19gebsrmvn_2xn_kernelILj128ELj4ELj16EdEEvi20rocsparse_direction_NS_24const_host_device_scalarIT2_EEPKiS6_PKS3_S8_S4_PS3_21rocsparse_index_base_b,comdat
.Lfunc_end88:
	.size	_ZN9rocsparseL19gebsrmvn_2xn_kernelILj128ELj4ELj16EdEEvi20rocsparse_direction_NS_24const_host_device_scalarIT2_EEPKiS6_PKS3_S8_S4_PS3_21rocsparse_index_base_b, .Lfunc_end88-_ZN9rocsparseL19gebsrmvn_2xn_kernelILj128ELj4ELj16EdEEvi20rocsparse_direction_NS_24const_host_device_scalarIT2_EEPKiS6_PKS3_S8_S4_PS3_21rocsparse_index_base_b
                                        ; -- End function
	.set _ZN9rocsparseL19gebsrmvn_2xn_kernelILj128ELj4ELj16EdEEvi20rocsparse_direction_NS_24const_host_device_scalarIT2_EEPKiS6_PKS3_S8_S4_PS3_21rocsparse_index_base_b.num_vgpr, 44
	.set _ZN9rocsparseL19gebsrmvn_2xn_kernelILj128ELj4ELj16EdEEvi20rocsparse_direction_NS_24const_host_device_scalarIT2_EEPKiS6_PKS3_S8_S4_PS3_21rocsparse_index_base_b.num_agpr, 0
	.set _ZN9rocsparseL19gebsrmvn_2xn_kernelILj128ELj4ELj16EdEEvi20rocsparse_direction_NS_24const_host_device_scalarIT2_EEPKiS6_PKS3_S8_S4_PS3_21rocsparse_index_base_b.numbered_sgpr, 14
	.set _ZN9rocsparseL19gebsrmvn_2xn_kernelILj128ELj4ELj16EdEEvi20rocsparse_direction_NS_24const_host_device_scalarIT2_EEPKiS6_PKS3_S8_S4_PS3_21rocsparse_index_base_b.num_named_barrier, 0
	.set _ZN9rocsparseL19gebsrmvn_2xn_kernelILj128ELj4ELj16EdEEvi20rocsparse_direction_NS_24const_host_device_scalarIT2_EEPKiS6_PKS3_S8_S4_PS3_21rocsparse_index_base_b.private_seg_size, 0
	.set _ZN9rocsparseL19gebsrmvn_2xn_kernelILj128ELj4ELj16EdEEvi20rocsparse_direction_NS_24const_host_device_scalarIT2_EEPKiS6_PKS3_S8_S4_PS3_21rocsparse_index_base_b.uses_vcc, 1
	.set _ZN9rocsparseL19gebsrmvn_2xn_kernelILj128ELj4ELj16EdEEvi20rocsparse_direction_NS_24const_host_device_scalarIT2_EEPKiS6_PKS3_S8_S4_PS3_21rocsparse_index_base_b.uses_flat_scratch, 0
	.set _ZN9rocsparseL19gebsrmvn_2xn_kernelILj128ELj4ELj16EdEEvi20rocsparse_direction_NS_24const_host_device_scalarIT2_EEPKiS6_PKS3_S8_S4_PS3_21rocsparse_index_base_b.has_dyn_sized_stack, 0
	.set _ZN9rocsparseL19gebsrmvn_2xn_kernelILj128ELj4ELj16EdEEvi20rocsparse_direction_NS_24const_host_device_scalarIT2_EEPKiS6_PKS3_S8_S4_PS3_21rocsparse_index_base_b.has_recursion, 0
	.set _ZN9rocsparseL19gebsrmvn_2xn_kernelILj128ELj4ELj16EdEEvi20rocsparse_direction_NS_24const_host_device_scalarIT2_EEPKiS6_PKS3_S8_S4_PS3_21rocsparse_index_base_b.has_indirect_call, 0
	.section	.AMDGPU.csdata,"",@progbits
; Kernel info:
; codeLenInByte = 1312
; TotalNumSgprs: 16
; NumVgprs: 44
; ScratchSize: 0
; MemoryBound: 1
; FloatMode: 240
; IeeeMode: 1
; LDSByteSize: 0 bytes/workgroup (compile time only)
; SGPRBlocks: 0
; VGPRBlocks: 2
; NumSGPRsForWavesPerEU: 16
; NumVGPRsForWavesPerEU: 44
; NamedBarCnt: 0
; Occupancy: 16
; WaveLimiterHint : 1
; COMPUTE_PGM_RSRC2:SCRATCH_EN: 0
; COMPUTE_PGM_RSRC2:USER_SGPR: 2
; COMPUTE_PGM_RSRC2:TRAP_HANDLER: 0
; COMPUTE_PGM_RSRC2:TGID_X_EN: 1
; COMPUTE_PGM_RSRC2:TGID_Y_EN: 0
; COMPUTE_PGM_RSRC2:TGID_Z_EN: 0
; COMPUTE_PGM_RSRC2:TIDIG_COMP_CNT: 0
	.section	.text._ZN9rocsparseL19gebsrmvn_2xn_kernelILj128ELj4ELj32EdEEvi20rocsparse_direction_NS_24const_host_device_scalarIT2_EEPKiS6_PKS3_S8_S4_PS3_21rocsparse_index_base_b,"axG",@progbits,_ZN9rocsparseL19gebsrmvn_2xn_kernelILj128ELj4ELj32EdEEvi20rocsparse_direction_NS_24const_host_device_scalarIT2_EEPKiS6_PKS3_S8_S4_PS3_21rocsparse_index_base_b,comdat
	.globl	_ZN9rocsparseL19gebsrmvn_2xn_kernelILj128ELj4ELj32EdEEvi20rocsparse_direction_NS_24const_host_device_scalarIT2_EEPKiS6_PKS3_S8_S4_PS3_21rocsparse_index_base_b ; -- Begin function _ZN9rocsparseL19gebsrmvn_2xn_kernelILj128ELj4ELj32EdEEvi20rocsparse_direction_NS_24const_host_device_scalarIT2_EEPKiS6_PKS3_S8_S4_PS3_21rocsparse_index_base_b
	.p2align	8
	.type	_ZN9rocsparseL19gebsrmvn_2xn_kernelILj128ELj4ELj32EdEEvi20rocsparse_direction_NS_24const_host_device_scalarIT2_EEPKiS6_PKS3_S8_S4_PS3_21rocsparse_index_base_b,@function
_ZN9rocsparseL19gebsrmvn_2xn_kernelILj128ELj4ELj32EdEEvi20rocsparse_direction_NS_24const_host_device_scalarIT2_EEPKiS6_PKS3_S8_S4_PS3_21rocsparse_index_base_b: ; @_ZN9rocsparseL19gebsrmvn_2xn_kernelILj128ELj4ELj32EdEEvi20rocsparse_direction_NS_24const_host_device_scalarIT2_EEPKiS6_PKS3_S8_S4_PS3_21rocsparse_index_base_b
; %bb.0:
	s_clause 0x2
	s_load_b64 s[12:13], s[0:1], 0x40
	s_load_b64 s[4:5], s[0:1], 0x8
	;; [unrolled: 1-line block ×3, first 2 shown]
	s_wait_kmcnt 0x0
	s_bitcmp1_b32 s13, 0
	v_mov_b64_e32 v[2:3], s[4:5]
	s_cselect_b32 s6, -1, 0
	s_delay_alu instid0(SALU_CYCLE_1)
	s_and_b32 vcc_lo, exec_lo, s6
	s_xor_b32 s6, s6, -1
	s_cbranch_vccnz .LBB89_2
; %bb.1:
	v_mov_b32_e32 v1, 0
	flat_load_b64 v[2:3], v1, s[4:5]
.LBB89_2:
	v_mov_b64_e32 v[4:5], s[2:3]
	s_and_not1_b32 vcc_lo, exec_lo, s6
	s_cbranch_vccnz .LBB89_4
; %bb.3:
	s_wait_xcnt 0x0
	v_mov_b32_e32 v1, 0
	flat_load_b64 v[4:5], v1, s[2:3]
.LBB89_4:
	s_wait_loadcnt_dscnt 0x0
	v_cmp_neq_f64_e32 vcc_lo, 0, v[2:3]
	s_delay_alu instid0(VALU_DEP_2) | instskip(SKIP_1) | instid1(SALU_CYCLE_1)
	v_cmp_neq_f64_e64 s2, 1.0, v[4:5]
	s_or_b32 s2, vcc_lo, s2
	s_and_saveexec_b32 s3, s2
	s_cbranch_execz .LBB89_23
; %bb.5:
	s_load_b64 s[2:3], s[0:1], 0x0
	s_bfe_u32 s4, ttmp6, 0x4000c
	s_and_b32 s5, ttmp6, 15
	s_add_co_i32 s4, s4, 1
	s_getreg_b32 s6, hwreg(HW_REG_IB_STS2, 6, 4)
	s_mul_i32 s4, ttmp9, s4
	v_lshrrev_b32_e32 v1, 5, v0
	s_add_co_i32 s5, s5, s4
	s_cmp_eq_u32 s6, 0
	s_cselect_b32 s4, ttmp9, s5
	s_delay_alu instid0(VALU_DEP_1) | instid1(SALU_CYCLE_1)
	v_lshl_or_b32 v6, s4, 2, v1
	s_wait_kmcnt 0x0
	s_delay_alu instid0(VALU_DEP_1)
	v_cmp_gt_i32_e32 vcc_lo, s2, v6
	s_and_b32 exec_lo, exec_lo, vcc_lo
	s_cbranch_execz .LBB89_23
; %bb.6:
	s_load_b256 s[4:11], s[0:1], 0x10
	v_ashrrev_i32_e32 v7, 31, v6
	s_cmp_lg_u32 s3, 0
	s_wait_kmcnt 0x0
	s_delay_alu instid0(VALU_DEP_1)
	v_lshl_add_u64 v[8:9], v[6:7], 2, s[4:5]
	v_and_b32_e32 v7, 31, v0
	global_load_b64 v[8:9], v[8:9], off
	s_wait_loadcnt 0x0
	v_subrev_nc_u32_e32 v0, s12, v8
	v_subrev_nc_u32_e32 v12, s12, v9
	s_delay_alu instid0(VALU_DEP_2) | instskip(NEXT) | instid1(VALU_DEP_1)
	v_add_nc_u32_e32 v13, v0, v7
	v_cmp_lt_i32_e64 s2, v13, v12
	s_cbranch_scc0 .LBB89_12
; %bb.7:
	v_mov_b64_e32 v[0:1], 0
	v_mov_b64_e32 v[8:9], 0
	s_and_saveexec_b32 s3, s2
	s_cbranch_execz .LBB89_11
; %bb.8:
	v_mov_b64_e32 v[0:1], 0
	v_mov_b64_e32 v[8:9], 0
	v_dual_mov_b32 v11, 0 :: v_dual_lshlrev_b32 v10, 3, v13
	v_mov_b32_e32 v14, v13
	s_mov_b32 s4, 0
.LBB89_9:                               ; =>This Inner Loop Header: Depth=1
	global_load_b32 v15, v14, s[6:7] scale_offset
	v_lshl_add_u64 v[40:41], v[10:11], 3, s[8:9]
	s_wait_xcnt 0x0
	v_add_nc_u32_e32 v14, 32, v14
	v_add_nc_u32_e32 v10, 0x100, v10
	s_delay_alu instid0(VALU_DEP_2) | instskip(SKIP_3) | instid1(VALU_DEP_1)
	v_cmp_ge_i32_e32 vcc_lo, v14, v12
	s_or_b32 s4, vcc_lo, s4
	s_wait_loadcnt 0x0
	v_subrev_nc_u32_e32 v15, s12, v15
	v_dual_mov_b32 v17, v11 :: v_dual_lshlrev_b32 v16, 2, v15
	s_delay_alu instid0(VALU_DEP_1)
	v_lshl_add_u64 v[42:43], v[16:17], 3, s[10:11]
	s_clause 0x1
	global_load_b128 v[16:19], v[40:41], off offset:16
	global_load_b128 v[20:23], v[40:41], off
	s_clause 0x1
	global_load_b128 v[24:27], v[42:43], off
	global_load_b128 v[28:31], v[42:43], off offset:16
	s_clause 0x1
	global_load_b128 v[32:35], v[40:41], off offset:32
	global_load_b128 v[36:39], v[40:41], off offset:48
	s_wait_loadcnt 0x3
	v_fmac_f64_e32 v[0:1], v[20:21], v[24:25]
	v_fmac_f64_e32 v[8:9], v[22:23], v[24:25]
	s_delay_alu instid0(VALU_DEP_2) | instskip(NEXT) | instid1(VALU_DEP_2)
	v_fmac_f64_e32 v[0:1], v[16:17], v[26:27]
	v_fmac_f64_e32 v[8:9], v[18:19], v[26:27]
	s_wait_loadcnt 0x1
	s_delay_alu instid0(VALU_DEP_2) | instskip(NEXT) | instid1(VALU_DEP_2)
	v_fmac_f64_e32 v[0:1], v[32:33], v[28:29]
	v_fmac_f64_e32 v[8:9], v[34:35], v[28:29]
	s_wait_loadcnt 0x0
	s_delay_alu instid0(VALU_DEP_2) | instskip(NEXT) | instid1(VALU_DEP_2)
	v_fmac_f64_e32 v[0:1], v[36:37], v[30:31]
	v_fmac_f64_e32 v[8:9], v[38:39], v[30:31]
	s_and_not1_b32 exec_lo, exec_lo, s4
	s_cbranch_execnz .LBB89_9
; %bb.10:
	s_or_b32 exec_lo, exec_lo, s4
.LBB89_11:
	s_delay_alu instid0(SALU_CYCLE_1)
	s_or_b32 exec_lo, exec_lo, s3
	s_cbranch_execz .LBB89_13
	s_branch .LBB89_18
.LBB89_12:
                                        ; implicit-def: $vgpr0_vgpr1
                                        ; implicit-def: $vgpr8_vgpr9
.LBB89_13:
	v_mov_b64_e32 v[0:1], 0
	v_mov_b64_e32 v[8:9], 0
	s_and_saveexec_b32 s3, s2
	s_cbranch_execz .LBB89_17
; %bb.14:
	v_mov_b64_e32 v[0:1], 0
	v_mov_b64_e32 v[8:9], 0
	v_dual_mov_b32 v11, 0 :: v_dual_lshlrev_b32 v10, 3, v13
	s_mov_b32 s2, 0
.LBB89_15:                              ; =>This Inner Loop Header: Depth=1
	global_load_b32 v14, v13, s[6:7] scale_offset
	v_lshl_add_u64 v[38:39], v[10:11], 3, s[8:9]
	s_wait_xcnt 0x0
	v_add_nc_u32_e32 v13, 32, v13
	v_add_nc_u32_e32 v10, 0x100, v10
	s_delay_alu instid0(VALU_DEP_2) | instskip(SKIP_3) | instid1(VALU_DEP_1)
	v_cmp_ge_i32_e32 vcc_lo, v13, v12
	s_or_b32 s2, vcc_lo, s2
	s_wait_loadcnt 0x0
	v_subrev_nc_u32_e32 v14, s12, v14
	v_dual_mov_b32 v19, v11 :: v_dual_lshlrev_b32 v18, 2, v14
	global_load_b128 v[14:17], v[38:39], off offset:48
	v_lshl_add_u64 v[40:41], v[18:19], 3, s[10:11]
	s_clause 0x2
	global_load_b128 v[18:21], v[38:39], off offset:32
	global_load_b128 v[22:25], v[38:39], off offset:16
	global_load_b128 v[26:29], v[38:39], off
	s_clause 0x1
	global_load_b128 v[30:33], v[40:41], off
	global_load_b128 v[34:37], v[40:41], off offset:16
	s_wait_loadcnt 0x1
	v_fmac_f64_e32 v[0:1], v[26:27], v[30:31]
	v_fmac_f64_e32 v[8:9], v[18:19], v[30:31]
	s_delay_alu instid0(VALU_DEP_2) | instskip(NEXT) | instid1(VALU_DEP_2)
	v_fmac_f64_e32 v[0:1], v[28:29], v[32:33]
	v_fmac_f64_e32 v[8:9], v[20:21], v[32:33]
	s_wait_loadcnt 0x0
	s_delay_alu instid0(VALU_DEP_2) | instskip(NEXT) | instid1(VALU_DEP_2)
	v_fmac_f64_e32 v[0:1], v[22:23], v[34:35]
	v_fmac_f64_e32 v[8:9], v[14:15], v[34:35]
	s_delay_alu instid0(VALU_DEP_2) | instskip(NEXT) | instid1(VALU_DEP_2)
	v_fmac_f64_e32 v[0:1], v[24:25], v[36:37]
	v_fmac_f64_e32 v[8:9], v[16:17], v[36:37]
	s_and_not1_b32 exec_lo, exec_lo, s2
	s_cbranch_execnz .LBB89_15
; %bb.16:
	s_or_b32 exec_lo, exec_lo, s2
.LBB89_17:
	s_delay_alu instid0(SALU_CYCLE_1)
	s_or_b32 exec_lo, exec_lo, s3
.LBB89_18:
	v_mbcnt_lo_u32_b32 v14, -1, 0
	s_delay_alu instid0(VALU_DEP_1) | instskip(NEXT) | instid1(VALU_DEP_1)
	v_xor_b32_e32 v10, 16, v14
	v_cmp_gt_i32_e32 vcc_lo, 32, v10
	v_cndmask_b32_e32 v10, v14, v10, vcc_lo
	s_delay_alu instid0(VALU_DEP_1)
	v_lshlrev_b32_e32 v13, 2, v10
	ds_bpermute_b32 v10, v13, v0
	ds_bpermute_b32 v11, v13, v1
	s_wait_dscnt 0x0
	v_add_f64_e32 v[0:1], v[0:1], v[10:11]
	v_xor_b32_e32 v10, 8, v14
	s_delay_alu instid0(VALU_DEP_1)
	v_cmp_gt_i32_e32 vcc_lo, 32, v10
	v_cndmask_b32_e32 v10, v14, v10, vcc_lo
	ds_bpermute_b32 v12, v13, v8
	ds_bpermute_b32 v13, v13, v9
	s_wait_dscnt 0x0
	v_dual_add_f64 v[8:9], v[8:9], v[12:13] :: v_dual_lshlrev_b32 v13, 2, v10
	ds_bpermute_b32 v10, v13, v0
	ds_bpermute_b32 v11, v13, v1
	s_wait_dscnt 0x0
	v_add_f64_e32 v[0:1], v[0:1], v[10:11]
	v_xor_b32_e32 v10, 4, v14
	s_delay_alu instid0(VALU_DEP_1)
	v_cmp_gt_i32_e32 vcc_lo, 32, v10
	v_cndmask_b32_e32 v10, v14, v10, vcc_lo
	ds_bpermute_b32 v12, v13, v8
	ds_bpermute_b32 v13, v13, v9
	s_wait_dscnt 0x0
	v_dual_add_f64 v[8:9], v[8:9], v[12:13] :: v_dual_lshlrev_b32 v13, 2, v10
	;; [unrolled: 12-line block ×3, first 2 shown]
	ds_bpermute_b32 v10, v13, v0
	ds_bpermute_b32 v11, v13, v1
	s_wait_dscnt 0x0
	v_add_f64_e32 v[0:1], v[0:1], v[10:11]
	ds_bpermute_b32 v12, v13, v8
	ds_bpermute_b32 v13, v13, v9
	s_wait_dscnt 0x0
	v_dual_add_f64 v[10:11], v[8:9], v[12:13] :: v_dual_bitop2_b32 v8, 1, v14 bitop3:0x14
	s_delay_alu instid0(VALU_DEP_1) | instskip(SKIP_2) | instid1(VALU_DEP_2)
	v_cmp_gt_i32_e32 vcc_lo, 32, v8
	v_cndmask_b32_e32 v8, v14, v8, vcc_lo
	v_cmp_eq_u32_e32 vcc_lo, 31, v7
	v_lshlrev_b32_e32 v13, 2, v8
	ds_bpermute_b32 v8, v13, v0
	ds_bpermute_b32 v9, v13, v1
	;; [unrolled: 1-line block ×4, first 2 shown]
	s_and_b32 exec_lo, exec_lo, vcc_lo
	s_cbranch_execz .LBB89_23
; %bb.19:
	s_wait_dscnt 0x2
	v_add_f64_e32 v[8:9], v[0:1], v[8:9]
	s_wait_dscnt 0x0
	v_add_f64_e32 v[0:1], v[10:11], v[12:13]
	s_load_b64 s[0:1], s[0:1], 0x38
	s_mov_b32 s2, exec_lo
	v_cmpx_eq_f64_e32 0, v[4:5]
	s_xor_b32 s2, exec_lo, s2
	s_cbranch_execz .LBB89_21
; %bb.20:
	s_delay_alu instid0(VALU_DEP_3) | instskip(NEXT) | instid1(VALU_DEP_3)
	v_mul_f64_e32 v[8:9], v[2:3], v[8:9]
	v_dual_mul_f64 v[10:11], v[2:3], v[0:1] :: v_dual_lshlrev_b32 v0, 1, v6
                                        ; implicit-def: $vgpr6
                                        ; implicit-def: $vgpr2_vgpr3
                                        ; implicit-def: $vgpr4_vgpr5
	s_delay_alu instid0(VALU_DEP_1) | instskip(SKIP_1) | instid1(VALU_DEP_1)
	v_ashrrev_i32_e32 v1, 31, v0
	s_wait_kmcnt 0x0
	v_lshl_add_u64 v[0:1], v[0:1], 3, s[0:1]
	global_store_b128 v[0:1], v[8:11], off
                                        ; implicit-def: $vgpr8_vgpr9
                                        ; implicit-def: $vgpr0_vgpr1
.LBB89_21:
	s_wait_xcnt 0x0
	s_and_not1_saveexec_b32 s2, s2
	s_cbranch_execz .LBB89_23
; %bb.22:
	v_lshlrev_b32_e32 v6, 1, v6
	s_delay_alu instid0(VALU_DEP_1) | instskip(SKIP_1) | instid1(VALU_DEP_1)
	v_ashrrev_i32_e32 v7, 31, v6
	s_wait_kmcnt 0x0
	v_lshl_add_u64 v[14:15], v[6:7], 3, s[0:1]
	v_mul_f64_e32 v[6:7], v[2:3], v[8:9]
	v_mul_f64_e32 v[8:9], v[2:3], v[0:1]
	global_load_b128 v[10:13], v[14:15], off
	s_wait_loadcnt 0x0
	v_fmac_f64_e32 v[6:7], v[4:5], v[10:11]
	v_fmac_f64_e32 v[8:9], v[4:5], v[12:13]
	global_store_b128 v[14:15], v[6:9], off
.LBB89_23:
	s_endpgm
	.section	.rodata,"a",@progbits
	.p2align	6, 0x0
	.amdhsa_kernel _ZN9rocsparseL19gebsrmvn_2xn_kernelILj128ELj4ELj32EdEEvi20rocsparse_direction_NS_24const_host_device_scalarIT2_EEPKiS6_PKS3_S8_S4_PS3_21rocsparse_index_base_b
		.amdhsa_group_segment_fixed_size 0
		.amdhsa_private_segment_fixed_size 0
		.amdhsa_kernarg_size 72
		.amdhsa_user_sgpr_count 2
		.amdhsa_user_sgpr_dispatch_ptr 0
		.amdhsa_user_sgpr_queue_ptr 0
		.amdhsa_user_sgpr_kernarg_segment_ptr 1
		.amdhsa_user_sgpr_dispatch_id 0
		.amdhsa_user_sgpr_kernarg_preload_length 0
		.amdhsa_user_sgpr_kernarg_preload_offset 0
		.amdhsa_user_sgpr_private_segment_size 0
		.amdhsa_wavefront_size32 1
		.amdhsa_uses_dynamic_stack 0
		.amdhsa_enable_private_segment 0
		.amdhsa_system_sgpr_workgroup_id_x 1
		.amdhsa_system_sgpr_workgroup_id_y 0
		.amdhsa_system_sgpr_workgroup_id_z 0
		.amdhsa_system_sgpr_workgroup_info 0
		.amdhsa_system_vgpr_workitem_id 0
		.amdhsa_next_free_vgpr 44
		.amdhsa_next_free_sgpr 14
		.amdhsa_named_barrier_count 0
		.amdhsa_reserve_vcc 1
		.amdhsa_float_round_mode_32 0
		.amdhsa_float_round_mode_16_64 0
		.amdhsa_float_denorm_mode_32 3
		.amdhsa_float_denorm_mode_16_64 3
		.amdhsa_fp16_overflow 0
		.amdhsa_memory_ordered 1
		.amdhsa_forward_progress 1
		.amdhsa_inst_pref_size 11
		.amdhsa_round_robin_scheduling 0
		.amdhsa_exception_fp_ieee_invalid_op 0
		.amdhsa_exception_fp_denorm_src 0
		.amdhsa_exception_fp_ieee_div_zero 0
		.amdhsa_exception_fp_ieee_overflow 0
		.amdhsa_exception_fp_ieee_underflow 0
		.amdhsa_exception_fp_ieee_inexact 0
		.amdhsa_exception_int_div_zero 0
	.end_amdhsa_kernel
	.section	.text._ZN9rocsparseL19gebsrmvn_2xn_kernelILj128ELj4ELj32EdEEvi20rocsparse_direction_NS_24const_host_device_scalarIT2_EEPKiS6_PKS3_S8_S4_PS3_21rocsparse_index_base_b,"axG",@progbits,_ZN9rocsparseL19gebsrmvn_2xn_kernelILj128ELj4ELj32EdEEvi20rocsparse_direction_NS_24const_host_device_scalarIT2_EEPKiS6_PKS3_S8_S4_PS3_21rocsparse_index_base_b,comdat
.Lfunc_end89:
	.size	_ZN9rocsparseL19gebsrmvn_2xn_kernelILj128ELj4ELj32EdEEvi20rocsparse_direction_NS_24const_host_device_scalarIT2_EEPKiS6_PKS3_S8_S4_PS3_21rocsparse_index_base_b, .Lfunc_end89-_ZN9rocsparseL19gebsrmvn_2xn_kernelILj128ELj4ELj32EdEEvi20rocsparse_direction_NS_24const_host_device_scalarIT2_EEPKiS6_PKS3_S8_S4_PS3_21rocsparse_index_base_b
                                        ; -- End function
	.set _ZN9rocsparseL19gebsrmvn_2xn_kernelILj128ELj4ELj32EdEEvi20rocsparse_direction_NS_24const_host_device_scalarIT2_EEPKiS6_PKS3_S8_S4_PS3_21rocsparse_index_base_b.num_vgpr, 44
	.set _ZN9rocsparseL19gebsrmvn_2xn_kernelILj128ELj4ELj32EdEEvi20rocsparse_direction_NS_24const_host_device_scalarIT2_EEPKiS6_PKS3_S8_S4_PS3_21rocsparse_index_base_b.num_agpr, 0
	.set _ZN9rocsparseL19gebsrmvn_2xn_kernelILj128ELj4ELj32EdEEvi20rocsparse_direction_NS_24const_host_device_scalarIT2_EEPKiS6_PKS3_S8_S4_PS3_21rocsparse_index_base_b.numbered_sgpr, 14
	.set _ZN9rocsparseL19gebsrmvn_2xn_kernelILj128ELj4ELj32EdEEvi20rocsparse_direction_NS_24const_host_device_scalarIT2_EEPKiS6_PKS3_S8_S4_PS3_21rocsparse_index_base_b.num_named_barrier, 0
	.set _ZN9rocsparseL19gebsrmvn_2xn_kernelILj128ELj4ELj32EdEEvi20rocsparse_direction_NS_24const_host_device_scalarIT2_EEPKiS6_PKS3_S8_S4_PS3_21rocsparse_index_base_b.private_seg_size, 0
	.set _ZN9rocsparseL19gebsrmvn_2xn_kernelILj128ELj4ELj32EdEEvi20rocsparse_direction_NS_24const_host_device_scalarIT2_EEPKiS6_PKS3_S8_S4_PS3_21rocsparse_index_base_b.uses_vcc, 1
	.set _ZN9rocsparseL19gebsrmvn_2xn_kernelILj128ELj4ELj32EdEEvi20rocsparse_direction_NS_24const_host_device_scalarIT2_EEPKiS6_PKS3_S8_S4_PS3_21rocsparse_index_base_b.uses_flat_scratch, 0
	.set _ZN9rocsparseL19gebsrmvn_2xn_kernelILj128ELj4ELj32EdEEvi20rocsparse_direction_NS_24const_host_device_scalarIT2_EEPKiS6_PKS3_S8_S4_PS3_21rocsparse_index_base_b.has_dyn_sized_stack, 0
	.set _ZN9rocsparseL19gebsrmvn_2xn_kernelILj128ELj4ELj32EdEEvi20rocsparse_direction_NS_24const_host_device_scalarIT2_EEPKiS6_PKS3_S8_S4_PS3_21rocsparse_index_base_b.has_recursion, 0
	.set _ZN9rocsparseL19gebsrmvn_2xn_kernelILj128ELj4ELj32EdEEvi20rocsparse_direction_NS_24const_host_device_scalarIT2_EEPKiS6_PKS3_S8_S4_PS3_21rocsparse_index_base_b.has_indirect_call, 0
	.section	.AMDGPU.csdata,"",@progbits
; Kernel info:
; codeLenInByte = 1384
; TotalNumSgprs: 16
; NumVgprs: 44
; ScratchSize: 0
; MemoryBound: 1
; FloatMode: 240
; IeeeMode: 1
; LDSByteSize: 0 bytes/workgroup (compile time only)
; SGPRBlocks: 0
; VGPRBlocks: 2
; NumSGPRsForWavesPerEU: 16
; NumVGPRsForWavesPerEU: 44
; NamedBarCnt: 0
; Occupancy: 16
; WaveLimiterHint : 1
; COMPUTE_PGM_RSRC2:SCRATCH_EN: 0
; COMPUTE_PGM_RSRC2:USER_SGPR: 2
; COMPUTE_PGM_RSRC2:TRAP_HANDLER: 0
; COMPUTE_PGM_RSRC2:TGID_X_EN: 1
; COMPUTE_PGM_RSRC2:TGID_Y_EN: 0
; COMPUTE_PGM_RSRC2:TGID_Z_EN: 0
; COMPUTE_PGM_RSRC2:TIDIG_COMP_CNT: 0
	.section	.text._ZN9rocsparseL19gebsrmvn_2xn_kernelILj128ELj4ELj64EdEEvi20rocsparse_direction_NS_24const_host_device_scalarIT2_EEPKiS6_PKS3_S8_S4_PS3_21rocsparse_index_base_b,"axG",@progbits,_ZN9rocsparseL19gebsrmvn_2xn_kernelILj128ELj4ELj64EdEEvi20rocsparse_direction_NS_24const_host_device_scalarIT2_EEPKiS6_PKS3_S8_S4_PS3_21rocsparse_index_base_b,comdat
	.globl	_ZN9rocsparseL19gebsrmvn_2xn_kernelILj128ELj4ELj64EdEEvi20rocsparse_direction_NS_24const_host_device_scalarIT2_EEPKiS6_PKS3_S8_S4_PS3_21rocsparse_index_base_b ; -- Begin function _ZN9rocsparseL19gebsrmvn_2xn_kernelILj128ELj4ELj64EdEEvi20rocsparse_direction_NS_24const_host_device_scalarIT2_EEPKiS6_PKS3_S8_S4_PS3_21rocsparse_index_base_b
	.p2align	8
	.type	_ZN9rocsparseL19gebsrmvn_2xn_kernelILj128ELj4ELj64EdEEvi20rocsparse_direction_NS_24const_host_device_scalarIT2_EEPKiS6_PKS3_S8_S4_PS3_21rocsparse_index_base_b,@function
_ZN9rocsparseL19gebsrmvn_2xn_kernelILj128ELj4ELj64EdEEvi20rocsparse_direction_NS_24const_host_device_scalarIT2_EEPKiS6_PKS3_S8_S4_PS3_21rocsparse_index_base_b: ; @_ZN9rocsparseL19gebsrmvn_2xn_kernelILj128ELj4ELj64EdEEvi20rocsparse_direction_NS_24const_host_device_scalarIT2_EEPKiS6_PKS3_S8_S4_PS3_21rocsparse_index_base_b
; %bb.0:
	s_clause 0x2
	s_load_b64 s[12:13], s[0:1], 0x40
	s_load_b64 s[4:5], s[0:1], 0x8
	;; [unrolled: 1-line block ×3, first 2 shown]
	s_wait_kmcnt 0x0
	s_bitcmp1_b32 s13, 0
	v_mov_b64_e32 v[2:3], s[4:5]
	s_cselect_b32 s6, -1, 0
	s_delay_alu instid0(SALU_CYCLE_1)
	s_and_b32 vcc_lo, exec_lo, s6
	s_xor_b32 s6, s6, -1
	s_cbranch_vccnz .LBB90_2
; %bb.1:
	v_mov_b32_e32 v1, 0
	flat_load_b64 v[2:3], v1, s[4:5]
.LBB90_2:
	v_mov_b64_e32 v[4:5], s[2:3]
	s_and_not1_b32 vcc_lo, exec_lo, s6
	s_cbranch_vccnz .LBB90_4
; %bb.3:
	s_wait_xcnt 0x0
	v_mov_b32_e32 v1, 0
	flat_load_b64 v[4:5], v1, s[2:3]
.LBB90_4:
	s_wait_loadcnt_dscnt 0x0
	v_cmp_neq_f64_e32 vcc_lo, 0, v[2:3]
	s_delay_alu instid0(VALU_DEP_2) | instskip(SKIP_1) | instid1(SALU_CYCLE_1)
	v_cmp_neq_f64_e64 s2, 1.0, v[4:5]
	s_or_b32 s2, vcc_lo, s2
	s_and_saveexec_b32 s3, s2
	s_cbranch_execz .LBB90_23
; %bb.5:
	s_load_b64 s[2:3], s[0:1], 0x0
	s_bfe_u32 s4, ttmp6, 0x4000c
	s_and_b32 s5, ttmp6, 15
	s_add_co_i32 s4, s4, 1
	s_getreg_b32 s6, hwreg(HW_REG_IB_STS2, 6, 4)
	s_mul_i32 s4, ttmp9, s4
	v_lshrrev_b32_e32 v1, 6, v0
	s_add_co_i32 s5, s5, s4
	s_cmp_eq_u32 s6, 0
	s_cselect_b32 s4, ttmp9, s5
	s_delay_alu instid0(VALU_DEP_1) | instid1(SALU_CYCLE_1)
	v_lshl_or_b32 v6, s4, 1, v1
	s_wait_kmcnt 0x0
	s_delay_alu instid0(VALU_DEP_1)
	v_cmp_gt_i32_e32 vcc_lo, s2, v6
	s_and_b32 exec_lo, exec_lo, vcc_lo
	s_cbranch_execz .LBB90_23
; %bb.6:
	s_load_b256 s[4:11], s[0:1], 0x10
	v_ashrrev_i32_e32 v7, 31, v6
	s_cmp_lg_u32 s3, 0
	s_wait_kmcnt 0x0
	s_delay_alu instid0(VALU_DEP_1)
	v_lshl_add_u64 v[8:9], v[6:7], 2, s[4:5]
	v_and_b32_e32 v7, 63, v0
	global_load_b64 v[8:9], v[8:9], off
	s_wait_loadcnt 0x0
	v_subrev_nc_u32_e32 v0, s12, v8
	v_subrev_nc_u32_e32 v12, s12, v9
	s_delay_alu instid0(VALU_DEP_2) | instskip(NEXT) | instid1(VALU_DEP_1)
	v_add_nc_u32_e32 v13, v0, v7
	v_cmp_lt_i32_e64 s2, v13, v12
	s_cbranch_scc0 .LBB90_12
; %bb.7:
	v_mov_b64_e32 v[0:1], 0
	v_mov_b64_e32 v[8:9], 0
	s_and_saveexec_b32 s3, s2
	s_cbranch_execz .LBB90_11
; %bb.8:
	v_mov_b64_e32 v[0:1], 0
	v_mov_b64_e32 v[8:9], 0
	v_dual_mov_b32 v11, 0 :: v_dual_lshlrev_b32 v10, 3, v13
	v_mov_b32_e32 v14, v13
	s_mov_b32 s4, 0
.LBB90_9:                               ; =>This Inner Loop Header: Depth=1
	global_load_b32 v15, v14, s[6:7] scale_offset
	v_lshl_add_u64 v[40:41], v[10:11], 3, s[8:9]
	s_wait_xcnt 0x0
	v_add_nc_u32_e32 v14, 64, v14
	v_add_nc_u32_e32 v10, 0x200, v10
	s_delay_alu instid0(VALU_DEP_2) | instskip(SKIP_3) | instid1(VALU_DEP_1)
	v_cmp_ge_i32_e32 vcc_lo, v14, v12
	s_or_b32 s4, vcc_lo, s4
	s_wait_loadcnt 0x0
	v_subrev_nc_u32_e32 v15, s12, v15
	v_dual_mov_b32 v17, v11 :: v_dual_lshlrev_b32 v16, 2, v15
	s_delay_alu instid0(VALU_DEP_1)
	v_lshl_add_u64 v[42:43], v[16:17], 3, s[10:11]
	s_clause 0x1
	global_load_b128 v[16:19], v[40:41], off offset:16
	global_load_b128 v[20:23], v[40:41], off
	s_clause 0x1
	global_load_b128 v[24:27], v[42:43], off
	global_load_b128 v[28:31], v[42:43], off offset:16
	s_clause 0x1
	global_load_b128 v[32:35], v[40:41], off offset:32
	global_load_b128 v[36:39], v[40:41], off offset:48
	s_wait_loadcnt 0x3
	v_fmac_f64_e32 v[0:1], v[20:21], v[24:25]
	v_fmac_f64_e32 v[8:9], v[22:23], v[24:25]
	s_delay_alu instid0(VALU_DEP_2) | instskip(NEXT) | instid1(VALU_DEP_2)
	v_fmac_f64_e32 v[0:1], v[16:17], v[26:27]
	v_fmac_f64_e32 v[8:9], v[18:19], v[26:27]
	s_wait_loadcnt 0x1
	s_delay_alu instid0(VALU_DEP_2) | instskip(NEXT) | instid1(VALU_DEP_2)
	v_fmac_f64_e32 v[0:1], v[32:33], v[28:29]
	v_fmac_f64_e32 v[8:9], v[34:35], v[28:29]
	s_wait_loadcnt 0x0
	s_delay_alu instid0(VALU_DEP_2) | instskip(NEXT) | instid1(VALU_DEP_2)
	v_fmac_f64_e32 v[0:1], v[36:37], v[30:31]
	v_fmac_f64_e32 v[8:9], v[38:39], v[30:31]
	s_and_not1_b32 exec_lo, exec_lo, s4
	s_cbranch_execnz .LBB90_9
; %bb.10:
	s_or_b32 exec_lo, exec_lo, s4
.LBB90_11:
	s_delay_alu instid0(SALU_CYCLE_1)
	s_or_b32 exec_lo, exec_lo, s3
	s_cbranch_execz .LBB90_13
	s_branch .LBB90_18
.LBB90_12:
                                        ; implicit-def: $vgpr0_vgpr1
                                        ; implicit-def: $vgpr8_vgpr9
.LBB90_13:
	v_mov_b64_e32 v[0:1], 0
	v_mov_b64_e32 v[8:9], 0
	s_and_saveexec_b32 s3, s2
	s_cbranch_execz .LBB90_17
; %bb.14:
	v_mov_b64_e32 v[0:1], 0
	v_mov_b64_e32 v[8:9], 0
	v_dual_mov_b32 v11, 0 :: v_dual_lshlrev_b32 v10, 3, v13
	s_mov_b32 s2, 0
.LBB90_15:                              ; =>This Inner Loop Header: Depth=1
	global_load_b32 v14, v13, s[6:7] scale_offset
	v_lshl_add_u64 v[38:39], v[10:11], 3, s[8:9]
	s_wait_xcnt 0x0
	v_add_nc_u32_e32 v13, 64, v13
	v_add_nc_u32_e32 v10, 0x200, v10
	s_delay_alu instid0(VALU_DEP_2) | instskip(SKIP_3) | instid1(VALU_DEP_1)
	v_cmp_ge_i32_e32 vcc_lo, v13, v12
	s_or_b32 s2, vcc_lo, s2
	s_wait_loadcnt 0x0
	v_subrev_nc_u32_e32 v14, s12, v14
	v_dual_mov_b32 v19, v11 :: v_dual_lshlrev_b32 v18, 2, v14
	global_load_b128 v[14:17], v[38:39], off offset:48
	v_lshl_add_u64 v[40:41], v[18:19], 3, s[10:11]
	s_clause 0x2
	global_load_b128 v[18:21], v[38:39], off offset:32
	global_load_b128 v[22:25], v[38:39], off offset:16
	global_load_b128 v[26:29], v[38:39], off
	s_clause 0x1
	global_load_b128 v[30:33], v[40:41], off
	global_load_b128 v[34:37], v[40:41], off offset:16
	s_wait_loadcnt 0x1
	v_fmac_f64_e32 v[0:1], v[26:27], v[30:31]
	v_fmac_f64_e32 v[8:9], v[18:19], v[30:31]
	s_delay_alu instid0(VALU_DEP_2) | instskip(NEXT) | instid1(VALU_DEP_2)
	v_fmac_f64_e32 v[0:1], v[28:29], v[32:33]
	v_fmac_f64_e32 v[8:9], v[20:21], v[32:33]
	s_wait_loadcnt 0x0
	s_delay_alu instid0(VALU_DEP_2) | instskip(NEXT) | instid1(VALU_DEP_2)
	v_fmac_f64_e32 v[0:1], v[22:23], v[34:35]
	v_fmac_f64_e32 v[8:9], v[14:15], v[34:35]
	s_delay_alu instid0(VALU_DEP_2) | instskip(NEXT) | instid1(VALU_DEP_2)
	v_fmac_f64_e32 v[0:1], v[24:25], v[36:37]
	v_fmac_f64_e32 v[8:9], v[16:17], v[36:37]
	s_and_not1_b32 exec_lo, exec_lo, s2
	s_cbranch_execnz .LBB90_15
; %bb.16:
	s_or_b32 exec_lo, exec_lo, s2
.LBB90_17:
	s_delay_alu instid0(SALU_CYCLE_1)
	s_or_b32 exec_lo, exec_lo, s3
.LBB90_18:
	v_mbcnt_lo_u32_b32 v14, -1, 0
	s_delay_alu instid0(VALU_DEP_1) | instskip(NEXT) | instid1(VALU_DEP_1)
	v_or_b32_e32 v10, 32, v14
	v_cmp_gt_i32_e32 vcc_lo, 32, v10
	v_cndmask_b32_e32 v10, v14, v10, vcc_lo
	s_delay_alu instid0(VALU_DEP_1)
	v_lshlrev_b32_e32 v13, 2, v10
	ds_bpermute_b32 v10, v13, v0
	ds_bpermute_b32 v11, v13, v1
	s_wait_dscnt 0x0
	v_add_f64_e32 v[0:1], v[0:1], v[10:11]
	v_xor_b32_e32 v10, 16, v14
	s_delay_alu instid0(VALU_DEP_1)
	v_cmp_gt_i32_e32 vcc_lo, 32, v10
	v_cndmask_b32_e32 v10, v14, v10, vcc_lo
	ds_bpermute_b32 v12, v13, v8
	ds_bpermute_b32 v13, v13, v9
	s_wait_dscnt 0x0
	v_dual_add_f64 v[8:9], v[8:9], v[12:13] :: v_dual_lshlrev_b32 v13, 2, v10
	ds_bpermute_b32 v10, v13, v0
	ds_bpermute_b32 v11, v13, v1
	s_wait_dscnt 0x0
	v_add_f64_e32 v[0:1], v[0:1], v[10:11]
	v_xor_b32_e32 v10, 8, v14
	s_delay_alu instid0(VALU_DEP_1)
	v_cmp_gt_i32_e32 vcc_lo, 32, v10
	v_cndmask_b32_e32 v10, v14, v10, vcc_lo
	ds_bpermute_b32 v12, v13, v8
	ds_bpermute_b32 v13, v13, v9
	s_wait_dscnt 0x0
	v_dual_add_f64 v[8:9], v[8:9], v[12:13] :: v_dual_lshlrev_b32 v13, 2, v10
	;; [unrolled: 12-line block ×4, first 2 shown]
	ds_bpermute_b32 v10, v13, v0
	ds_bpermute_b32 v11, v13, v1
	s_wait_dscnt 0x0
	v_add_f64_e32 v[0:1], v[0:1], v[10:11]
	ds_bpermute_b32 v12, v13, v8
	ds_bpermute_b32 v13, v13, v9
	s_wait_dscnt 0x0
	v_dual_add_f64 v[10:11], v[8:9], v[12:13] :: v_dual_bitop2_b32 v8, 1, v14 bitop3:0x14
	s_delay_alu instid0(VALU_DEP_1) | instskip(SKIP_2) | instid1(VALU_DEP_2)
	v_cmp_gt_i32_e32 vcc_lo, 32, v8
	v_cndmask_b32_e32 v8, v14, v8, vcc_lo
	v_cmp_eq_u32_e32 vcc_lo, 63, v7
	v_lshlrev_b32_e32 v13, 2, v8
	ds_bpermute_b32 v8, v13, v0
	ds_bpermute_b32 v9, v13, v1
	;; [unrolled: 1-line block ×4, first 2 shown]
	s_and_b32 exec_lo, exec_lo, vcc_lo
	s_cbranch_execz .LBB90_23
; %bb.19:
	s_wait_dscnt 0x2
	v_add_f64_e32 v[8:9], v[0:1], v[8:9]
	s_wait_dscnt 0x0
	v_add_f64_e32 v[0:1], v[10:11], v[12:13]
	s_load_b64 s[0:1], s[0:1], 0x38
	s_mov_b32 s2, exec_lo
	v_cmpx_eq_f64_e32 0, v[4:5]
	s_xor_b32 s2, exec_lo, s2
	s_cbranch_execz .LBB90_21
; %bb.20:
	s_delay_alu instid0(VALU_DEP_3) | instskip(NEXT) | instid1(VALU_DEP_3)
	v_mul_f64_e32 v[8:9], v[2:3], v[8:9]
	v_dual_mul_f64 v[10:11], v[2:3], v[0:1] :: v_dual_lshlrev_b32 v0, 1, v6
                                        ; implicit-def: $vgpr6
                                        ; implicit-def: $vgpr2_vgpr3
                                        ; implicit-def: $vgpr4_vgpr5
	s_delay_alu instid0(VALU_DEP_1) | instskip(SKIP_1) | instid1(VALU_DEP_1)
	v_ashrrev_i32_e32 v1, 31, v0
	s_wait_kmcnt 0x0
	v_lshl_add_u64 v[0:1], v[0:1], 3, s[0:1]
	global_store_b128 v[0:1], v[8:11], off
                                        ; implicit-def: $vgpr8_vgpr9
                                        ; implicit-def: $vgpr0_vgpr1
.LBB90_21:
	s_wait_xcnt 0x0
	s_and_not1_saveexec_b32 s2, s2
	s_cbranch_execz .LBB90_23
; %bb.22:
	v_lshlrev_b32_e32 v6, 1, v6
	s_delay_alu instid0(VALU_DEP_1) | instskip(SKIP_1) | instid1(VALU_DEP_1)
	v_ashrrev_i32_e32 v7, 31, v6
	s_wait_kmcnt 0x0
	v_lshl_add_u64 v[14:15], v[6:7], 3, s[0:1]
	v_mul_f64_e32 v[6:7], v[2:3], v[8:9]
	v_mul_f64_e32 v[8:9], v[2:3], v[0:1]
	global_load_b128 v[10:13], v[14:15], off
	s_wait_loadcnt 0x0
	v_fmac_f64_e32 v[6:7], v[4:5], v[10:11]
	v_fmac_f64_e32 v[8:9], v[4:5], v[12:13]
	global_store_b128 v[14:15], v[6:9], off
.LBB90_23:
	s_endpgm
	.section	.rodata,"a",@progbits
	.p2align	6, 0x0
	.amdhsa_kernel _ZN9rocsparseL19gebsrmvn_2xn_kernelILj128ELj4ELj64EdEEvi20rocsparse_direction_NS_24const_host_device_scalarIT2_EEPKiS6_PKS3_S8_S4_PS3_21rocsparse_index_base_b
		.amdhsa_group_segment_fixed_size 0
		.amdhsa_private_segment_fixed_size 0
		.amdhsa_kernarg_size 72
		.amdhsa_user_sgpr_count 2
		.amdhsa_user_sgpr_dispatch_ptr 0
		.amdhsa_user_sgpr_queue_ptr 0
		.amdhsa_user_sgpr_kernarg_segment_ptr 1
		.amdhsa_user_sgpr_dispatch_id 0
		.amdhsa_user_sgpr_kernarg_preload_length 0
		.amdhsa_user_sgpr_kernarg_preload_offset 0
		.amdhsa_user_sgpr_private_segment_size 0
		.amdhsa_wavefront_size32 1
		.amdhsa_uses_dynamic_stack 0
		.amdhsa_enable_private_segment 0
		.amdhsa_system_sgpr_workgroup_id_x 1
		.amdhsa_system_sgpr_workgroup_id_y 0
		.amdhsa_system_sgpr_workgroup_id_z 0
		.amdhsa_system_sgpr_workgroup_info 0
		.amdhsa_system_vgpr_workitem_id 0
		.amdhsa_next_free_vgpr 44
		.amdhsa_next_free_sgpr 14
		.amdhsa_named_barrier_count 0
		.amdhsa_reserve_vcc 1
		.amdhsa_float_round_mode_32 0
		.amdhsa_float_round_mode_16_64 0
		.amdhsa_float_denorm_mode_32 3
		.amdhsa_float_denorm_mode_16_64 3
		.amdhsa_fp16_overflow 0
		.amdhsa_memory_ordered 1
		.amdhsa_forward_progress 1
		.amdhsa_inst_pref_size 12
		.amdhsa_round_robin_scheduling 0
		.amdhsa_exception_fp_ieee_invalid_op 0
		.amdhsa_exception_fp_denorm_src 0
		.amdhsa_exception_fp_ieee_div_zero 0
		.amdhsa_exception_fp_ieee_overflow 0
		.amdhsa_exception_fp_ieee_underflow 0
		.amdhsa_exception_fp_ieee_inexact 0
		.amdhsa_exception_int_div_zero 0
	.end_amdhsa_kernel
	.section	.text._ZN9rocsparseL19gebsrmvn_2xn_kernelILj128ELj4ELj64EdEEvi20rocsparse_direction_NS_24const_host_device_scalarIT2_EEPKiS6_PKS3_S8_S4_PS3_21rocsparse_index_base_b,"axG",@progbits,_ZN9rocsparseL19gebsrmvn_2xn_kernelILj128ELj4ELj64EdEEvi20rocsparse_direction_NS_24const_host_device_scalarIT2_EEPKiS6_PKS3_S8_S4_PS3_21rocsparse_index_base_b,comdat
.Lfunc_end90:
	.size	_ZN9rocsparseL19gebsrmvn_2xn_kernelILj128ELj4ELj64EdEEvi20rocsparse_direction_NS_24const_host_device_scalarIT2_EEPKiS6_PKS3_S8_S4_PS3_21rocsparse_index_base_b, .Lfunc_end90-_ZN9rocsparseL19gebsrmvn_2xn_kernelILj128ELj4ELj64EdEEvi20rocsparse_direction_NS_24const_host_device_scalarIT2_EEPKiS6_PKS3_S8_S4_PS3_21rocsparse_index_base_b
                                        ; -- End function
	.set _ZN9rocsparseL19gebsrmvn_2xn_kernelILj128ELj4ELj64EdEEvi20rocsparse_direction_NS_24const_host_device_scalarIT2_EEPKiS6_PKS3_S8_S4_PS3_21rocsparse_index_base_b.num_vgpr, 44
	.set _ZN9rocsparseL19gebsrmvn_2xn_kernelILj128ELj4ELj64EdEEvi20rocsparse_direction_NS_24const_host_device_scalarIT2_EEPKiS6_PKS3_S8_S4_PS3_21rocsparse_index_base_b.num_agpr, 0
	.set _ZN9rocsparseL19gebsrmvn_2xn_kernelILj128ELj4ELj64EdEEvi20rocsparse_direction_NS_24const_host_device_scalarIT2_EEPKiS6_PKS3_S8_S4_PS3_21rocsparse_index_base_b.numbered_sgpr, 14
	.set _ZN9rocsparseL19gebsrmvn_2xn_kernelILj128ELj4ELj64EdEEvi20rocsparse_direction_NS_24const_host_device_scalarIT2_EEPKiS6_PKS3_S8_S4_PS3_21rocsparse_index_base_b.num_named_barrier, 0
	.set _ZN9rocsparseL19gebsrmvn_2xn_kernelILj128ELj4ELj64EdEEvi20rocsparse_direction_NS_24const_host_device_scalarIT2_EEPKiS6_PKS3_S8_S4_PS3_21rocsparse_index_base_b.private_seg_size, 0
	.set _ZN9rocsparseL19gebsrmvn_2xn_kernelILj128ELj4ELj64EdEEvi20rocsparse_direction_NS_24const_host_device_scalarIT2_EEPKiS6_PKS3_S8_S4_PS3_21rocsparse_index_base_b.uses_vcc, 1
	.set _ZN9rocsparseL19gebsrmvn_2xn_kernelILj128ELj4ELj64EdEEvi20rocsparse_direction_NS_24const_host_device_scalarIT2_EEPKiS6_PKS3_S8_S4_PS3_21rocsparse_index_base_b.uses_flat_scratch, 0
	.set _ZN9rocsparseL19gebsrmvn_2xn_kernelILj128ELj4ELj64EdEEvi20rocsparse_direction_NS_24const_host_device_scalarIT2_EEPKiS6_PKS3_S8_S4_PS3_21rocsparse_index_base_b.has_dyn_sized_stack, 0
	.set _ZN9rocsparseL19gebsrmvn_2xn_kernelILj128ELj4ELj64EdEEvi20rocsparse_direction_NS_24const_host_device_scalarIT2_EEPKiS6_PKS3_S8_S4_PS3_21rocsparse_index_base_b.has_recursion, 0
	.set _ZN9rocsparseL19gebsrmvn_2xn_kernelILj128ELj4ELj64EdEEvi20rocsparse_direction_NS_24const_host_device_scalarIT2_EEPKiS6_PKS3_S8_S4_PS3_21rocsparse_index_base_b.has_indirect_call, 0
	.section	.AMDGPU.csdata,"",@progbits
; Kernel info:
; codeLenInByte = 1456
; TotalNumSgprs: 16
; NumVgprs: 44
; ScratchSize: 0
; MemoryBound: 1
; FloatMode: 240
; IeeeMode: 1
; LDSByteSize: 0 bytes/workgroup (compile time only)
; SGPRBlocks: 0
; VGPRBlocks: 2
; NumSGPRsForWavesPerEU: 16
; NumVGPRsForWavesPerEU: 44
; NamedBarCnt: 0
; Occupancy: 16
; WaveLimiterHint : 1
; COMPUTE_PGM_RSRC2:SCRATCH_EN: 0
; COMPUTE_PGM_RSRC2:USER_SGPR: 2
; COMPUTE_PGM_RSRC2:TRAP_HANDLER: 0
; COMPUTE_PGM_RSRC2:TGID_X_EN: 1
; COMPUTE_PGM_RSRC2:TGID_Y_EN: 0
; COMPUTE_PGM_RSRC2:TGID_Z_EN: 0
; COMPUTE_PGM_RSRC2:TIDIG_COMP_CNT: 0
	.section	.text._ZN9rocsparseL19gebsrmvn_2xn_kernelILj128ELj5ELj4EdEEvi20rocsparse_direction_NS_24const_host_device_scalarIT2_EEPKiS6_PKS3_S8_S4_PS3_21rocsparse_index_base_b,"axG",@progbits,_ZN9rocsparseL19gebsrmvn_2xn_kernelILj128ELj5ELj4EdEEvi20rocsparse_direction_NS_24const_host_device_scalarIT2_EEPKiS6_PKS3_S8_S4_PS3_21rocsparse_index_base_b,comdat
	.globl	_ZN9rocsparseL19gebsrmvn_2xn_kernelILj128ELj5ELj4EdEEvi20rocsparse_direction_NS_24const_host_device_scalarIT2_EEPKiS6_PKS3_S8_S4_PS3_21rocsparse_index_base_b ; -- Begin function _ZN9rocsparseL19gebsrmvn_2xn_kernelILj128ELj5ELj4EdEEvi20rocsparse_direction_NS_24const_host_device_scalarIT2_EEPKiS6_PKS3_S8_S4_PS3_21rocsparse_index_base_b
	.p2align	8
	.type	_ZN9rocsparseL19gebsrmvn_2xn_kernelILj128ELj5ELj4EdEEvi20rocsparse_direction_NS_24const_host_device_scalarIT2_EEPKiS6_PKS3_S8_S4_PS3_21rocsparse_index_base_b,@function
_ZN9rocsparseL19gebsrmvn_2xn_kernelILj128ELj5ELj4EdEEvi20rocsparse_direction_NS_24const_host_device_scalarIT2_EEPKiS6_PKS3_S8_S4_PS3_21rocsparse_index_base_b: ; @_ZN9rocsparseL19gebsrmvn_2xn_kernelILj128ELj5ELj4EdEEvi20rocsparse_direction_NS_24const_host_device_scalarIT2_EEPKiS6_PKS3_S8_S4_PS3_21rocsparse_index_base_b
; %bb.0:
	s_clause 0x2
	s_load_b64 s[12:13], s[0:1], 0x40
	s_load_b64 s[4:5], s[0:1], 0x8
	s_load_b64 s[2:3], s[0:1], 0x30
	s_wait_kmcnt 0x0
	s_bitcmp1_b32 s13, 0
	v_mov_b64_e32 v[2:3], s[4:5]
	s_cselect_b32 s6, -1, 0
	s_delay_alu instid0(SALU_CYCLE_1)
	s_and_b32 vcc_lo, exec_lo, s6
	s_xor_b32 s6, s6, -1
	s_cbranch_vccnz .LBB91_2
; %bb.1:
	v_mov_b32_e32 v1, 0
	flat_load_b64 v[2:3], v1, s[4:5]
.LBB91_2:
	v_mov_b64_e32 v[4:5], s[2:3]
	s_and_not1_b32 vcc_lo, exec_lo, s6
	s_cbranch_vccnz .LBB91_4
; %bb.3:
	s_wait_xcnt 0x0
	v_mov_b32_e32 v1, 0
	flat_load_b64 v[4:5], v1, s[2:3]
.LBB91_4:
	s_wait_loadcnt_dscnt 0x0
	v_cmp_neq_f64_e32 vcc_lo, 0, v[2:3]
	s_delay_alu instid0(VALU_DEP_2) | instskip(SKIP_1) | instid1(SALU_CYCLE_1)
	v_cmp_neq_f64_e64 s2, 1.0, v[4:5]
	s_or_b32 s2, vcc_lo, s2
	s_and_saveexec_b32 s3, s2
	s_cbranch_execz .LBB91_23
; %bb.5:
	s_load_b64 s[2:3], s[0:1], 0x0
	s_bfe_u32 s4, ttmp6, 0x4000c
	s_and_b32 s5, ttmp6, 15
	s_add_co_i32 s4, s4, 1
	s_getreg_b32 s6, hwreg(HW_REG_IB_STS2, 6, 4)
	s_mul_i32 s4, ttmp9, s4
	v_lshrrev_b32_e32 v1, 2, v0
	s_add_co_i32 s5, s5, s4
	s_cmp_eq_u32 s6, 0
	s_cselect_b32 s4, ttmp9, s5
	s_delay_alu instid0(VALU_DEP_1) | instid1(SALU_CYCLE_1)
	v_lshl_or_b32 v6, s4, 5, v1
	s_wait_kmcnt 0x0
	s_delay_alu instid0(VALU_DEP_1)
	v_cmp_gt_i32_e32 vcc_lo, s2, v6
	s_and_b32 exec_lo, exec_lo, vcc_lo
	s_cbranch_execz .LBB91_23
; %bb.6:
	s_load_b256 s[4:11], s[0:1], 0x10
	v_ashrrev_i32_e32 v7, 31, v6
	s_cmp_lg_u32 s3, 0
	s_wait_kmcnt 0x0
	s_delay_alu instid0(VALU_DEP_1)
	v_lshl_add_u64 v[8:9], v[6:7], 2, s[4:5]
	v_and_b32_e32 v7, 3, v0
	global_load_b64 v[8:9], v[8:9], off
	s_wait_loadcnt 0x0
	v_subrev_nc_u32_e32 v0, s12, v8
	v_subrev_nc_u32_e32 v14, s12, v9
	s_delay_alu instid0(VALU_DEP_2) | instskip(NEXT) | instid1(VALU_DEP_1)
	v_add_nc_u32_e32 v15, v0, v7
	v_cmp_lt_i32_e64 s2, v15, v14
	s_cbranch_scc0 .LBB91_12
; %bb.7:
	v_mov_b64_e32 v[0:1], 0
	v_mov_b64_e32 v[8:9], 0
	s_and_saveexec_b32 s3, s2
	s_cbranch_execz .LBB91_11
; %bb.8:
	v_mad_u32 v10, v15, 10, 8
	v_mov_b64_e32 v[0:1], 0
	v_mov_b64_e32 v[8:9], 0
	v_dual_mov_b32 v13, 0 :: v_dual_mov_b32 v16, v15
	s_mov_b32 s4, 0
.LBB91_9:                               ; =>This Inner Loop Header: Depth=1
	global_load_b32 v11, v16, s[6:7] scale_offset
	s_wait_xcnt 0x0
	v_add_nc_u32_e32 v16, 4, v16
	s_delay_alu instid0(VALU_DEP_1) | instskip(SKIP_3) | instid1(VALU_DEP_1)
	v_cmp_ge_i32_e32 vcc_lo, v16, v14
	s_or_b32 s4, vcc_lo, s4
	s_wait_loadcnt 0x0
	v_subrev_nc_u32_e32 v11, s12, v11
	v_lshl_add_u32 v17, v11, 2, v11
	s_delay_alu instid0(VALU_DEP_1) | instskip(NEXT) | instid1(VALU_DEP_1)
	v_dual_add_nc_u32 v12, -8, v10 :: v_dual_add_nc_u32 v11, 1, v17
	v_lshl_add_u64 v[22:23], v[12:13], 3, s[8:9]
	global_load_b128 v[18:21], v[22:23], off
	global_load_b64 v[38:39], v17, s[10:11] scale_offset
	v_add_nc_u32_e32 v12, -6, v10
	s_delay_alu instid0(VALU_DEP_1) | instskip(SKIP_4) | instid1(VALU_DEP_1)
	v_lshl_add_u64 v[26:27], v[12:13], 3, s[8:9]
	global_load_b128 v[22:25], v[26:27], off
	global_load_b64 v[40:41], v11, s[10:11] scale_offset
	s_wait_xcnt 0x0
	v_dual_add_nc_u32 v12, -4, v10 :: v_dual_add_nc_u32 v11, 2, v17
	v_lshl_add_u64 v[30:31], v[12:13], 3, s[8:9]
	global_load_b128 v[26:29], v[30:31], off
	global_load_b64 v[42:43], v11, s[10:11] scale_offset
	s_wait_xcnt 0x0
	v_dual_add_nc_u32 v12, -2, v10 :: v_dual_add_nc_u32 v11, 3, v17
	s_delay_alu instid0(VALU_DEP_1) | instskip(SKIP_4) | instid1(VALU_DEP_1)
	v_lshl_add_u64 v[34:35], v[12:13], 3, s[8:9]
	global_load_b128 v[30:33], v[34:35], off
	global_load_b64 v[44:45], v11, s[10:11] scale_offset
	s_wait_xcnt 0x0
	v_mov_b32_e32 v11, v13
	v_lshl_add_u64 v[46:47], v[10:11], 3, s[8:9]
	v_add_nc_u32_e32 v11, 4, v17
	global_load_b128 v[34:37], v[46:47], off
	global_load_b64 v[48:49], v11, s[10:11] scale_offset
	v_add_nc_u32_e32 v10, 40, v10
	s_wait_loadcnt 0x8
	v_fmac_f64_e32 v[0:1], v[18:19], v[38:39]
	v_fmac_f64_e32 v[8:9], v[20:21], v[38:39]
	s_wait_loadcnt 0x6
	s_delay_alu instid0(VALU_DEP_2) | instskip(NEXT) | instid1(VALU_DEP_2)
	v_fmac_f64_e32 v[0:1], v[22:23], v[40:41]
	v_fmac_f64_e32 v[8:9], v[24:25], v[40:41]
	s_wait_loadcnt 0x4
	s_delay_alu instid0(VALU_DEP_2) | instskip(NEXT) | instid1(VALU_DEP_2)
	;; [unrolled: 4-line block ×4, first 2 shown]
	v_fmac_f64_e32 v[0:1], v[34:35], v[48:49]
	v_fmac_f64_e32 v[8:9], v[36:37], v[48:49]
	s_and_not1_b32 exec_lo, exec_lo, s4
	s_cbranch_execnz .LBB91_9
; %bb.10:
	s_or_b32 exec_lo, exec_lo, s4
.LBB91_11:
	s_delay_alu instid0(SALU_CYCLE_1)
	s_or_b32 exec_lo, exec_lo, s3
	s_cbranch_execz .LBB91_13
	s_branch .LBB91_18
.LBB91_12:
                                        ; implicit-def: $vgpr0_vgpr1
                                        ; implicit-def: $vgpr8_vgpr9
.LBB91_13:
	v_mov_b64_e32 v[0:1], 0
	v_mov_b64_e32 v[8:9], 0
	s_and_saveexec_b32 s3, s2
	s_cbranch_execz .LBB91_17
; %bb.14:
	v_mad_u32 v12, v15, 10, 9
	v_mov_b64_e32 v[0:1], 0
	v_mov_b64_e32 v[8:9], 0
	v_mov_b32_e32 v11, 0
	s_mov_b32 s2, 0
.LBB91_15:                              ; =>This Inner Loop Header: Depth=1
	global_load_b32 v13, v15, s[6:7] scale_offset
	v_dual_add_nc_u32 v10, -9, v12 :: v_dual_add_nc_u32 v26, -4, v12
	s_wait_xcnt 0x0
	v_dual_add_nc_u32 v15, 4, v15 :: v_dual_add_nc_u32 v34, -2, v12
	s_delay_alu instid0(VALU_DEP_2) | instskip(SKIP_2) | instid1(VALU_DEP_1)
	v_lshl_add_u64 v[20:21], v[10:11], 3, s[8:9]
	s_wait_loadcnt 0x0
	v_subrev_nc_u32_e32 v13, s12, v13
	v_lshl_add_u32 v10, v13, 2, v13
	s_clause 0x1
	global_load_b128 v[16:19], v[20:21], off
	global_load_b64 v[22:23], v26, s[8:9] scale_offset
	global_load_b64 v[24:25], v10, s[10:11] scale_offset
	v_dual_add_nc_u32 v13, -3, v12 :: v_dual_add_nc_u32 v28, 1, v10
	global_load_b64 v[20:21], v13, s[8:9] scale_offset
	global_load_b64 v[26:27], v28, s[10:11] scale_offset
	s_wait_xcnt 0x1
	v_dual_add_nc_u32 v13, -7, v12 :: v_dual_add_nc_u32 v35, 2, v10
	v_dual_add_nc_u32 v40, -1, v12 :: v_dual_add_nc_u32 v41, 3, v10
	s_clause 0x1
	global_load_b64 v[28:29], v13, s[8:9] scale_offset
	global_load_b64 v[30:31], v34, s[8:9] scale_offset
	;; [unrolled: 1-line block ×3, first 2 shown]
	s_wait_xcnt 0x2
	v_add_nc_u32_e32 v13, -6, v12
	s_clause 0x1
	global_load_b64 v[34:35], v13, s[8:9] scale_offset
	global_load_b64 v[36:37], v40, s[8:9] scale_offset
	global_load_b64 v[38:39], v41, s[10:11] scale_offset
	s_wait_xcnt 0x2
	v_dual_add_nc_u32 v13, -5, v12 :: v_dual_add_nc_u32 v10, 4, v10
	s_clause 0x1
	global_load_b64 v[40:41], v12, s[8:9] scale_offset
	global_load_b64 v[42:43], v13, s[8:9] scale_offset
	;; [unrolled: 1-line block ×3, first 2 shown]
	s_wait_xcnt 0x2
	v_add_nc_u32_e32 v12, 40, v12
	v_cmp_ge_i32_e32 vcc_lo, v15, v14
	s_or_b32 s2, vcc_lo, s2
	s_wait_loadcnt 0xb
	v_fmac_f64_e32 v[0:1], v[16:17], v[24:25]
	v_fmac_f64_e32 v[8:9], v[22:23], v[24:25]
	s_wait_loadcnt 0x9
	s_delay_alu instid0(VALU_DEP_2) | instskip(NEXT) | instid1(VALU_DEP_2)
	v_fmac_f64_e32 v[0:1], v[18:19], v[26:27]
	v_fmac_f64_e32 v[8:9], v[20:21], v[26:27]
	s_wait_loadcnt 0x6
	s_delay_alu instid0(VALU_DEP_2) | instskip(NEXT) | instid1(VALU_DEP_2)
	;; [unrolled: 4-line block ×4, first 2 shown]
	v_fmac_f64_e32 v[0:1], v[42:43], v[44:45]
	v_fmac_f64_e32 v[8:9], v[40:41], v[44:45]
	s_and_not1_b32 exec_lo, exec_lo, s2
	s_cbranch_execnz .LBB91_15
; %bb.16:
	s_or_b32 exec_lo, exec_lo, s2
.LBB91_17:
	s_delay_alu instid0(SALU_CYCLE_1)
	s_or_b32 exec_lo, exec_lo, s3
.LBB91_18:
	v_mbcnt_lo_u32_b32 v14, -1, 0
	s_delay_alu instid0(VALU_DEP_1) | instskip(NEXT) | instid1(VALU_DEP_1)
	v_xor_b32_e32 v10, 2, v14
	v_cmp_gt_i32_e32 vcc_lo, 32, v10
	v_cndmask_b32_e32 v10, v14, v10, vcc_lo
	s_delay_alu instid0(VALU_DEP_1)
	v_lshlrev_b32_e32 v13, 2, v10
	ds_bpermute_b32 v10, v13, v0
	ds_bpermute_b32 v11, v13, v1
	;; [unrolled: 1-line block ×4, first 2 shown]
	s_wait_dscnt 0x2
	v_add_f64_e32 v[0:1], v[0:1], v[10:11]
	s_wait_dscnt 0x0
	v_dual_add_f64 v[10:11], v[8:9], v[12:13] :: v_dual_bitop2_b32 v8, 1, v14 bitop3:0x14
	s_delay_alu instid0(VALU_DEP_1) | instskip(SKIP_2) | instid1(VALU_DEP_2)
	v_cmp_gt_i32_e32 vcc_lo, 32, v8
	v_cndmask_b32_e32 v8, v14, v8, vcc_lo
	v_cmp_eq_u32_e32 vcc_lo, 3, v7
	v_lshlrev_b32_e32 v13, 2, v8
	ds_bpermute_b32 v8, v13, v0
	ds_bpermute_b32 v9, v13, v1
	ds_bpermute_b32 v12, v13, v10
	ds_bpermute_b32 v13, v13, v11
	s_and_b32 exec_lo, exec_lo, vcc_lo
	s_cbranch_execz .LBB91_23
; %bb.19:
	s_wait_dscnt 0x2
	v_add_f64_e32 v[8:9], v[0:1], v[8:9]
	s_wait_dscnt 0x0
	v_add_f64_e32 v[0:1], v[10:11], v[12:13]
	s_load_b64 s[0:1], s[0:1], 0x38
	s_mov_b32 s2, exec_lo
	v_cmpx_eq_f64_e32 0, v[4:5]
	s_xor_b32 s2, exec_lo, s2
	s_cbranch_execz .LBB91_21
; %bb.20:
	s_delay_alu instid0(VALU_DEP_3) | instskip(NEXT) | instid1(VALU_DEP_3)
	v_mul_f64_e32 v[8:9], v[2:3], v[8:9]
	v_dual_mul_f64 v[10:11], v[2:3], v[0:1] :: v_dual_lshlrev_b32 v0, 1, v6
                                        ; implicit-def: $vgpr6
                                        ; implicit-def: $vgpr2_vgpr3
                                        ; implicit-def: $vgpr4_vgpr5
	s_delay_alu instid0(VALU_DEP_1) | instskip(SKIP_1) | instid1(VALU_DEP_1)
	v_ashrrev_i32_e32 v1, 31, v0
	s_wait_kmcnt 0x0
	v_lshl_add_u64 v[0:1], v[0:1], 3, s[0:1]
	global_store_b128 v[0:1], v[8:11], off
                                        ; implicit-def: $vgpr8_vgpr9
                                        ; implicit-def: $vgpr0_vgpr1
.LBB91_21:
	s_wait_xcnt 0x0
	s_and_not1_saveexec_b32 s2, s2
	s_cbranch_execz .LBB91_23
; %bb.22:
	v_lshlrev_b32_e32 v6, 1, v6
	s_delay_alu instid0(VALU_DEP_1) | instskip(SKIP_1) | instid1(VALU_DEP_1)
	v_ashrrev_i32_e32 v7, 31, v6
	s_wait_kmcnt 0x0
	v_lshl_add_u64 v[14:15], v[6:7], 3, s[0:1]
	v_mul_f64_e32 v[6:7], v[2:3], v[8:9]
	v_mul_f64_e32 v[8:9], v[2:3], v[0:1]
	global_load_b128 v[10:13], v[14:15], off
	s_wait_loadcnt 0x0
	v_fmac_f64_e32 v[6:7], v[4:5], v[10:11]
	v_fmac_f64_e32 v[8:9], v[4:5], v[12:13]
	global_store_b128 v[14:15], v[6:9], off
.LBB91_23:
	s_endpgm
	.section	.rodata,"a",@progbits
	.p2align	6, 0x0
	.amdhsa_kernel _ZN9rocsparseL19gebsrmvn_2xn_kernelILj128ELj5ELj4EdEEvi20rocsparse_direction_NS_24const_host_device_scalarIT2_EEPKiS6_PKS3_S8_S4_PS3_21rocsparse_index_base_b
		.amdhsa_group_segment_fixed_size 0
		.amdhsa_private_segment_fixed_size 0
		.amdhsa_kernarg_size 72
		.amdhsa_user_sgpr_count 2
		.amdhsa_user_sgpr_dispatch_ptr 0
		.amdhsa_user_sgpr_queue_ptr 0
		.amdhsa_user_sgpr_kernarg_segment_ptr 1
		.amdhsa_user_sgpr_dispatch_id 0
		.amdhsa_user_sgpr_kernarg_preload_length 0
		.amdhsa_user_sgpr_kernarg_preload_offset 0
		.amdhsa_user_sgpr_private_segment_size 0
		.amdhsa_wavefront_size32 1
		.amdhsa_uses_dynamic_stack 0
		.amdhsa_enable_private_segment 0
		.amdhsa_system_sgpr_workgroup_id_x 1
		.amdhsa_system_sgpr_workgroup_id_y 0
		.amdhsa_system_sgpr_workgroup_id_z 0
		.amdhsa_system_sgpr_workgroup_info 0
		.amdhsa_system_vgpr_workitem_id 0
		.amdhsa_next_free_vgpr 50
		.amdhsa_next_free_sgpr 14
		.amdhsa_named_barrier_count 0
		.amdhsa_reserve_vcc 1
		.amdhsa_float_round_mode_32 0
		.amdhsa_float_round_mode_16_64 0
		.amdhsa_float_denorm_mode_32 3
		.amdhsa_float_denorm_mode_16_64 3
		.amdhsa_fp16_overflow 0
		.amdhsa_memory_ordered 1
		.amdhsa_forward_progress 1
		.amdhsa_inst_pref_size 12
		.amdhsa_round_robin_scheduling 0
		.amdhsa_exception_fp_ieee_invalid_op 0
		.amdhsa_exception_fp_denorm_src 0
		.amdhsa_exception_fp_ieee_div_zero 0
		.amdhsa_exception_fp_ieee_overflow 0
		.amdhsa_exception_fp_ieee_underflow 0
		.amdhsa_exception_fp_ieee_inexact 0
		.amdhsa_exception_int_div_zero 0
	.end_amdhsa_kernel
	.section	.text._ZN9rocsparseL19gebsrmvn_2xn_kernelILj128ELj5ELj4EdEEvi20rocsparse_direction_NS_24const_host_device_scalarIT2_EEPKiS6_PKS3_S8_S4_PS3_21rocsparse_index_base_b,"axG",@progbits,_ZN9rocsparseL19gebsrmvn_2xn_kernelILj128ELj5ELj4EdEEvi20rocsparse_direction_NS_24const_host_device_scalarIT2_EEPKiS6_PKS3_S8_S4_PS3_21rocsparse_index_base_b,comdat
.Lfunc_end91:
	.size	_ZN9rocsparseL19gebsrmvn_2xn_kernelILj128ELj5ELj4EdEEvi20rocsparse_direction_NS_24const_host_device_scalarIT2_EEPKiS6_PKS3_S8_S4_PS3_21rocsparse_index_base_b, .Lfunc_end91-_ZN9rocsparseL19gebsrmvn_2xn_kernelILj128ELj5ELj4EdEEvi20rocsparse_direction_NS_24const_host_device_scalarIT2_EEPKiS6_PKS3_S8_S4_PS3_21rocsparse_index_base_b
                                        ; -- End function
	.set _ZN9rocsparseL19gebsrmvn_2xn_kernelILj128ELj5ELj4EdEEvi20rocsparse_direction_NS_24const_host_device_scalarIT2_EEPKiS6_PKS3_S8_S4_PS3_21rocsparse_index_base_b.num_vgpr, 50
	.set _ZN9rocsparseL19gebsrmvn_2xn_kernelILj128ELj5ELj4EdEEvi20rocsparse_direction_NS_24const_host_device_scalarIT2_EEPKiS6_PKS3_S8_S4_PS3_21rocsparse_index_base_b.num_agpr, 0
	.set _ZN9rocsparseL19gebsrmvn_2xn_kernelILj128ELj5ELj4EdEEvi20rocsparse_direction_NS_24const_host_device_scalarIT2_EEPKiS6_PKS3_S8_S4_PS3_21rocsparse_index_base_b.numbered_sgpr, 14
	.set _ZN9rocsparseL19gebsrmvn_2xn_kernelILj128ELj5ELj4EdEEvi20rocsparse_direction_NS_24const_host_device_scalarIT2_EEPKiS6_PKS3_S8_S4_PS3_21rocsparse_index_base_b.num_named_barrier, 0
	.set _ZN9rocsparseL19gebsrmvn_2xn_kernelILj128ELj5ELj4EdEEvi20rocsparse_direction_NS_24const_host_device_scalarIT2_EEPKiS6_PKS3_S8_S4_PS3_21rocsparse_index_base_b.private_seg_size, 0
	.set _ZN9rocsparseL19gebsrmvn_2xn_kernelILj128ELj5ELj4EdEEvi20rocsparse_direction_NS_24const_host_device_scalarIT2_EEPKiS6_PKS3_S8_S4_PS3_21rocsparse_index_base_b.uses_vcc, 1
	.set _ZN9rocsparseL19gebsrmvn_2xn_kernelILj128ELj5ELj4EdEEvi20rocsparse_direction_NS_24const_host_device_scalarIT2_EEPKiS6_PKS3_S8_S4_PS3_21rocsparse_index_base_b.uses_flat_scratch, 0
	.set _ZN9rocsparseL19gebsrmvn_2xn_kernelILj128ELj5ELj4EdEEvi20rocsparse_direction_NS_24const_host_device_scalarIT2_EEPKiS6_PKS3_S8_S4_PS3_21rocsparse_index_base_b.has_dyn_sized_stack, 0
	.set _ZN9rocsparseL19gebsrmvn_2xn_kernelILj128ELj5ELj4EdEEvi20rocsparse_direction_NS_24const_host_device_scalarIT2_EEPKiS6_PKS3_S8_S4_PS3_21rocsparse_index_base_b.has_recursion, 0
	.set _ZN9rocsparseL19gebsrmvn_2xn_kernelILj128ELj5ELj4EdEEvi20rocsparse_direction_NS_24const_host_device_scalarIT2_EEPKiS6_PKS3_S8_S4_PS3_21rocsparse_index_base_b.has_indirect_call, 0
	.section	.AMDGPU.csdata,"",@progbits
; Kernel info:
; codeLenInByte = 1524
; TotalNumSgprs: 16
; NumVgprs: 50
; ScratchSize: 0
; MemoryBound: 0
; FloatMode: 240
; IeeeMode: 1
; LDSByteSize: 0 bytes/workgroup (compile time only)
; SGPRBlocks: 0
; VGPRBlocks: 3
; NumSGPRsForWavesPerEU: 16
; NumVGPRsForWavesPerEU: 50
; NamedBarCnt: 0
; Occupancy: 16
; WaveLimiterHint : 1
; COMPUTE_PGM_RSRC2:SCRATCH_EN: 0
; COMPUTE_PGM_RSRC2:USER_SGPR: 2
; COMPUTE_PGM_RSRC2:TRAP_HANDLER: 0
; COMPUTE_PGM_RSRC2:TGID_X_EN: 1
; COMPUTE_PGM_RSRC2:TGID_Y_EN: 0
; COMPUTE_PGM_RSRC2:TGID_Z_EN: 0
; COMPUTE_PGM_RSRC2:TIDIG_COMP_CNT: 0
	.section	.text._ZN9rocsparseL19gebsrmvn_2xn_kernelILj128ELj5ELj8EdEEvi20rocsparse_direction_NS_24const_host_device_scalarIT2_EEPKiS6_PKS3_S8_S4_PS3_21rocsparse_index_base_b,"axG",@progbits,_ZN9rocsparseL19gebsrmvn_2xn_kernelILj128ELj5ELj8EdEEvi20rocsparse_direction_NS_24const_host_device_scalarIT2_EEPKiS6_PKS3_S8_S4_PS3_21rocsparse_index_base_b,comdat
	.globl	_ZN9rocsparseL19gebsrmvn_2xn_kernelILj128ELj5ELj8EdEEvi20rocsparse_direction_NS_24const_host_device_scalarIT2_EEPKiS6_PKS3_S8_S4_PS3_21rocsparse_index_base_b ; -- Begin function _ZN9rocsparseL19gebsrmvn_2xn_kernelILj128ELj5ELj8EdEEvi20rocsparse_direction_NS_24const_host_device_scalarIT2_EEPKiS6_PKS3_S8_S4_PS3_21rocsparse_index_base_b
	.p2align	8
	.type	_ZN9rocsparseL19gebsrmvn_2xn_kernelILj128ELj5ELj8EdEEvi20rocsparse_direction_NS_24const_host_device_scalarIT2_EEPKiS6_PKS3_S8_S4_PS3_21rocsparse_index_base_b,@function
_ZN9rocsparseL19gebsrmvn_2xn_kernelILj128ELj5ELj8EdEEvi20rocsparse_direction_NS_24const_host_device_scalarIT2_EEPKiS6_PKS3_S8_S4_PS3_21rocsparse_index_base_b: ; @_ZN9rocsparseL19gebsrmvn_2xn_kernelILj128ELj5ELj8EdEEvi20rocsparse_direction_NS_24const_host_device_scalarIT2_EEPKiS6_PKS3_S8_S4_PS3_21rocsparse_index_base_b
; %bb.0:
	s_clause 0x2
	s_load_b64 s[12:13], s[0:1], 0x40
	s_load_b64 s[4:5], s[0:1], 0x8
	;; [unrolled: 1-line block ×3, first 2 shown]
	s_wait_kmcnt 0x0
	s_bitcmp1_b32 s13, 0
	v_mov_b64_e32 v[2:3], s[4:5]
	s_cselect_b32 s6, -1, 0
	s_delay_alu instid0(SALU_CYCLE_1)
	s_and_b32 vcc_lo, exec_lo, s6
	s_xor_b32 s6, s6, -1
	s_cbranch_vccnz .LBB92_2
; %bb.1:
	v_mov_b32_e32 v1, 0
	flat_load_b64 v[2:3], v1, s[4:5]
.LBB92_2:
	v_mov_b64_e32 v[4:5], s[2:3]
	s_and_not1_b32 vcc_lo, exec_lo, s6
	s_cbranch_vccnz .LBB92_4
; %bb.3:
	s_wait_xcnt 0x0
	v_mov_b32_e32 v1, 0
	flat_load_b64 v[4:5], v1, s[2:3]
.LBB92_4:
	s_wait_loadcnt_dscnt 0x0
	v_cmp_neq_f64_e32 vcc_lo, 0, v[2:3]
	s_delay_alu instid0(VALU_DEP_2) | instskip(SKIP_1) | instid1(SALU_CYCLE_1)
	v_cmp_neq_f64_e64 s2, 1.0, v[4:5]
	s_or_b32 s2, vcc_lo, s2
	s_and_saveexec_b32 s3, s2
	s_cbranch_execz .LBB92_23
; %bb.5:
	s_load_b64 s[2:3], s[0:1], 0x0
	s_bfe_u32 s4, ttmp6, 0x4000c
	s_and_b32 s5, ttmp6, 15
	s_add_co_i32 s4, s4, 1
	s_getreg_b32 s6, hwreg(HW_REG_IB_STS2, 6, 4)
	s_mul_i32 s4, ttmp9, s4
	v_lshrrev_b32_e32 v1, 3, v0
	s_add_co_i32 s5, s5, s4
	s_cmp_eq_u32 s6, 0
	s_cselect_b32 s4, ttmp9, s5
	s_delay_alu instid0(VALU_DEP_1) | instid1(SALU_CYCLE_1)
	v_lshl_or_b32 v6, s4, 4, v1
	s_wait_kmcnt 0x0
	s_delay_alu instid0(VALU_DEP_1)
	v_cmp_gt_i32_e32 vcc_lo, s2, v6
	s_and_b32 exec_lo, exec_lo, vcc_lo
	s_cbranch_execz .LBB92_23
; %bb.6:
	s_load_b256 s[4:11], s[0:1], 0x10
	v_ashrrev_i32_e32 v7, 31, v6
	s_cmp_lg_u32 s3, 0
	s_wait_kmcnt 0x0
	s_delay_alu instid0(VALU_DEP_1)
	v_lshl_add_u64 v[8:9], v[6:7], 2, s[4:5]
	v_and_b32_e32 v7, 7, v0
	global_load_b64 v[8:9], v[8:9], off
	s_wait_loadcnt 0x0
	v_subrev_nc_u32_e32 v0, s12, v8
	v_subrev_nc_u32_e32 v14, s12, v9
	s_delay_alu instid0(VALU_DEP_2) | instskip(NEXT) | instid1(VALU_DEP_1)
	v_add_nc_u32_e32 v15, v0, v7
	v_cmp_lt_i32_e64 s2, v15, v14
	s_cbranch_scc0 .LBB92_12
; %bb.7:
	v_mov_b64_e32 v[0:1], 0
	v_mov_b64_e32 v[8:9], 0
	s_and_saveexec_b32 s3, s2
	s_cbranch_execz .LBB92_11
; %bb.8:
	v_mad_u32 v10, v15, 10, 8
	v_mov_b64_e32 v[0:1], 0
	v_mov_b64_e32 v[8:9], 0
	v_dual_mov_b32 v13, 0 :: v_dual_mov_b32 v16, v15
	s_mov_b32 s4, 0
.LBB92_9:                               ; =>This Inner Loop Header: Depth=1
	global_load_b32 v11, v16, s[6:7] scale_offset
	s_wait_xcnt 0x0
	v_add_nc_u32_e32 v16, 8, v16
	s_delay_alu instid0(VALU_DEP_1) | instskip(SKIP_3) | instid1(VALU_DEP_1)
	v_cmp_ge_i32_e32 vcc_lo, v16, v14
	s_or_b32 s4, vcc_lo, s4
	s_wait_loadcnt 0x0
	v_subrev_nc_u32_e32 v11, s12, v11
	v_lshl_add_u32 v17, v11, 2, v11
	s_delay_alu instid0(VALU_DEP_1) | instskip(NEXT) | instid1(VALU_DEP_1)
	v_dual_add_nc_u32 v12, -8, v10 :: v_dual_add_nc_u32 v11, 1, v17
	v_lshl_add_u64 v[22:23], v[12:13], 3, s[8:9]
	global_load_b128 v[18:21], v[22:23], off
	global_load_b64 v[38:39], v17, s[10:11] scale_offset
	v_add_nc_u32_e32 v12, -6, v10
	s_delay_alu instid0(VALU_DEP_1) | instskip(SKIP_4) | instid1(VALU_DEP_1)
	v_lshl_add_u64 v[26:27], v[12:13], 3, s[8:9]
	global_load_b128 v[22:25], v[26:27], off
	global_load_b64 v[40:41], v11, s[10:11] scale_offset
	s_wait_xcnt 0x0
	v_dual_add_nc_u32 v12, -4, v10 :: v_dual_add_nc_u32 v11, 2, v17
	v_lshl_add_u64 v[30:31], v[12:13], 3, s[8:9]
	global_load_b128 v[26:29], v[30:31], off
	global_load_b64 v[42:43], v11, s[10:11] scale_offset
	s_wait_xcnt 0x0
	v_dual_add_nc_u32 v12, -2, v10 :: v_dual_add_nc_u32 v11, 3, v17
	s_delay_alu instid0(VALU_DEP_1) | instskip(SKIP_4) | instid1(VALU_DEP_1)
	v_lshl_add_u64 v[34:35], v[12:13], 3, s[8:9]
	global_load_b128 v[30:33], v[34:35], off
	global_load_b64 v[44:45], v11, s[10:11] scale_offset
	s_wait_xcnt 0x0
	v_mov_b32_e32 v11, v13
	v_lshl_add_u64 v[46:47], v[10:11], 3, s[8:9]
	v_add_nc_u32_e32 v11, 4, v17
	global_load_b128 v[34:37], v[46:47], off
	global_load_b64 v[48:49], v11, s[10:11] scale_offset
	v_add_nc_u32_e32 v10, 0x50, v10
	s_wait_loadcnt 0x8
	v_fmac_f64_e32 v[0:1], v[18:19], v[38:39]
	v_fmac_f64_e32 v[8:9], v[20:21], v[38:39]
	s_wait_loadcnt 0x6
	s_delay_alu instid0(VALU_DEP_2) | instskip(NEXT) | instid1(VALU_DEP_2)
	v_fmac_f64_e32 v[0:1], v[22:23], v[40:41]
	v_fmac_f64_e32 v[8:9], v[24:25], v[40:41]
	s_wait_loadcnt 0x4
	s_delay_alu instid0(VALU_DEP_2) | instskip(NEXT) | instid1(VALU_DEP_2)
	;; [unrolled: 4-line block ×4, first 2 shown]
	v_fmac_f64_e32 v[0:1], v[34:35], v[48:49]
	v_fmac_f64_e32 v[8:9], v[36:37], v[48:49]
	s_and_not1_b32 exec_lo, exec_lo, s4
	s_cbranch_execnz .LBB92_9
; %bb.10:
	s_or_b32 exec_lo, exec_lo, s4
.LBB92_11:
	s_delay_alu instid0(SALU_CYCLE_1)
	s_or_b32 exec_lo, exec_lo, s3
	s_cbranch_execz .LBB92_13
	s_branch .LBB92_18
.LBB92_12:
                                        ; implicit-def: $vgpr0_vgpr1
                                        ; implicit-def: $vgpr8_vgpr9
.LBB92_13:
	v_mov_b64_e32 v[0:1], 0
	v_mov_b64_e32 v[8:9], 0
	s_and_saveexec_b32 s3, s2
	s_cbranch_execz .LBB92_17
; %bb.14:
	v_mad_u32 v12, v15, 10, 9
	v_mov_b64_e32 v[0:1], 0
	v_mov_b64_e32 v[8:9], 0
	v_mov_b32_e32 v11, 0
	s_mov_b32 s2, 0
.LBB92_15:                              ; =>This Inner Loop Header: Depth=1
	global_load_b32 v13, v15, s[6:7] scale_offset
	v_dual_add_nc_u32 v10, -9, v12 :: v_dual_add_nc_u32 v26, -4, v12
	s_wait_xcnt 0x0
	v_dual_add_nc_u32 v15, 8, v15 :: v_dual_add_nc_u32 v34, -2, v12
	s_delay_alu instid0(VALU_DEP_2) | instskip(NEXT) | instid1(VALU_DEP_2)
	v_lshl_add_u64 v[20:21], v[10:11], 3, s[8:9]
	v_cmp_ge_i32_e32 vcc_lo, v15, v14
	s_or_b32 s2, vcc_lo, s2
	s_wait_loadcnt 0x0
	v_subrev_nc_u32_e32 v13, s12, v13
	s_delay_alu instid0(VALU_DEP_1)
	v_lshl_add_u32 v10, v13, 2, v13
	s_clause 0x1
	global_load_b128 v[16:19], v[20:21], off
	global_load_b64 v[22:23], v26, s[8:9] scale_offset
	global_load_b64 v[24:25], v10, s[10:11] scale_offset
	v_dual_add_nc_u32 v13, -3, v12 :: v_dual_add_nc_u32 v28, 1, v10
	global_load_b64 v[20:21], v13, s[8:9] scale_offset
	global_load_b64 v[26:27], v28, s[10:11] scale_offset
	s_wait_xcnt 0x1
	v_dual_add_nc_u32 v13, -7, v12 :: v_dual_add_nc_u32 v35, 2, v10
	v_dual_add_nc_u32 v40, -1, v12 :: v_dual_add_nc_u32 v41, 3, v10
	s_clause 0x1
	global_load_b64 v[28:29], v13, s[8:9] scale_offset
	global_load_b64 v[30:31], v34, s[8:9] scale_offset
	;; [unrolled: 1-line block ×3, first 2 shown]
	s_wait_xcnt 0x2
	v_add_nc_u32_e32 v13, -6, v12
	s_clause 0x1
	global_load_b64 v[34:35], v13, s[8:9] scale_offset
	global_load_b64 v[36:37], v40, s[8:9] scale_offset
	;; [unrolled: 1-line block ×3, first 2 shown]
	s_wait_xcnt 0x2
	v_dual_add_nc_u32 v13, -5, v12 :: v_dual_add_nc_u32 v10, 4, v10
	s_clause 0x1
	global_load_b64 v[40:41], v12, s[8:9] scale_offset
	global_load_b64 v[42:43], v13, s[8:9] scale_offset
	;; [unrolled: 1-line block ×3, first 2 shown]
	s_wait_xcnt 0x2
	v_add_nc_u32_e32 v12, 0x50, v12
	s_wait_loadcnt 0xb
	v_fmac_f64_e32 v[0:1], v[16:17], v[24:25]
	v_fmac_f64_e32 v[8:9], v[22:23], v[24:25]
	s_wait_loadcnt 0x9
	s_delay_alu instid0(VALU_DEP_2) | instskip(NEXT) | instid1(VALU_DEP_2)
	v_fmac_f64_e32 v[0:1], v[18:19], v[26:27]
	v_fmac_f64_e32 v[8:9], v[20:21], v[26:27]
	s_wait_loadcnt 0x6
	s_delay_alu instid0(VALU_DEP_2) | instskip(NEXT) | instid1(VALU_DEP_2)
	v_fmac_f64_e32 v[0:1], v[28:29], v[32:33]
	v_fmac_f64_e32 v[8:9], v[30:31], v[32:33]
	s_wait_loadcnt 0x3
	s_delay_alu instid0(VALU_DEP_2) | instskip(NEXT) | instid1(VALU_DEP_2)
	v_fmac_f64_e32 v[0:1], v[34:35], v[38:39]
	v_fmac_f64_e32 v[8:9], v[36:37], v[38:39]
	s_wait_loadcnt 0x0
	s_delay_alu instid0(VALU_DEP_2) | instskip(NEXT) | instid1(VALU_DEP_2)
	v_fmac_f64_e32 v[0:1], v[42:43], v[44:45]
	v_fmac_f64_e32 v[8:9], v[40:41], v[44:45]
	s_and_not1_b32 exec_lo, exec_lo, s2
	s_cbranch_execnz .LBB92_15
; %bb.16:
	s_or_b32 exec_lo, exec_lo, s2
.LBB92_17:
	s_delay_alu instid0(SALU_CYCLE_1)
	s_or_b32 exec_lo, exec_lo, s3
.LBB92_18:
	v_mbcnt_lo_u32_b32 v14, -1, 0
	s_delay_alu instid0(VALU_DEP_1) | instskip(NEXT) | instid1(VALU_DEP_1)
	v_xor_b32_e32 v10, 4, v14
	v_cmp_gt_i32_e32 vcc_lo, 32, v10
	v_cndmask_b32_e32 v10, v14, v10, vcc_lo
	s_delay_alu instid0(VALU_DEP_1)
	v_lshlrev_b32_e32 v13, 2, v10
	ds_bpermute_b32 v10, v13, v0
	ds_bpermute_b32 v11, v13, v1
	s_wait_dscnt 0x0
	v_add_f64_e32 v[0:1], v[0:1], v[10:11]
	v_xor_b32_e32 v10, 2, v14
	s_delay_alu instid0(VALU_DEP_1)
	v_cmp_gt_i32_e32 vcc_lo, 32, v10
	v_cndmask_b32_e32 v10, v14, v10, vcc_lo
	ds_bpermute_b32 v12, v13, v8
	ds_bpermute_b32 v13, v13, v9
	s_wait_dscnt 0x0
	v_dual_add_f64 v[8:9], v[8:9], v[12:13] :: v_dual_lshlrev_b32 v13, 2, v10
	ds_bpermute_b32 v10, v13, v0
	ds_bpermute_b32 v11, v13, v1
	s_wait_dscnt 0x0
	v_add_f64_e32 v[0:1], v[0:1], v[10:11]
	ds_bpermute_b32 v12, v13, v8
	ds_bpermute_b32 v13, v13, v9
	s_wait_dscnt 0x0
	v_dual_add_f64 v[10:11], v[8:9], v[12:13] :: v_dual_bitop2_b32 v8, 1, v14 bitop3:0x14
	s_delay_alu instid0(VALU_DEP_1) | instskip(SKIP_2) | instid1(VALU_DEP_2)
	v_cmp_gt_i32_e32 vcc_lo, 32, v8
	v_cndmask_b32_e32 v8, v14, v8, vcc_lo
	v_cmp_eq_u32_e32 vcc_lo, 7, v7
	v_lshlrev_b32_e32 v13, 2, v8
	ds_bpermute_b32 v8, v13, v0
	ds_bpermute_b32 v9, v13, v1
	;; [unrolled: 1-line block ×4, first 2 shown]
	s_and_b32 exec_lo, exec_lo, vcc_lo
	s_cbranch_execz .LBB92_23
; %bb.19:
	s_wait_dscnt 0x2
	v_add_f64_e32 v[8:9], v[0:1], v[8:9]
	s_wait_dscnt 0x0
	v_add_f64_e32 v[0:1], v[10:11], v[12:13]
	s_load_b64 s[0:1], s[0:1], 0x38
	s_mov_b32 s2, exec_lo
	v_cmpx_eq_f64_e32 0, v[4:5]
	s_xor_b32 s2, exec_lo, s2
	s_cbranch_execz .LBB92_21
; %bb.20:
	s_delay_alu instid0(VALU_DEP_3) | instskip(NEXT) | instid1(VALU_DEP_3)
	v_mul_f64_e32 v[8:9], v[2:3], v[8:9]
	v_dual_mul_f64 v[10:11], v[2:3], v[0:1] :: v_dual_lshlrev_b32 v0, 1, v6
                                        ; implicit-def: $vgpr6
                                        ; implicit-def: $vgpr2_vgpr3
                                        ; implicit-def: $vgpr4_vgpr5
	s_delay_alu instid0(VALU_DEP_1) | instskip(SKIP_1) | instid1(VALU_DEP_1)
	v_ashrrev_i32_e32 v1, 31, v0
	s_wait_kmcnt 0x0
	v_lshl_add_u64 v[0:1], v[0:1], 3, s[0:1]
	global_store_b128 v[0:1], v[8:11], off
                                        ; implicit-def: $vgpr8_vgpr9
                                        ; implicit-def: $vgpr0_vgpr1
.LBB92_21:
	s_wait_xcnt 0x0
	s_and_not1_saveexec_b32 s2, s2
	s_cbranch_execz .LBB92_23
; %bb.22:
	v_lshlrev_b32_e32 v6, 1, v6
	s_delay_alu instid0(VALU_DEP_1) | instskip(SKIP_1) | instid1(VALU_DEP_1)
	v_ashrrev_i32_e32 v7, 31, v6
	s_wait_kmcnt 0x0
	v_lshl_add_u64 v[14:15], v[6:7], 3, s[0:1]
	v_mul_f64_e32 v[6:7], v[2:3], v[8:9]
	v_mul_f64_e32 v[8:9], v[2:3], v[0:1]
	global_load_b128 v[10:13], v[14:15], off
	s_wait_loadcnt 0x0
	v_fmac_f64_e32 v[6:7], v[4:5], v[10:11]
	v_fmac_f64_e32 v[8:9], v[4:5], v[12:13]
	global_store_b128 v[14:15], v[6:9], off
.LBB92_23:
	s_endpgm
	.section	.rodata,"a",@progbits
	.p2align	6, 0x0
	.amdhsa_kernel _ZN9rocsparseL19gebsrmvn_2xn_kernelILj128ELj5ELj8EdEEvi20rocsparse_direction_NS_24const_host_device_scalarIT2_EEPKiS6_PKS3_S8_S4_PS3_21rocsparse_index_base_b
		.amdhsa_group_segment_fixed_size 0
		.amdhsa_private_segment_fixed_size 0
		.amdhsa_kernarg_size 72
		.amdhsa_user_sgpr_count 2
		.amdhsa_user_sgpr_dispatch_ptr 0
		.amdhsa_user_sgpr_queue_ptr 0
		.amdhsa_user_sgpr_kernarg_segment_ptr 1
		.amdhsa_user_sgpr_dispatch_id 0
		.amdhsa_user_sgpr_kernarg_preload_length 0
		.amdhsa_user_sgpr_kernarg_preload_offset 0
		.amdhsa_user_sgpr_private_segment_size 0
		.amdhsa_wavefront_size32 1
		.amdhsa_uses_dynamic_stack 0
		.amdhsa_enable_private_segment 0
		.amdhsa_system_sgpr_workgroup_id_x 1
		.amdhsa_system_sgpr_workgroup_id_y 0
		.amdhsa_system_sgpr_workgroup_id_z 0
		.amdhsa_system_sgpr_workgroup_info 0
		.amdhsa_system_vgpr_workitem_id 0
		.amdhsa_next_free_vgpr 50
		.amdhsa_next_free_sgpr 14
		.amdhsa_named_barrier_count 0
		.amdhsa_reserve_vcc 1
		.amdhsa_float_round_mode_32 0
		.amdhsa_float_round_mode_16_64 0
		.amdhsa_float_denorm_mode_32 3
		.amdhsa_float_denorm_mode_16_64 3
		.amdhsa_fp16_overflow 0
		.amdhsa_memory_ordered 1
		.amdhsa_forward_progress 1
		.amdhsa_inst_pref_size 13
		.amdhsa_round_robin_scheduling 0
		.amdhsa_exception_fp_ieee_invalid_op 0
		.amdhsa_exception_fp_denorm_src 0
		.amdhsa_exception_fp_ieee_div_zero 0
		.amdhsa_exception_fp_ieee_overflow 0
		.amdhsa_exception_fp_ieee_underflow 0
		.amdhsa_exception_fp_ieee_inexact 0
		.amdhsa_exception_int_div_zero 0
	.end_amdhsa_kernel
	.section	.text._ZN9rocsparseL19gebsrmvn_2xn_kernelILj128ELj5ELj8EdEEvi20rocsparse_direction_NS_24const_host_device_scalarIT2_EEPKiS6_PKS3_S8_S4_PS3_21rocsparse_index_base_b,"axG",@progbits,_ZN9rocsparseL19gebsrmvn_2xn_kernelILj128ELj5ELj8EdEEvi20rocsparse_direction_NS_24const_host_device_scalarIT2_EEPKiS6_PKS3_S8_S4_PS3_21rocsparse_index_base_b,comdat
.Lfunc_end92:
	.size	_ZN9rocsparseL19gebsrmvn_2xn_kernelILj128ELj5ELj8EdEEvi20rocsparse_direction_NS_24const_host_device_scalarIT2_EEPKiS6_PKS3_S8_S4_PS3_21rocsparse_index_base_b, .Lfunc_end92-_ZN9rocsparseL19gebsrmvn_2xn_kernelILj128ELj5ELj8EdEEvi20rocsparse_direction_NS_24const_host_device_scalarIT2_EEPKiS6_PKS3_S8_S4_PS3_21rocsparse_index_base_b
                                        ; -- End function
	.set _ZN9rocsparseL19gebsrmvn_2xn_kernelILj128ELj5ELj8EdEEvi20rocsparse_direction_NS_24const_host_device_scalarIT2_EEPKiS6_PKS3_S8_S4_PS3_21rocsparse_index_base_b.num_vgpr, 50
	.set _ZN9rocsparseL19gebsrmvn_2xn_kernelILj128ELj5ELj8EdEEvi20rocsparse_direction_NS_24const_host_device_scalarIT2_EEPKiS6_PKS3_S8_S4_PS3_21rocsparse_index_base_b.num_agpr, 0
	.set _ZN9rocsparseL19gebsrmvn_2xn_kernelILj128ELj5ELj8EdEEvi20rocsparse_direction_NS_24const_host_device_scalarIT2_EEPKiS6_PKS3_S8_S4_PS3_21rocsparse_index_base_b.numbered_sgpr, 14
	.set _ZN9rocsparseL19gebsrmvn_2xn_kernelILj128ELj5ELj8EdEEvi20rocsparse_direction_NS_24const_host_device_scalarIT2_EEPKiS6_PKS3_S8_S4_PS3_21rocsparse_index_base_b.num_named_barrier, 0
	.set _ZN9rocsparseL19gebsrmvn_2xn_kernelILj128ELj5ELj8EdEEvi20rocsparse_direction_NS_24const_host_device_scalarIT2_EEPKiS6_PKS3_S8_S4_PS3_21rocsparse_index_base_b.private_seg_size, 0
	.set _ZN9rocsparseL19gebsrmvn_2xn_kernelILj128ELj5ELj8EdEEvi20rocsparse_direction_NS_24const_host_device_scalarIT2_EEPKiS6_PKS3_S8_S4_PS3_21rocsparse_index_base_b.uses_vcc, 1
	.set _ZN9rocsparseL19gebsrmvn_2xn_kernelILj128ELj5ELj8EdEEvi20rocsparse_direction_NS_24const_host_device_scalarIT2_EEPKiS6_PKS3_S8_S4_PS3_21rocsparse_index_base_b.uses_flat_scratch, 0
	.set _ZN9rocsparseL19gebsrmvn_2xn_kernelILj128ELj5ELj8EdEEvi20rocsparse_direction_NS_24const_host_device_scalarIT2_EEPKiS6_PKS3_S8_S4_PS3_21rocsparse_index_base_b.has_dyn_sized_stack, 0
	.set _ZN9rocsparseL19gebsrmvn_2xn_kernelILj128ELj5ELj8EdEEvi20rocsparse_direction_NS_24const_host_device_scalarIT2_EEPKiS6_PKS3_S8_S4_PS3_21rocsparse_index_base_b.has_recursion, 0
	.set _ZN9rocsparseL19gebsrmvn_2xn_kernelILj128ELj5ELj8EdEEvi20rocsparse_direction_NS_24const_host_device_scalarIT2_EEPKiS6_PKS3_S8_S4_PS3_21rocsparse_index_base_b.has_indirect_call, 0
	.section	.AMDGPU.csdata,"",@progbits
; Kernel info:
; codeLenInByte = 1608
; TotalNumSgprs: 16
; NumVgprs: 50
; ScratchSize: 0
; MemoryBound: 0
; FloatMode: 240
; IeeeMode: 1
; LDSByteSize: 0 bytes/workgroup (compile time only)
; SGPRBlocks: 0
; VGPRBlocks: 3
; NumSGPRsForWavesPerEU: 16
; NumVGPRsForWavesPerEU: 50
; NamedBarCnt: 0
; Occupancy: 16
; WaveLimiterHint : 1
; COMPUTE_PGM_RSRC2:SCRATCH_EN: 0
; COMPUTE_PGM_RSRC2:USER_SGPR: 2
; COMPUTE_PGM_RSRC2:TRAP_HANDLER: 0
; COMPUTE_PGM_RSRC2:TGID_X_EN: 1
; COMPUTE_PGM_RSRC2:TGID_Y_EN: 0
; COMPUTE_PGM_RSRC2:TGID_Z_EN: 0
; COMPUTE_PGM_RSRC2:TIDIG_COMP_CNT: 0
	.section	.text._ZN9rocsparseL19gebsrmvn_2xn_kernelILj128ELj5ELj16EdEEvi20rocsparse_direction_NS_24const_host_device_scalarIT2_EEPKiS6_PKS3_S8_S4_PS3_21rocsparse_index_base_b,"axG",@progbits,_ZN9rocsparseL19gebsrmvn_2xn_kernelILj128ELj5ELj16EdEEvi20rocsparse_direction_NS_24const_host_device_scalarIT2_EEPKiS6_PKS3_S8_S4_PS3_21rocsparse_index_base_b,comdat
	.globl	_ZN9rocsparseL19gebsrmvn_2xn_kernelILj128ELj5ELj16EdEEvi20rocsparse_direction_NS_24const_host_device_scalarIT2_EEPKiS6_PKS3_S8_S4_PS3_21rocsparse_index_base_b ; -- Begin function _ZN9rocsparseL19gebsrmvn_2xn_kernelILj128ELj5ELj16EdEEvi20rocsparse_direction_NS_24const_host_device_scalarIT2_EEPKiS6_PKS3_S8_S4_PS3_21rocsparse_index_base_b
	.p2align	8
	.type	_ZN9rocsparseL19gebsrmvn_2xn_kernelILj128ELj5ELj16EdEEvi20rocsparse_direction_NS_24const_host_device_scalarIT2_EEPKiS6_PKS3_S8_S4_PS3_21rocsparse_index_base_b,@function
_ZN9rocsparseL19gebsrmvn_2xn_kernelILj128ELj5ELj16EdEEvi20rocsparse_direction_NS_24const_host_device_scalarIT2_EEPKiS6_PKS3_S8_S4_PS3_21rocsparse_index_base_b: ; @_ZN9rocsparseL19gebsrmvn_2xn_kernelILj128ELj5ELj16EdEEvi20rocsparse_direction_NS_24const_host_device_scalarIT2_EEPKiS6_PKS3_S8_S4_PS3_21rocsparse_index_base_b
; %bb.0:
	s_clause 0x2
	s_load_b64 s[12:13], s[0:1], 0x40
	s_load_b64 s[4:5], s[0:1], 0x8
	s_load_b64 s[2:3], s[0:1], 0x30
	s_wait_kmcnt 0x0
	s_bitcmp1_b32 s13, 0
	v_mov_b64_e32 v[2:3], s[4:5]
	s_cselect_b32 s6, -1, 0
	s_delay_alu instid0(SALU_CYCLE_1)
	s_and_b32 vcc_lo, exec_lo, s6
	s_xor_b32 s6, s6, -1
	s_cbranch_vccnz .LBB93_2
; %bb.1:
	v_mov_b32_e32 v1, 0
	flat_load_b64 v[2:3], v1, s[4:5]
.LBB93_2:
	v_mov_b64_e32 v[4:5], s[2:3]
	s_and_not1_b32 vcc_lo, exec_lo, s6
	s_cbranch_vccnz .LBB93_4
; %bb.3:
	s_wait_xcnt 0x0
	v_mov_b32_e32 v1, 0
	flat_load_b64 v[4:5], v1, s[2:3]
.LBB93_4:
	s_wait_loadcnt_dscnt 0x0
	v_cmp_neq_f64_e32 vcc_lo, 0, v[2:3]
	s_delay_alu instid0(VALU_DEP_2) | instskip(SKIP_1) | instid1(SALU_CYCLE_1)
	v_cmp_neq_f64_e64 s2, 1.0, v[4:5]
	s_or_b32 s2, vcc_lo, s2
	s_and_saveexec_b32 s3, s2
	s_cbranch_execz .LBB93_23
; %bb.5:
	s_load_b64 s[2:3], s[0:1], 0x0
	s_bfe_u32 s4, ttmp6, 0x4000c
	s_and_b32 s5, ttmp6, 15
	s_add_co_i32 s4, s4, 1
	s_getreg_b32 s6, hwreg(HW_REG_IB_STS2, 6, 4)
	s_mul_i32 s4, ttmp9, s4
	v_lshrrev_b32_e32 v1, 4, v0
	s_add_co_i32 s5, s5, s4
	s_cmp_eq_u32 s6, 0
	s_cselect_b32 s4, ttmp9, s5
	s_delay_alu instid0(VALU_DEP_1) | instid1(SALU_CYCLE_1)
	v_lshl_or_b32 v6, s4, 3, v1
	s_wait_kmcnt 0x0
	s_delay_alu instid0(VALU_DEP_1)
	v_cmp_gt_i32_e32 vcc_lo, s2, v6
	s_and_b32 exec_lo, exec_lo, vcc_lo
	s_cbranch_execz .LBB93_23
; %bb.6:
	s_load_b256 s[4:11], s[0:1], 0x10
	v_ashrrev_i32_e32 v7, 31, v6
	s_cmp_lg_u32 s3, 0
	s_wait_kmcnt 0x0
	s_delay_alu instid0(VALU_DEP_1)
	v_lshl_add_u64 v[8:9], v[6:7], 2, s[4:5]
	v_and_b32_e32 v7, 15, v0
	global_load_b64 v[8:9], v[8:9], off
	s_wait_loadcnt 0x0
	v_subrev_nc_u32_e32 v0, s12, v8
	v_subrev_nc_u32_e32 v14, s12, v9
	s_delay_alu instid0(VALU_DEP_2) | instskip(NEXT) | instid1(VALU_DEP_1)
	v_add_nc_u32_e32 v15, v0, v7
	v_cmp_lt_i32_e64 s2, v15, v14
	s_cbranch_scc0 .LBB93_12
; %bb.7:
	v_mov_b64_e32 v[0:1], 0
	v_mov_b64_e32 v[8:9], 0
	s_and_saveexec_b32 s3, s2
	s_cbranch_execz .LBB93_11
; %bb.8:
	v_mad_u32 v10, v15, 10, 8
	v_mov_b64_e32 v[0:1], 0
	v_mov_b64_e32 v[8:9], 0
	v_dual_mov_b32 v13, 0 :: v_dual_mov_b32 v16, v15
	s_mov_b32 s4, 0
.LBB93_9:                               ; =>This Inner Loop Header: Depth=1
	global_load_b32 v11, v16, s[6:7] scale_offset
	s_wait_xcnt 0x0
	v_add_nc_u32_e32 v16, 16, v16
	s_delay_alu instid0(VALU_DEP_1) | instskip(SKIP_3) | instid1(VALU_DEP_1)
	v_cmp_ge_i32_e32 vcc_lo, v16, v14
	s_or_b32 s4, vcc_lo, s4
	s_wait_loadcnt 0x0
	v_subrev_nc_u32_e32 v11, s12, v11
	v_lshl_add_u32 v17, v11, 2, v11
	s_delay_alu instid0(VALU_DEP_1) | instskip(NEXT) | instid1(VALU_DEP_1)
	v_dual_add_nc_u32 v12, -8, v10 :: v_dual_add_nc_u32 v11, 1, v17
	v_lshl_add_u64 v[22:23], v[12:13], 3, s[8:9]
	global_load_b128 v[18:21], v[22:23], off
	global_load_b64 v[38:39], v17, s[10:11] scale_offset
	v_add_nc_u32_e32 v12, -6, v10
	s_delay_alu instid0(VALU_DEP_1) | instskip(SKIP_4) | instid1(VALU_DEP_1)
	v_lshl_add_u64 v[26:27], v[12:13], 3, s[8:9]
	global_load_b128 v[22:25], v[26:27], off
	global_load_b64 v[40:41], v11, s[10:11] scale_offset
	s_wait_xcnt 0x0
	v_dual_add_nc_u32 v12, -4, v10 :: v_dual_add_nc_u32 v11, 2, v17
	v_lshl_add_u64 v[30:31], v[12:13], 3, s[8:9]
	global_load_b128 v[26:29], v[30:31], off
	global_load_b64 v[42:43], v11, s[10:11] scale_offset
	s_wait_xcnt 0x0
	v_dual_add_nc_u32 v12, -2, v10 :: v_dual_add_nc_u32 v11, 3, v17
	s_delay_alu instid0(VALU_DEP_1) | instskip(SKIP_4) | instid1(VALU_DEP_1)
	v_lshl_add_u64 v[34:35], v[12:13], 3, s[8:9]
	global_load_b128 v[30:33], v[34:35], off
	global_load_b64 v[44:45], v11, s[10:11] scale_offset
	s_wait_xcnt 0x0
	v_mov_b32_e32 v11, v13
	v_lshl_add_u64 v[46:47], v[10:11], 3, s[8:9]
	v_add_nc_u32_e32 v11, 4, v17
	global_load_b128 v[34:37], v[46:47], off
	global_load_b64 v[48:49], v11, s[10:11] scale_offset
	v_add_nc_u32_e32 v10, 0xa0, v10
	s_wait_loadcnt 0x8
	v_fmac_f64_e32 v[0:1], v[18:19], v[38:39]
	v_fmac_f64_e32 v[8:9], v[20:21], v[38:39]
	s_wait_loadcnt 0x6
	s_delay_alu instid0(VALU_DEP_2) | instskip(NEXT) | instid1(VALU_DEP_2)
	v_fmac_f64_e32 v[0:1], v[22:23], v[40:41]
	v_fmac_f64_e32 v[8:9], v[24:25], v[40:41]
	s_wait_loadcnt 0x4
	s_delay_alu instid0(VALU_DEP_2) | instskip(NEXT) | instid1(VALU_DEP_2)
	;; [unrolled: 4-line block ×4, first 2 shown]
	v_fmac_f64_e32 v[0:1], v[34:35], v[48:49]
	v_fmac_f64_e32 v[8:9], v[36:37], v[48:49]
	s_and_not1_b32 exec_lo, exec_lo, s4
	s_cbranch_execnz .LBB93_9
; %bb.10:
	s_or_b32 exec_lo, exec_lo, s4
.LBB93_11:
	s_delay_alu instid0(SALU_CYCLE_1)
	s_or_b32 exec_lo, exec_lo, s3
	s_cbranch_execz .LBB93_13
	s_branch .LBB93_18
.LBB93_12:
                                        ; implicit-def: $vgpr0_vgpr1
                                        ; implicit-def: $vgpr8_vgpr9
.LBB93_13:
	v_mov_b64_e32 v[0:1], 0
	v_mov_b64_e32 v[8:9], 0
	s_and_saveexec_b32 s3, s2
	s_cbranch_execz .LBB93_17
; %bb.14:
	v_mad_u32 v12, v15, 10, 9
	v_mov_b64_e32 v[0:1], 0
	v_mov_b64_e32 v[8:9], 0
	v_mov_b32_e32 v11, 0
	s_mov_b32 s2, 0
.LBB93_15:                              ; =>This Inner Loop Header: Depth=1
	global_load_b32 v13, v15, s[6:7] scale_offset
	v_dual_add_nc_u32 v10, -9, v12 :: v_dual_add_nc_u32 v26, -4, v12
	s_wait_xcnt 0x0
	v_dual_add_nc_u32 v15, 16, v15 :: v_dual_add_nc_u32 v34, -2, v12
	s_delay_alu instid0(VALU_DEP_2) | instskip(NEXT) | instid1(VALU_DEP_2)
	v_lshl_add_u64 v[20:21], v[10:11], 3, s[8:9]
	v_cmp_ge_i32_e32 vcc_lo, v15, v14
	s_or_b32 s2, vcc_lo, s2
	s_wait_loadcnt 0x0
	v_subrev_nc_u32_e32 v13, s12, v13
	s_delay_alu instid0(VALU_DEP_1)
	v_lshl_add_u32 v10, v13, 2, v13
	s_clause 0x1
	global_load_b128 v[16:19], v[20:21], off
	global_load_b64 v[22:23], v26, s[8:9] scale_offset
	global_load_b64 v[24:25], v10, s[10:11] scale_offset
	v_dual_add_nc_u32 v13, -3, v12 :: v_dual_add_nc_u32 v28, 1, v10
	global_load_b64 v[20:21], v13, s[8:9] scale_offset
	global_load_b64 v[26:27], v28, s[10:11] scale_offset
	s_wait_xcnt 0x1
	v_dual_add_nc_u32 v13, -7, v12 :: v_dual_add_nc_u32 v35, 2, v10
	v_dual_add_nc_u32 v40, -1, v12 :: v_dual_add_nc_u32 v41, 3, v10
	s_clause 0x1
	global_load_b64 v[28:29], v13, s[8:9] scale_offset
	global_load_b64 v[30:31], v34, s[8:9] scale_offset
	;; [unrolled: 1-line block ×3, first 2 shown]
	s_wait_xcnt 0x2
	v_add_nc_u32_e32 v13, -6, v12
	s_clause 0x1
	global_load_b64 v[34:35], v13, s[8:9] scale_offset
	global_load_b64 v[36:37], v40, s[8:9] scale_offset
	;; [unrolled: 1-line block ×3, first 2 shown]
	s_wait_xcnt 0x2
	v_dual_add_nc_u32 v13, -5, v12 :: v_dual_add_nc_u32 v10, 4, v10
	s_clause 0x1
	global_load_b64 v[40:41], v12, s[8:9] scale_offset
	global_load_b64 v[42:43], v13, s[8:9] scale_offset
	;; [unrolled: 1-line block ×3, first 2 shown]
	s_wait_xcnt 0x2
	v_add_nc_u32_e32 v12, 0xa0, v12
	s_wait_loadcnt 0xb
	v_fmac_f64_e32 v[0:1], v[16:17], v[24:25]
	v_fmac_f64_e32 v[8:9], v[22:23], v[24:25]
	s_wait_loadcnt 0x9
	s_delay_alu instid0(VALU_DEP_2) | instskip(NEXT) | instid1(VALU_DEP_2)
	v_fmac_f64_e32 v[0:1], v[18:19], v[26:27]
	v_fmac_f64_e32 v[8:9], v[20:21], v[26:27]
	s_wait_loadcnt 0x6
	s_delay_alu instid0(VALU_DEP_2) | instskip(NEXT) | instid1(VALU_DEP_2)
	;; [unrolled: 4-line block ×4, first 2 shown]
	v_fmac_f64_e32 v[0:1], v[42:43], v[44:45]
	v_fmac_f64_e32 v[8:9], v[40:41], v[44:45]
	s_and_not1_b32 exec_lo, exec_lo, s2
	s_cbranch_execnz .LBB93_15
; %bb.16:
	s_or_b32 exec_lo, exec_lo, s2
.LBB93_17:
	s_delay_alu instid0(SALU_CYCLE_1)
	s_or_b32 exec_lo, exec_lo, s3
.LBB93_18:
	v_mbcnt_lo_u32_b32 v14, -1, 0
	s_delay_alu instid0(VALU_DEP_1) | instskip(NEXT) | instid1(VALU_DEP_1)
	v_xor_b32_e32 v10, 8, v14
	v_cmp_gt_i32_e32 vcc_lo, 32, v10
	v_cndmask_b32_e32 v10, v14, v10, vcc_lo
	s_delay_alu instid0(VALU_DEP_1)
	v_lshlrev_b32_e32 v13, 2, v10
	ds_bpermute_b32 v10, v13, v0
	ds_bpermute_b32 v11, v13, v1
	s_wait_dscnt 0x0
	v_add_f64_e32 v[0:1], v[0:1], v[10:11]
	v_xor_b32_e32 v10, 4, v14
	s_delay_alu instid0(VALU_DEP_1)
	v_cmp_gt_i32_e32 vcc_lo, 32, v10
	v_cndmask_b32_e32 v10, v14, v10, vcc_lo
	ds_bpermute_b32 v12, v13, v8
	ds_bpermute_b32 v13, v13, v9
	s_wait_dscnt 0x0
	v_dual_add_f64 v[8:9], v[8:9], v[12:13] :: v_dual_lshlrev_b32 v13, 2, v10
	ds_bpermute_b32 v10, v13, v0
	ds_bpermute_b32 v11, v13, v1
	s_wait_dscnt 0x0
	v_add_f64_e32 v[0:1], v[0:1], v[10:11]
	v_xor_b32_e32 v10, 2, v14
	s_delay_alu instid0(VALU_DEP_1)
	v_cmp_gt_i32_e32 vcc_lo, 32, v10
	v_cndmask_b32_e32 v10, v14, v10, vcc_lo
	ds_bpermute_b32 v12, v13, v8
	ds_bpermute_b32 v13, v13, v9
	s_wait_dscnt 0x0
	v_dual_add_f64 v[8:9], v[8:9], v[12:13] :: v_dual_lshlrev_b32 v13, 2, v10
	ds_bpermute_b32 v10, v13, v0
	ds_bpermute_b32 v11, v13, v1
	s_wait_dscnt 0x0
	v_add_f64_e32 v[0:1], v[0:1], v[10:11]
	ds_bpermute_b32 v12, v13, v8
	ds_bpermute_b32 v13, v13, v9
	s_wait_dscnt 0x0
	v_dual_add_f64 v[10:11], v[8:9], v[12:13] :: v_dual_bitop2_b32 v8, 1, v14 bitop3:0x14
	s_delay_alu instid0(VALU_DEP_1) | instskip(SKIP_2) | instid1(VALU_DEP_2)
	v_cmp_gt_i32_e32 vcc_lo, 32, v8
	v_cndmask_b32_e32 v8, v14, v8, vcc_lo
	v_cmp_eq_u32_e32 vcc_lo, 15, v7
	v_lshlrev_b32_e32 v13, 2, v8
	ds_bpermute_b32 v8, v13, v0
	ds_bpermute_b32 v9, v13, v1
	;; [unrolled: 1-line block ×4, first 2 shown]
	s_and_b32 exec_lo, exec_lo, vcc_lo
	s_cbranch_execz .LBB93_23
; %bb.19:
	s_wait_dscnt 0x2
	v_add_f64_e32 v[8:9], v[0:1], v[8:9]
	s_wait_dscnt 0x0
	v_add_f64_e32 v[0:1], v[10:11], v[12:13]
	s_load_b64 s[0:1], s[0:1], 0x38
	s_mov_b32 s2, exec_lo
	v_cmpx_eq_f64_e32 0, v[4:5]
	s_xor_b32 s2, exec_lo, s2
	s_cbranch_execz .LBB93_21
; %bb.20:
	s_delay_alu instid0(VALU_DEP_3) | instskip(NEXT) | instid1(VALU_DEP_3)
	v_mul_f64_e32 v[8:9], v[2:3], v[8:9]
	v_dual_mul_f64 v[10:11], v[2:3], v[0:1] :: v_dual_lshlrev_b32 v0, 1, v6
                                        ; implicit-def: $vgpr6
                                        ; implicit-def: $vgpr2_vgpr3
                                        ; implicit-def: $vgpr4_vgpr5
	s_delay_alu instid0(VALU_DEP_1) | instskip(SKIP_1) | instid1(VALU_DEP_1)
	v_ashrrev_i32_e32 v1, 31, v0
	s_wait_kmcnt 0x0
	v_lshl_add_u64 v[0:1], v[0:1], 3, s[0:1]
	global_store_b128 v[0:1], v[8:11], off
                                        ; implicit-def: $vgpr8_vgpr9
                                        ; implicit-def: $vgpr0_vgpr1
.LBB93_21:
	s_wait_xcnt 0x0
	s_and_not1_saveexec_b32 s2, s2
	s_cbranch_execz .LBB93_23
; %bb.22:
	v_lshlrev_b32_e32 v6, 1, v6
	s_delay_alu instid0(VALU_DEP_1) | instskip(SKIP_1) | instid1(VALU_DEP_1)
	v_ashrrev_i32_e32 v7, 31, v6
	s_wait_kmcnt 0x0
	v_lshl_add_u64 v[14:15], v[6:7], 3, s[0:1]
	v_mul_f64_e32 v[6:7], v[2:3], v[8:9]
	v_mul_f64_e32 v[8:9], v[2:3], v[0:1]
	global_load_b128 v[10:13], v[14:15], off
	s_wait_loadcnt 0x0
	v_fmac_f64_e32 v[6:7], v[4:5], v[10:11]
	v_fmac_f64_e32 v[8:9], v[4:5], v[12:13]
	global_store_b128 v[14:15], v[6:9], off
.LBB93_23:
	s_endpgm
	.section	.rodata,"a",@progbits
	.p2align	6, 0x0
	.amdhsa_kernel _ZN9rocsparseL19gebsrmvn_2xn_kernelILj128ELj5ELj16EdEEvi20rocsparse_direction_NS_24const_host_device_scalarIT2_EEPKiS6_PKS3_S8_S4_PS3_21rocsparse_index_base_b
		.amdhsa_group_segment_fixed_size 0
		.amdhsa_private_segment_fixed_size 0
		.amdhsa_kernarg_size 72
		.amdhsa_user_sgpr_count 2
		.amdhsa_user_sgpr_dispatch_ptr 0
		.amdhsa_user_sgpr_queue_ptr 0
		.amdhsa_user_sgpr_kernarg_segment_ptr 1
		.amdhsa_user_sgpr_dispatch_id 0
		.amdhsa_user_sgpr_kernarg_preload_length 0
		.amdhsa_user_sgpr_kernarg_preload_offset 0
		.amdhsa_user_sgpr_private_segment_size 0
		.amdhsa_wavefront_size32 1
		.amdhsa_uses_dynamic_stack 0
		.amdhsa_enable_private_segment 0
		.amdhsa_system_sgpr_workgroup_id_x 1
		.amdhsa_system_sgpr_workgroup_id_y 0
		.amdhsa_system_sgpr_workgroup_id_z 0
		.amdhsa_system_sgpr_workgroup_info 0
		.amdhsa_system_vgpr_workitem_id 0
		.amdhsa_next_free_vgpr 50
		.amdhsa_next_free_sgpr 14
		.amdhsa_named_barrier_count 0
		.amdhsa_reserve_vcc 1
		.amdhsa_float_round_mode_32 0
		.amdhsa_float_round_mode_16_64 0
		.amdhsa_float_denorm_mode_32 3
		.amdhsa_float_denorm_mode_16_64 3
		.amdhsa_fp16_overflow 0
		.amdhsa_memory_ordered 1
		.amdhsa_forward_progress 1
		.amdhsa_inst_pref_size 14
		.amdhsa_round_robin_scheduling 0
		.amdhsa_exception_fp_ieee_invalid_op 0
		.amdhsa_exception_fp_denorm_src 0
		.amdhsa_exception_fp_ieee_div_zero 0
		.amdhsa_exception_fp_ieee_overflow 0
		.amdhsa_exception_fp_ieee_underflow 0
		.amdhsa_exception_fp_ieee_inexact 0
		.amdhsa_exception_int_div_zero 0
	.end_amdhsa_kernel
	.section	.text._ZN9rocsparseL19gebsrmvn_2xn_kernelILj128ELj5ELj16EdEEvi20rocsparse_direction_NS_24const_host_device_scalarIT2_EEPKiS6_PKS3_S8_S4_PS3_21rocsparse_index_base_b,"axG",@progbits,_ZN9rocsparseL19gebsrmvn_2xn_kernelILj128ELj5ELj16EdEEvi20rocsparse_direction_NS_24const_host_device_scalarIT2_EEPKiS6_PKS3_S8_S4_PS3_21rocsparse_index_base_b,comdat
.Lfunc_end93:
	.size	_ZN9rocsparseL19gebsrmvn_2xn_kernelILj128ELj5ELj16EdEEvi20rocsparse_direction_NS_24const_host_device_scalarIT2_EEPKiS6_PKS3_S8_S4_PS3_21rocsparse_index_base_b, .Lfunc_end93-_ZN9rocsparseL19gebsrmvn_2xn_kernelILj128ELj5ELj16EdEEvi20rocsparse_direction_NS_24const_host_device_scalarIT2_EEPKiS6_PKS3_S8_S4_PS3_21rocsparse_index_base_b
                                        ; -- End function
	.set _ZN9rocsparseL19gebsrmvn_2xn_kernelILj128ELj5ELj16EdEEvi20rocsparse_direction_NS_24const_host_device_scalarIT2_EEPKiS6_PKS3_S8_S4_PS3_21rocsparse_index_base_b.num_vgpr, 50
	.set _ZN9rocsparseL19gebsrmvn_2xn_kernelILj128ELj5ELj16EdEEvi20rocsparse_direction_NS_24const_host_device_scalarIT2_EEPKiS6_PKS3_S8_S4_PS3_21rocsparse_index_base_b.num_agpr, 0
	.set _ZN9rocsparseL19gebsrmvn_2xn_kernelILj128ELj5ELj16EdEEvi20rocsparse_direction_NS_24const_host_device_scalarIT2_EEPKiS6_PKS3_S8_S4_PS3_21rocsparse_index_base_b.numbered_sgpr, 14
	.set _ZN9rocsparseL19gebsrmvn_2xn_kernelILj128ELj5ELj16EdEEvi20rocsparse_direction_NS_24const_host_device_scalarIT2_EEPKiS6_PKS3_S8_S4_PS3_21rocsparse_index_base_b.num_named_barrier, 0
	.set _ZN9rocsparseL19gebsrmvn_2xn_kernelILj128ELj5ELj16EdEEvi20rocsparse_direction_NS_24const_host_device_scalarIT2_EEPKiS6_PKS3_S8_S4_PS3_21rocsparse_index_base_b.private_seg_size, 0
	.set _ZN9rocsparseL19gebsrmvn_2xn_kernelILj128ELj5ELj16EdEEvi20rocsparse_direction_NS_24const_host_device_scalarIT2_EEPKiS6_PKS3_S8_S4_PS3_21rocsparse_index_base_b.uses_vcc, 1
	.set _ZN9rocsparseL19gebsrmvn_2xn_kernelILj128ELj5ELj16EdEEvi20rocsparse_direction_NS_24const_host_device_scalarIT2_EEPKiS6_PKS3_S8_S4_PS3_21rocsparse_index_base_b.uses_flat_scratch, 0
	.set _ZN9rocsparseL19gebsrmvn_2xn_kernelILj128ELj5ELj16EdEEvi20rocsparse_direction_NS_24const_host_device_scalarIT2_EEPKiS6_PKS3_S8_S4_PS3_21rocsparse_index_base_b.has_dyn_sized_stack, 0
	.set _ZN9rocsparseL19gebsrmvn_2xn_kernelILj128ELj5ELj16EdEEvi20rocsparse_direction_NS_24const_host_device_scalarIT2_EEPKiS6_PKS3_S8_S4_PS3_21rocsparse_index_base_b.has_recursion, 0
	.set _ZN9rocsparseL19gebsrmvn_2xn_kernelILj128ELj5ELj16EdEEvi20rocsparse_direction_NS_24const_host_device_scalarIT2_EEPKiS6_PKS3_S8_S4_PS3_21rocsparse_index_base_b.has_indirect_call, 0
	.section	.AMDGPU.csdata,"",@progbits
; Kernel info:
; codeLenInByte = 1680
; TotalNumSgprs: 16
; NumVgprs: 50
; ScratchSize: 0
; MemoryBound: 0
; FloatMode: 240
; IeeeMode: 1
; LDSByteSize: 0 bytes/workgroup (compile time only)
; SGPRBlocks: 0
; VGPRBlocks: 3
; NumSGPRsForWavesPerEU: 16
; NumVGPRsForWavesPerEU: 50
; NamedBarCnt: 0
; Occupancy: 16
; WaveLimiterHint : 1
; COMPUTE_PGM_RSRC2:SCRATCH_EN: 0
; COMPUTE_PGM_RSRC2:USER_SGPR: 2
; COMPUTE_PGM_RSRC2:TRAP_HANDLER: 0
; COMPUTE_PGM_RSRC2:TGID_X_EN: 1
; COMPUTE_PGM_RSRC2:TGID_Y_EN: 0
; COMPUTE_PGM_RSRC2:TGID_Z_EN: 0
; COMPUTE_PGM_RSRC2:TIDIG_COMP_CNT: 0
	.section	.text._ZN9rocsparseL19gebsrmvn_2xn_kernelILj128ELj5ELj32EdEEvi20rocsparse_direction_NS_24const_host_device_scalarIT2_EEPKiS6_PKS3_S8_S4_PS3_21rocsparse_index_base_b,"axG",@progbits,_ZN9rocsparseL19gebsrmvn_2xn_kernelILj128ELj5ELj32EdEEvi20rocsparse_direction_NS_24const_host_device_scalarIT2_EEPKiS6_PKS3_S8_S4_PS3_21rocsparse_index_base_b,comdat
	.globl	_ZN9rocsparseL19gebsrmvn_2xn_kernelILj128ELj5ELj32EdEEvi20rocsparse_direction_NS_24const_host_device_scalarIT2_EEPKiS6_PKS3_S8_S4_PS3_21rocsparse_index_base_b ; -- Begin function _ZN9rocsparseL19gebsrmvn_2xn_kernelILj128ELj5ELj32EdEEvi20rocsparse_direction_NS_24const_host_device_scalarIT2_EEPKiS6_PKS3_S8_S4_PS3_21rocsparse_index_base_b
	.p2align	8
	.type	_ZN9rocsparseL19gebsrmvn_2xn_kernelILj128ELj5ELj32EdEEvi20rocsparse_direction_NS_24const_host_device_scalarIT2_EEPKiS6_PKS3_S8_S4_PS3_21rocsparse_index_base_b,@function
_ZN9rocsparseL19gebsrmvn_2xn_kernelILj128ELj5ELj32EdEEvi20rocsparse_direction_NS_24const_host_device_scalarIT2_EEPKiS6_PKS3_S8_S4_PS3_21rocsparse_index_base_b: ; @_ZN9rocsparseL19gebsrmvn_2xn_kernelILj128ELj5ELj32EdEEvi20rocsparse_direction_NS_24const_host_device_scalarIT2_EEPKiS6_PKS3_S8_S4_PS3_21rocsparse_index_base_b
; %bb.0:
	s_clause 0x2
	s_load_b64 s[12:13], s[0:1], 0x40
	s_load_b64 s[4:5], s[0:1], 0x8
	;; [unrolled: 1-line block ×3, first 2 shown]
	s_wait_kmcnt 0x0
	s_bitcmp1_b32 s13, 0
	v_mov_b64_e32 v[2:3], s[4:5]
	s_cselect_b32 s6, -1, 0
	s_delay_alu instid0(SALU_CYCLE_1)
	s_and_b32 vcc_lo, exec_lo, s6
	s_xor_b32 s6, s6, -1
	s_cbranch_vccnz .LBB94_2
; %bb.1:
	v_mov_b32_e32 v1, 0
	flat_load_b64 v[2:3], v1, s[4:5]
.LBB94_2:
	v_mov_b64_e32 v[4:5], s[2:3]
	s_and_not1_b32 vcc_lo, exec_lo, s6
	s_cbranch_vccnz .LBB94_4
; %bb.3:
	s_wait_xcnt 0x0
	v_mov_b32_e32 v1, 0
	flat_load_b64 v[4:5], v1, s[2:3]
.LBB94_4:
	s_wait_loadcnt_dscnt 0x0
	v_cmp_neq_f64_e32 vcc_lo, 0, v[2:3]
	s_delay_alu instid0(VALU_DEP_2) | instskip(SKIP_1) | instid1(SALU_CYCLE_1)
	v_cmp_neq_f64_e64 s2, 1.0, v[4:5]
	s_or_b32 s2, vcc_lo, s2
	s_and_saveexec_b32 s3, s2
	s_cbranch_execz .LBB94_23
; %bb.5:
	s_load_b64 s[2:3], s[0:1], 0x0
	s_bfe_u32 s4, ttmp6, 0x4000c
	s_and_b32 s5, ttmp6, 15
	s_add_co_i32 s4, s4, 1
	s_getreg_b32 s6, hwreg(HW_REG_IB_STS2, 6, 4)
	s_mul_i32 s4, ttmp9, s4
	v_lshrrev_b32_e32 v1, 5, v0
	s_add_co_i32 s5, s5, s4
	s_cmp_eq_u32 s6, 0
	s_cselect_b32 s4, ttmp9, s5
	s_delay_alu instid0(VALU_DEP_1) | instid1(SALU_CYCLE_1)
	v_lshl_or_b32 v6, s4, 2, v1
	s_wait_kmcnt 0x0
	s_delay_alu instid0(VALU_DEP_1)
	v_cmp_gt_i32_e32 vcc_lo, s2, v6
	s_and_b32 exec_lo, exec_lo, vcc_lo
	s_cbranch_execz .LBB94_23
; %bb.6:
	s_load_b256 s[4:11], s[0:1], 0x10
	v_ashrrev_i32_e32 v7, 31, v6
	s_cmp_lg_u32 s3, 0
	s_wait_kmcnt 0x0
	s_delay_alu instid0(VALU_DEP_1)
	v_lshl_add_u64 v[8:9], v[6:7], 2, s[4:5]
	v_and_b32_e32 v7, 31, v0
	global_load_b64 v[8:9], v[8:9], off
	s_wait_loadcnt 0x0
	v_subrev_nc_u32_e32 v0, s12, v8
	v_subrev_nc_u32_e32 v14, s12, v9
	s_delay_alu instid0(VALU_DEP_2) | instskip(NEXT) | instid1(VALU_DEP_1)
	v_add_nc_u32_e32 v15, v0, v7
	v_cmp_lt_i32_e64 s2, v15, v14
	s_cbranch_scc0 .LBB94_12
; %bb.7:
	v_mov_b64_e32 v[0:1], 0
	v_mov_b64_e32 v[8:9], 0
	s_and_saveexec_b32 s3, s2
	s_cbranch_execz .LBB94_11
; %bb.8:
	v_mad_u32 v10, v15, 10, 8
	v_mov_b64_e32 v[0:1], 0
	v_mov_b64_e32 v[8:9], 0
	v_dual_mov_b32 v13, 0 :: v_dual_mov_b32 v16, v15
	s_mov_b32 s4, 0
.LBB94_9:                               ; =>This Inner Loop Header: Depth=1
	global_load_b32 v11, v16, s[6:7] scale_offset
	s_wait_xcnt 0x0
	v_add_nc_u32_e32 v16, 32, v16
	s_delay_alu instid0(VALU_DEP_1) | instskip(SKIP_3) | instid1(VALU_DEP_1)
	v_cmp_ge_i32_e32 vcc_lo, v16, v14
	s_or_b32 s4, vcc_lo, s4
	s_wait_loadcnt 0x0
	v_subrev_nc_u32_e32 v11, s12, v11
	v_lshl_add_u32 v17, v11, 2, v11
	s_delay_alu instid0(VALU_DEP_1) | instskip(NEXT) | instid1(VALU_DEP_1)
	v_dual_add_nc_u32 v12, -8, v10 :: v_dual_add_nc_u32 v11, 1, v17
	v_lshl_add_u64 v[22:23], v[12:13], 3, s[8:9]
	global_load_b128 v[18:21], v[22:23], off
	global_load_b64 v[38:39], v17, s[10:11] scale_offset
	v_add_nc_u32_e32 v12, -6, v10
	s_delay_alu instid0(VALU_DEP_1) | instskip(SKIP_4) | instid1(VALU_DEP_1)
	v_lshl_add_u64 v[26:27], v[12:13], 3, s[8:9]
	global_load_b128 v[22:25], v[26:27], off
	global_load_b64 v[40:41], v11, s[10:11] scale_offset
	s_wait_xcnt 0x0
	v_dual_add_nc_u32 v12, -4, v10 :: v_dual_add_nc_u32 v11, 2, v17
	v_lshl_add_u64 v[30:31], v[12:13], 3, s[8:9]
	global_load_b128 v[26:29], v[30:31], off
	global_load_b64 v[42:43], v11, s[10:11] scale_offset
	s_wait_xcnt 0x0
	v_dual_add_nc_u32 v12, -2, v10 :: v_dual_add_nc_u32 v11, 3, v17
	s_delay_alu instid0(VALU_DEP_1) | instskip(SKIP_4) | instid1(VALU_DEP_1)
	v_lshl_add_u64 v[34:35], v[12:13], 3, s[8:9]
	global_load_b128 v[30:33], v[34:35], off
	global_load_b64 v[44:45], v11, s[10:11] scale_offset
	s_wait_xcnt 0x0
	v_mov_b32_e32 v11, v13
	v_lshl_add_u64 v[46:47], v[10:11], 3, s[8:9]
	v_add_nc_u32_e32 v11, 4, v17
	global_load_b128 v[34:37], v[46:47], off
	global_load_b64 v[48:49], v11, s[10:11] scale_offset
	v_add_nc_u32_e32 v10, 0x140, v10
	s_wait_loadcnt 0x8
	v_fmac_f64_e32 v[0:1], v[18:19], v[38:39]
	v_fmac_f64_e32 v[8:9], v[20:21], v[38:39]
	s_wait_loadcnt 0x6
	s_delay_alu instid0(VALU_DEP_2) | instskip(NEXT) | instid1(VALU_DEP_2)
	v_fmac_f64_e32 v[0:1], v[22:23], v[40:41]
	v_fmac_f64_e32 v[8:9], v[24:25], v[40:41]
	s_wait_loadcnt 0x4
	s_delay_alu instid0(VALU_DEP_2) | instskip(NEXT) | instid1(VALU_DEP_2)
	;; [unrolled: 4-line block ×4, first 2 shown]
	v_fmac_f64_e32 v[0:1], v[34:35], v[48:49]
	v_fmac_f64_e32 v[8:9], v[36:37], v[48:49]
	s_and_not1_b32 exec_lo, exec_lo, s4
	s_cbranch_execnz .LBB94_9
; %bb.10:
	s_or_b32 exec_lo, exec_lo, s4
.LBB94_11:
	s_delay_alu instid0(SALU_CYCLE_1)
	s_or_b32 exec_lo, exec_lo, s3
	s_cbranch_execz .LBB94_13
	s_branch .LBB94_18
.LBB94_12:
                                        ; implicit-def: $vgpr0_vgpr1
                                        ; implicit-def: $vgpr8_vgpr9
.LBB94_13:
	v_mov_b64_e32 v[0:1], 0
	v_mov_b64_e32 v[8:9], 0
	s_and_saveexec_b32 s3, s2
	s_cbranch_execz .LBB94_17
; %bb.14:
	v_mad_u32 v12, v15, 10, 9
	v_mov_b64_e32 v[0:1], 0
	v_mov_b64_e32 v[8:9], 0
	v_mov_b32_e32 v11, 0
	s_mov_b32 s2, 0
.LBB94_15:                              ; =>This Inner Loop Header: Depth=1
	global_load_b32 v13, v15, s[6:7] scale_offset
	v_dual_add_nc_u32 v10, -9, v12 :: v_dual_add_nc_u32 v26, -4, v12
	s_wait_xcnt 0x0
	v_dual_add_nc_u32 v15, 32, v15 :: v_dual_add_nc_u32 v34, -2, v12
	s_delay_alu instid0(VALU_DEP_2) | instskip(NEXT) | instid1(VALU_DEP_2)
	v_lshl_add_u64 v[20:21], v[10:11], 3, s[8:9]
	v_cmp_ge_i32_e32 vcc_lo, v15, v14
	s_or_b32 s2, vcc_lo, s2
	s_wait_loadcnt 0x0
	v_subrev_nc_u32_e32 v13, s12, v13
	s_delay_alu instid0(VALU_DEP_1)
	v_lshl_add_u32 v10, v13, 2, v13
	s_clause 0x1
	global_load_b128 v[16:19], v[20:21], off
	global_load_b64 v[22:23], v26, s[8:9] scale_offset
	global_load_b64 v[24:25], v10, s[10:11] scale_offset
	v_dual_add_nc_u32 v13, -3, v12 :: v_dual_add_nc_u32 v28, 1, v10
	global_load_b64 v[20:21], v13, s[8:9] scale_offset
	global_load_b64 v[26:27], v28, s[10:11] scale_offset
	s_wait_xcnt 0x1
	v_dual_add_nc_u32 v13, -7, v12 :: v_dual_add_nc_u32 v35, 2, v10
	v_dual_add_nc_u32 v40, -1, v12 :: v_dual_add_nc_u32 v41, 3, v10
	s_clause 0x1
	global_load_b64 v[28:29], v13, s[8:9] scale_offset
	global_load_b64 v[30:31], v34, s[8:9] scale_offset
	;; [unrolled: 1-line block ×3, first 2 shown]
	s_wait_xcnt 0x2
	v_add_nc_u32_e32 v13, -6, v12
	s_clause 0x1
	global_load_b64 v[34:35], v13, s[8:9] scale_offset
	global_load_b64 v[36:37], v40, s[8:9] scale_offset
	;; [unrolled: 1-line block ×3, first 2 shown]
	s_wait_xcnt 0x2
	v_dual_add_nc_u32 v13, -5, v12 :: v_dual_add_nc_u32 v10, 4, v10
	s_clause 0x1
	global_load_b64 v[40:41], v12, s[8:9] scale_offset
	global_load_b64 v[42:43], v13, s[8:9] scale_offset
	;; [unrolled: 1-line block ×3, first 2 shown]
	s_wait_xcnt 0x2
	v_add_nc_u32_e32 v12, 0x140, v12
	s_wait_loadcnt 0xb
	v_fmac_f64_e32 v[0:1], v[16:17], v[24:25]
	v_fmac_f64_e32 v[8:9], v[22:23], v[24:25]
	s_wait_loadcnt 0x9
	s_delay_alu instid0(VALU_DEP_2) | instskip(NEXT) | instid1(VALU_DEP_2)
	v_fmac_f64_e32 v[0:1], v[18:19], v[26:27]
	v_fmac_f64_e32 v[8:9], v[20:21], v[26:27]
	s_wait_loadcnt 0x6
	s_delay_alu instid0(VALU_DEP_2) | instskip(NEXT) | instid1(VALU_DEP_2)
	;; [unrolled: 4-line block ×4, first 2 shown]
	v_fmac_f64_e32 v[0:1], v[42:43], v[44:45]
	v_fmac_f64_e32 v[8:9], v[40:41], v[44:45]
	s_and_not1_b32 exec_lo, exec_lo, s2
	s_cbranch_execnz .LBB94_15
; %bb.16:
	s_or_b32 exec_lo, exec_lo, s2
.LBB94_17:
	s_delay_alu instid0(SALU_CYCLE_1)
	s_or_b32 exec_lo, exec_lo, s3
.LBB94_18:
	v_mbcnt_lo_u32_b32 v14, -1, 0
	s_delay_alu instid0(VALU_DEP_1) | instskip(NEXT) | instid1(VALU_DEP_1)
	v_xor_b32_e32 v10, 16, v14
	v_cmp_gt_i32_e32 vcc_lo, 32, v10
	v_cndmask_b32_e32 v10, v14, v10, vcc_lo
	s_delay_alu instid0(VALU_DEP_1)
	v_lshlrev_b32_e32 v13, 2, v10
	ds_bpermute_b32 v10, v13, v0
	ds_bpermute_b32 v11, v13, v1
	s_wait_dscnt 0x0
	v_add_f64_e32 v[0:1], v[0:1], v[10:11]
	v_xor_b32_e32 v10, 8, v14
	s_delay_alu instid0(VALU_DEP_1)
	v_cmp_gt_i32_e32 vcc_lo, 32, v10
	v_cndmask_b32_e32 v10, v14, v10, vcc_lo
	ds_bpermute_b32 v12, v13, v8
	ds_bpermute_b32 v13, v13, v9
	s_wait_dscnt 0x0
	v_dual_add_f64 v[8:9], v[8:9], v[12:13] :: v_dual_lshlrev_b32 v13, 2, v10
	ds_bpermute_b32 v10, v13, v0
	ds_bpermute_b32 v11, v13, v1
	s_wait_dscnt 0x0
	v_add_f64_e32 v[0:1], v[0:1], v[10:11]
	v_xor_b32_e32 v10, 4, v14
	s_delay_alu instid0(VALU_DEP_1)
	v_cmp_gt_i32_e32 vcc_lo, 32, v10
	v_cndmask_b32_e32 v10, v14, v10, vcc_lo
	ds_bpermute_b32 v12, v13, v8
	ds_bpermute_b32 v13, v13, v9
	s_wait_dscnt 0x0
	v_dual_add_f64 v[8:9], v[8:9], v[12:13] :: v_dual_lshlrev_b32 v13, 2, v10
	;; [unrolled: 12-line block ×3, first 2 shown]
	ds_bpermute_b32 v10, v13, v0
	ds_bpermute_b32 v11, v13, v1
	s_wait_dscnt 0x0
	v_add_f64_e32 v[0:1], v[0:1], v[10:11]
	ds_bpermute_b32 v12, v13, v8
	ds_bpermute_b32 v13, v13, v9
	s_wait_dscnt 0x0
	v_dual_add_f64 v[10:11], v[8:9], v[12:13] :: v_dual_bitop2_b32 v8, 1, v14 bitop3:0x14
	s_delay_alu instid0(VALU_DEP_1) | instskip(SKIP_2) | instid1(VALU_DEP_2)
	v_cmp_gt_i32_e32 vcc_lo, 32, v8
	v_cndmask_b32_e32 v8, v14, v8, vcc_lo
	v_cmp_eq_u32_e32 vcc_lo, 31, v7
	v_lshlrev_b32_e32 v13, 2, v8
	ds_bpermute_b32 v8, v13, v0
	ds_bpermute_b32 v9, v13, v1
	;; [unrolled: 1-line block ×4, first 2 shown]
	s_and_b32 exec_lo, exec_lo, vcc_lo
	s_cbranch_execz .LBB94_23
; %bb.19:
	s_wait_dscnt 0x2
	v_add_f64_e32 v[8:9], v[0:1], v[8:9]
	s_wait_dscnt 0x0
	v_add_f64_e32 v[0:1], v[10:11], v[12:13]
	s_load_b64 s[0:1], s[0:1], 0x38
	s_mov_b32 s2, exec_lo
	v_cmpx_eq_f64_e32 0, v[4:5]
	s_xor_b32 s2, exec_lo, s2
	s_cbranch_execz .LBB94_21
; %bb.20:
	s_delay_alu instid0(VALU_DEP_3) | instskip(NEXT) | instid1(VALU_DEP_3)
	v_mul_f64_e32 v[8:9], v[2:3], v[8:9]
	v_dual_mul_f64 v[10:11], v[2:3], v[0:1] :: v_dual_lshlrev_b32 v0, 1, v6
                                        ; implicit-def: $vgpr6
                                        ; implicit-def: $vgpr2_vgpr3
                                        ; implicit-def: $vgpr4_vgpr5
	s_delay_alu instid0(VALU_DEP_1) | instskip(SKIP_1) | instid1(VALU_DEP_1)
	v_ashrrev_i32_e32 v1, 31, v0
	s_wait_kmcnt 0x0
	v_lshl_add_u64 v[0:1], v[0:1], 3, s[0:1]
	global_store_b128 v[0:1], v[8:11], off
                                        ; implicit-def: $vgpr8_vgpr9
                                        ; implicit-def: $vgpr0_vgpr1
.LBB94_21:
	s_wait_xcnt 0x0
	s_and_not1_saveexec_b32 s2, s2
	s_cbranch_execz .LBB94_23
; %bb.22:
	v_lshlrev_b32_e32 v6, 1, v6
	s_delay_alu instid0(VALU_DEP_1) | instskip(SKIP_1) | instid1(VALU_DEP_1)
	v_ashrrev_i32_e32 v7, 31, v6
	s_wait_kmcnt 0x0
	v_lshl_add_u64 v[14:15], v[6:7], 3, s[0:1]
	v_mul_f64_e32 v[6:7], v[2:3], v[8:9]
	v_mul_f64_e32 v[8:9], v[2:3], v[0:1]
	global_load_b128 v[10:13], v[14:15], off
	s_wait_loadcnt 0x0
	v_fmac_f64_e32 v[6:7], v[4:5], v[10:11]
	v_fmac_f64_e32 v[8:9], v[4:5], v[12:13]
	global_store_b128 v[14:15], v[6:9], off
.LBB94_23:
	s_endpgm
	.section	.rodata,"a",@progbits
	.p2align	6, 0x0
	.amdhsa_kernel _ZN9rocsparseL19gebsrmvn_2xn_kernelILj128ELj5ELj32EdEEvi20rocsparse_direction_NS_24const_host_device_scalarIT2_EEPKiS6_PKS3_S8_S4_PS3_21rocsparse_index_base_b
		.amdhsa_group_segment_fixed_size 0
		.amdhsa_private_segment_fixed_size 0
		.amdhsa_kernarg_size 72
		.amdhsa_user_sgpr_count 2
		.amdhsa_user_sgpr_dispatch_ptr 0
		.amdhsa_user_sgpr_queue_ptr 0
		.amdhsa_user_sgpr_kernarg_segment_ptr 1
		.amdhsa_user_sgpr_dispatch_id 0
		.amdhsa_user_sgpr_kernarg_preload_length 0
		.amdhsa_user_sgpr_kernarg_preload_offset 0
		.amdhsa_user_sgpr_private_segment_size 0
		.amdhsa_wavefront_size32 1
		.amdhsa_uses_dynamic_stack 0
		.amdhsa_enable_private_segment 0
		.amdhsa_system_sgpr_workgroup_id_x 1
		.amdhsa_system_sgpr_workgroup_id_y 0
		.amdhsa_system_sgpr_workgroup_id_z 0
		.amdhsa_system_sgpr_workgroup_info 0
		.amdhsa_system_vgpr_workitem_id 0
		.amdhsa_next_free_vgpr 50
		.amdhsa_next_free_sgpr 14
		.amdhsa_named_barrier_count 0
		.amdhsa_reserve_vcc 1
		.amdhsa_float_round_mode_32 0
		.amdhsa_float_round_mode_16_64 0
		.amdhsa_float_denorm_mode_32 3
		.amdhsa_float_denorm_mode_16_64 3
		.amdhsa_fp16_overflow 0
		.amdhsa_memory_ordered 1
		.amdhsa_forward_progress 1
		.amdhsa_inst_pref_size 14
		.amdhsa_round_robin_scheduling 0
		.amdhsa_exception_fp_ieee_invalid_op 0
		.amdhsa_exception_fp_denorm_src 0
		.amdhsa_exception_fp_ieee_div_zero 0
		.amdhsa_exception_fp_ieee_overflow 0
		.amdhsa_exception_fp_ieee_underflow 0
		.amdhsa_exception_fp_ieee_inexact 0
		.amdhsa_exception_int_div_zero 0
	.end_amdhsa_kernel
	.section	.text._ZN9rocsparseL19gebsrmvn_2xn_kernelILj128ELj5ELj32EdEEvi20rocsparse_direction_NS_24const_host_device_scalarIT2_EEPKiS6_PKS3_S8_S4_PS3_21rocsparse_index_base_b,"axG",@progbits,_ZN9rocsparseL19gebsrmvn_2xn_kernelILj128ELj5ELj32EdEEvi20rocsparse_direction_NS_24const_host_device_scalarIT2_EEPKiS6_PKS3_S8_S4_PS3_21rocsparse_index_base_b,comdat
.Lfunc_end94:
	.size	_ZN9rocsparseL19gebsrmvn_2xn_kernelILj128ELj5ELj32EdEEvi20rocsparse_direction_NS_24const_host_device_scalarIT2_EEPKiS6_PKS3_S8_S4_PS3_21rocsparse_index_base_b, .Lfunc_end94-_ZN9rocsparseL19gebsrmvn_2xn_kernelILj128ELj5ELj32EdEEvi20rocsparse_direction_NS_24const_host_device_scalarIT2_EEPKiS6_PKS3_S8_S4_PS3_21rocsparse_index_base_b
                                        ; -- End function
	.set _ZN9rocsparseL19gebsrmvn_2xn_kernelILj128ELj5ELj32EdEEvi20rocsparse_direction_NS_24const_host_device_scalarIT2_EEPKiS6_PKS3_S8_S4_PS3_21rocsparse_index_base_b.num_vgpr, 50
	.set _ZN9rocsparseL19gebsrmvn_2xn_kernelILj128ELj5ELj32EdEEvi20rocsparse_direction_NS_24const_host_device_scalarIT2_EEPKiS6_PKS3_S8_S4_PS3_21rocsparse_index_base_b.num_agpr, 0
	.set _ZN9rocsparseL19gebsrmvn_2xn_kernelILj128ELj5ELj32EdEEvi20rocsparse_direction_NS_24const_host_device_scalarIT2_EEPKiS6_PKS3_S8_S4_PS3_21rocsparse_index_base_b.numbered_sgpr, 14
	.set _ZN9rocsparseL19gebsrmvn_2xn_kernelILj128ELj5ELj32EdEEvi20rocsparse_direction_NS_24const_host_device_scalarIT2_EEPKiS6_PKS3_S8_S4_PS3_21rocsparse_index_base_b.num_named_barrier, 0
	.set _ZN9rocsparseL19gebsrmvn_2xn_kernelILj128ELj5ELj32EdEEvi20rocsparse_direction_NS_24const_host_device_scalarIT2_EEPKiS6_PKS3_S8_S4_PS3_21rocsparse_index_base_b.private_seg_size, 0
	.set _ZN9rocsparseL19gebsrmvn_2xn_kernelILj128ELj5ELj32EdEEvi20rocsparse_direction_NS_24const_host_device_scalarIT2_EEPKiS6_PKS3_S8_S4_PS3_21rocsparse_index_base_b.uses_vcc, 1
	.set _ZN9rocsparseL19gebsrmvn_2xn_kernelILj128ELj5ELj32EdEEvi20rocsparse_direction_NS_24const_host_device_scalarIT2_EEPKiS6_PKS3_S8_S4_PS3_21rocsparse_index_base_b.uses_flat_scratch, 0
	.set _ZN9rocsparseL19gebsrmvn_2xn_kernelILj128ELj5ELj32EdEEvi20rocsparse_direction_NS_24const_host_device_scalarIT2_EEPKiS6_PKS3_S8_S4_PS3_21rocsparse_index_base_b.has_dyn_sized_stack, 0
	.set _ZN9rocsparseL19gebsrmvn_2xn_kernelILj128ELj5ELj32EdEEvi20rocsparse_direction_NS_24const_host_device_scalarIT2_EEPKiS6_PKS3_S8_S4_PS3_21rocsparse_index_base_b.has_recursion, 0
	.set _ZN9rocsparseL19gebsrmvn_2xn_kernelILj128ELj5ELj32EdEEvi20rocsparse_direction_NS_24const_host_device_scalarIT2_EEPKiS6_PKS3_S8_S4_PS3_21rocsparse_index_base_b.has_indirect_call, 0
	.section	.AMDGPU.csdata,"",@progbits
; Kernel info:
; codeLenInByte = 1752
; TotalNumSgprs: 16
; NumVgprs: 50
; ScratchSize: 0
; MemoryBound: 0
; FloatMode: 240
; IeeeMode: 1
; LDSByteSize: 0 bytes/workgroup (compile time only)
; SGPRBlocks: 0
; VGPRBlocks: 3
; NumSGPRsForWavesPerEU: 16
; NumVGPRsForWavesPerEU: 50
; NamedBarCnt: 0
; Occupancy: 16
; WaveLimiterHint : 1
; COMPUTE_PGM_RSRC2:SCRATCH_EN: 0
; COMPUTE_PGM_RSRC2:USER_SGPR: 2
; COMPUTE_PGM_RSRC2:TRAP_HANDLER: 0
; COMPUTE_PGM_RSRC2:TGID_X_EN: 1
; COMPUTE_PGM_RSRC2:TGID_Y_EN: 0
; COMPUTE_PGM_RSRC2:TGID_Z_EN: 0
; COMPUTE_PGM_RSRC2:TIDIG_COMP_CNT: 0
	.section	.text._ZN9rocsparseL19gebsrmvn_2xn_kernelILj128ELj5ELj64EdEEvi20rocsparse_direction_NS_24const_host_device_scalarIT2_EEPKiS6_PKS3_S8_S4_PS3_21rocsparse_index_base_b,"axG",@progbits,_ZN9rocsparseL19gebsrmvn_2xn_kernelILj128ELj5ELj64EdEEvi20rocsparse_direction_NS_24const_host_device_scalarIT2_EEPKiS6_PKS3_S8_S4_PS3_21rocsparse_index_base_b,comdat
	.globl	_ZN9rocsparseL19gebsrmvn_2xn_kernelILj128ELj5ELj64EdEEvi20rocsparse_direction_NS_24const_host_device_scalarIT2_EEPKiS6_PKS3_S8_S4_PS3_21rocsparse_index_base_b ; -- Begin function _ZN9rocsparseL19gebsrmvn_2xn_kernelILj128ELj5ELj64EdEEvi20rocsparse_direction_NS_24const_host_device_scalarIT2_EEPKiS6_PKS3_S8_S4_PS3_21rocsparse_index_base_b
	.p2align	8
	.type	_ZN9rocsparseL19gebsrmvn_2xn_kernelILj128ELj5ELj64EdEEvi20rocsparse_direction_NS_24const_host_device_scalarIT2_EEPKiS6_PKS3_S8_S4_PS3_21rocsparse_index_base_b,@function
_ZN9rocsparseL19gebsrmvn_2xn_kernelILj128ELj5ELj64EdEEvi20rocsparse_direction_NS_24const_host_device_scalarIT2_EEPKiS6_PKS3_S8_S4_PS3_21rocsparse_index_base_b: ; @_ZN9rocsparseL19gebsrmvn_2xn_kernelILj128ELj5ELj64EdEEvi20rocsparse_direction_NS_24const_host_device_scalarIT2_EEPKiS6_PKS3_S8_S4_PS3_21rocsparse_index_base_b
; %bb.0:
	s_clause 0x2
	s_load_b64 s[12:13], s[0:1], 0x40
	s_load_b64 s[4:5], s[0:1], 0x8
	s_load_b64 s[2:3], s[0:1], 0x30
	s_wait_kmcnt 0x0
	s_bitcmp1_b32 s13, 0
	v_mov_b64_e32 v[2:3], s[4:5]
	s_cselect_b32 s6, -1, 0
	s_delay_alu instid0(SALU_CYCLE_1)
	s_and_b32 vcc_lo, exec_lo, s6
	s_xor_b32 s6, s6, -1
	s_cbranch_vccnz .LBB95_2
; %bb.1:
	v_mov_b32_e32 v1, 0
	flat_load_b64 v[2:3], v1, s[4:5]
.LBB95_2:
	v_mov_b64_e32 v[4:5], s[2:3]
	s_and_not1_b32 vcc_lo, exec_lo, s6
	s_cbranch_vccnz .LBB95_4
; %bb.3:
	s_wait_xcnt 0x0
	v_mov_b32_e32 v1, 0
	flat_load_b64 v[4:5], v1, s[2:3]
.LBB95_4:
	s_wait_loadcnt_dscnt 0x0
	v_cmp_neq_f64_e32 vcc_lo, 0, v[2:3]
	s_delay_alu instid0(VALU_DEP_2) | instskip(SKIP_1) | instid1(SALU_CYCLE_1)
	v_cmp_neq_f64_e64 s2, 1.0, v[4:5]
	s_or_b32 s2, vcc_lo, s2
	s_and_saveexec_b32 s3, s2
	s_cbranch_execz .LBB95_23
; %bb.5:
	s_load_b64 s[2:3], s[0:1], 0x0
	s_bfe_u32 s4, ttmp6, 0x4000c
	s_and_b32 s5, ttmp6, 15
	s_add_co_i32 s4, s4, 1
	s_getreg_b32 s6, hwreg(HW_REG_IB_STS2, 6, 4)
	s_mul_i32 s4, ttmp9, s4
	v_lshrrev_b32_e32 v1, 6, v0
	s_add_co_i32 s5, s5, s4
	s_cmp_eq_u32 s6, 0
	s_cselect_b32 s4, ttmp9, s5
	s_delay_alu instid0(VALU_DEP_1) | instid1(SALU_CYCLE_1)
	v_lshl_or_b32 v6, s4, 1, v1
	s_wait_kmcnt 0x0
	s_delay_alu instid0(VALU_DEP_1)
	v_cmp_gt_i32_e32 vcc_lo, s2, v6
	s_and_b32 exec_lo, exec_lo, vcc_lo
	s_cbranch_execz .LBB95_23
; %bb.6:
	s_load_b256 s[4:11], s[0:1], 0x10
	v_ashrrev_i32_e32 v7, 31, v6
	s_cmp_lg_u32 s3, 0
	s_wait_kmcnt 0x0
	s_delay_alu instid0(VALU_DEP_1)
	v_lshl_add_u64 v[8:9], v[6:7], 2, s[4:5]
	v_and_b32_e32 v7, 63, v0
	global_load_b64 v[8:9], v[8:9], off
	s_wait_loadcnt 0x0
	v_subrev_nc_u32_e32 v0, s12, v8
	v_subrev_nc_u32_e32 v14, s12, v9
	s_delay_alu instid0(VALU_DEP_2) | instskip(NEXT) | instid1(VALU_DEP_1)
	v_add_nc_u32_e32 v15, v0, v7
	v_cmp_lt_i32_e64 s2, v15, v14
	s_cbranch_scc0 .LBB95_12
; %bb.7:
	v_mov_b64_e32 v[0:1], 0
	v_mov_b64_e32 v[8:9], 0
	s_and_saveexec_b32 s3, s2
	s_cbranch_execz .LBB95_11
; %bb.8:
	v_mad_u32 v10, v15, 10, 8
	v_mov_b64_e32 v[0:1], 0
	v_mov_b64_e32 v[8:9], 0
	v_dual_mov_b32 v13, 0 :: v_dual_mov_b32 v16, v15
	s_mov_b32 s4, 0
.LBB95_9:                               ; =>This Inner Loop Header: Depth=1
	global_load_b32 v11, v16, s[6:7] scale_offset
	s_wait_xcnt 0x0
	v_add_nc_u32_e32 v16, 64, v16
	s_delay_alu instid0(VALU_DEP_1) | instskip(SKIP_3) | instid1(VALU_DEP_1)
	v_cmp_ge_i32_e32 vcc_lo, v16, v14
	s_or_b32 s4, vcc_lo, s4
	s_wait_loadcnt 0x0
	v_subrev_nc_u32_e32 v11, s12, v11
	v_lshl_add_u32 v17, v11, 2, v11
	s_delay_alu instid0(VALU_DEP_1) | instskip(NEXT) | instid1(VALU_DEP_1)
	v_dual_add_nc_u32 v12, -8, v10 :: v_dual_add_nc_u32 v11, 1, v17
	v_lshl_add_u64 v[22:23], v[12:13], 3, s[8:9]
	global_load_b128 v[18:21], v[22:23], off
	global_load_b64 v[38:39], v17, s[10:11] scale_offset
	v_add_nc_u32_e32 v12, -6, v10
	s_delay_alu instid0(VALU_DEP_1) | instskip(SKIP_4) | instid1(VALU_DEP_1)
	v_lshl_add_u64 v[26:27], v[12:13], 3, s[8:9]
	global_load_b128 v[22:25], v[26:27], off
	global_load_b64 v[40:41], v11, s[10:11] scale_offset
	s_wait_xcnt 0x0
	v_dual_add_nc_u32 v12, -4, v10 :: v_dual_add_nc_u32 v11, 2, v17
	v_lshl_add_u64 v[30:31], v[12:13], 3, s[8:9]
	global_load_b128 v[26:29], v[30:31], off
	global_load_b64 v[42:43], v11, s[10:11] scale_offset
	s_wait_xcnt 0x0
	v_dual_add_nc_u32 v12, -2, v10 :: v_dual_add_nc_u32 v11, 3, v17
	s_delay_alu instid0(VALU_DEP_1) | instskip(SKIP_4) | instid1(VALU_DEP_1)
	v_lshl_add_u64 v[34:35], v[12:13], 3, s[8:9]
	global_load_b128 v[30:33], v[34:35], off
	global_load_b64 v[44:45], v11, s[10:11] scale_offset
	s_wait_xcnt 0x0
	v_mov_b32_e32 v11, v13
	v_lshl_add_u64 v[46:47], v[10:11], 3, s[8:9]
	v_add_nc_u32_e32 v11, 4, v17
	global_load_b128 v[34:37], v[46:47], off
	global_load_b64 v[48:49], v11, s[10:11] scale_offset
	v_add_nc_u32_e32 v10, 0x280, v10
	s_wait_loadcnt 0x8
	v_fmac_f64_e32 v[0:1], v[18:19], v[38:39]
	v_fmac_f64_e32 v[8:9], v[20:21], v[38:39]
	s_wait_loadcnt 0x6
	s_delay_alu instid0(VALU_DEP_2) | instskip(NEXT) | instid1(VALU_DEP_2)
	v_fmac_f64_e32 v[0:1], v[22:23], v[40:41]
	v_fmac_f64_e32 v[8:9], v[24:25], v[40:41]
	s_wait_loadcnt 0x4
	s_delay_alu instid0(VALU_DEP_2) | instskip(NEXT) | instid1(VALU_DEP_2)
	;; [unrolled: 4-line block ×4, first 2 shown]
	v_fmac_f64_e32 v[0:1], v[34:35], v[48:49]
	v_fmac_f64_e32 v[8:9], v[36:37], v[48:49]
	s_and_not1_b32 exec_lo, exec_lo, s4
	s_cbranch_execnz .LBB95_9
; %bb.10:
	s_or_b32 exec_lo, exec_lo, s4
.LBB95_11:
	s_delay_alu instid0(SALU_CYCLE_1)
	s_or_b32 exec_lo, exec_lo, s3
	s_cbranch_execz .LBB95_13
	s_branch .LBB95_18
.LBB95_12:
                                        ; implicit-def: $vgpr0_vgpr1
                                        ; implicit-def: $vgpr8_vgpr9
.LBB95_13:
	v_mov_b64_e32 v[0:1], 0
	v_mov_b64_e32 v[8:9], 0
	s_and_saveexec_b32 s3, s2
	s_cbranch_execz .LBB95_17
; %bb.14:
	v_mad_u32 v12, v15, 10, 9
	v_mov_b64_e32 v[0:1], 0
	v_mov_b64_e32 v[8:9], 0
	v_mov_b32_e32 v11, 0
	s_mov_b32 s2, 0
.LBB95_15:                              ; =>This Inner Loop Header: Depth=1
	global_load_b32 v13, v15, s[6:7] scale_offset
	v_dual_add_nc_u32 v10, -9, v12 :: v_dual_add_nc_u32 v26, -4, v12
	s_wait_xcnt 0x0
	v_dual_add_nc_u32 v15, 64, v15 :: v_dual_add_nc_u32 v34, -2, v12
	s_delay_alu instid0(VALU_DEP_2) | instskip(NEXT) | instid1(VALU_DEP_2)
	v_lshl_add_u64 v[20:21], v[10:11], 3, s[8:9]
	v_cmp_ge_i32_e32 vcc_lo, v15, v14
	s_or_b32 s2, vcc_lo, s2
	s_wait_loadcnt 0x0
	v_subrev_nc_u32_e32 v13, s12, v13
	s_delay_alu instid0(VALU_DEP_1)
	v_lshl_add_u32 v10, v13, 2, v13
	s_clause 0x1
	global_load_b128 v[16:19], v[20:21], off
	global_load_b64 v[22:23], v26, s[8:9] scale_offset
	global_load_b64 v[24:25], v10, s[10:11] scale_offset
	v_dual_add_nc_u32 v13, -3, v12 :: v_dual_add_nc_u32 v28, 1, v10
	global_load_b64 v[20:21], v13, s[8:9] scale_offset
	global_load_b64 v[26:27], v28, s[10:11] scale_offset
	s_wait_xcnt 0x1
	v_dual_add_nc_u32 v13, -7, v12 :: v_dual_add_nc_u32 v35, 2, v10
	v_dual_add_nc_u32 v40, -1, v12 :: v_dual_add_nc_u32 v41, 3, v10
	s_clause 0x1
	global_load_b64 v[28:29], v13, s[8:9] scale_offset
	global_load_b64 v[30:31], v34, s[8:9] scale_offset
	;; [unrolled: 1-line block ×3, first 2 shown]
	s_wait_xcnt 0x2
	v_add_nc_u32_e32 v13, -6, v12
	s_clause 0x1
	global_load_b64 v[34:35], v13, s[8:9] scale_offset
	global_load_b64 v[36:37], v40, s[8:9] scale_offset
	;; [unrolled: 1-line block ×3, first 2 shown]
	s_wait_xcnt 0x2
	v_dual_add_nc_u32 v13, -5, v12 :: v_dual_add_nc_u32 v10, 4, v10
	s_clause 0x1
	global_load_b64 v[40:41], v12, s[8:9] scale_offset
	global_load_b64 v[42:43], v13, s[8:9] scale_offset
	;; [unrolled: 1-line block ×3, first 2 shown]
	s_wait_xcnt 0x2
	v_add_nc_u32_e32 v12, 0x280, v12
	s_wait_loadcnt 0xb
	v_fmac_f64_e32 v[0:1], v[16:17], v[24:25]
	v_fmac_f64_e32 v[8:9], v[22:23], v[24:25]
	s_wait_loadcnt 0x9
	s_delay_alu instid0(VALU_DEP_2) | instskip(NEXT) | instid1(VALU_DEP_2)
	v_fmac_f64_e32 v[0:1], v[18:19], v[26:27]
	v_fmac_f64_e32 v[8:9], v[20:21], v[26:27]
	s_wait_loadcnt 0x6
	s_delay_alu instid0(VALU_DEP_2) | instskip(NEXT) | instid1(VALU_DEP_2)
	;; [unrolled: 4-line block ×4, first 2 shown]
	v_fmac_f64_e32 v[0:1], v[42:43], v[44:45]
	v_fmac_f64_e32 v[8:9], v[40:41], v[44:45]
	s_and_not1_b32 exec_lo, exec_lo, s2
	s_cbranch_execnz .LBB95_15
; %bb.16:
	s_or_b32 exec_lo, exec_lo, s2
.LBB95_17:
	s_delay_alu instid0(SALU_CYCLE_1)
	s_or_b32 exec_lo, exec_lo, s3
.LBB95_18:
	v_mbcnt_lo_u32_b32 v14, -1, 0
	s_delay_alu instid0(VALU_DEP_1) | instskip(NEXT) | instid1(VALU_DEP_1)
	v_or_b32_e32 v10, 32, v14
	v_cmp_gt_i32_e32 vcc_lo, 32, v10
	v_cndmask_b32_e32 v10, v14, v10, vcc_lo
	s_delay_alu instid0(VALU_DEP_1)
	v_lshlrev_b32_e32 v13, 2, v10
	ds_bpermute_b32 v10, v13, v0
	ds_bpermute_b32 v11, v13, v1
	s_wait_dscnt 0x0
	v_add_f64_e32 v[0:1], v[0:1], v[10:11]
	v_xor_b32_e32 v10, 16, v14
	s_delay_alu instid0(VALU_DEP_1)
	v_cmp_gt_i32_e32 vcc_lo, 32, v10
	v_cndmask_b32_e32 v10, v14, v10, vcc_lo
	ds_bpermute_b32 v12, v13, v8
	ds_bpermute_b32 v13, v13, v9
	s_wait_dscnt 0x0
	v_dual_add_f64 v[8:9], v[8:9], v[12:13] :: v_dual_lshlrev_b32 v13, 2, v10
	ds_bpermute_b32 v10, v13, v0
	ds_bpermute_b32 v11, v13, v1
	s_wait_dscnt 0x0
	v_add_f64_e32 v[0:1], v[0:1], v[10:11]
	v_xor_b32_e32 v10, 8, v14
	s_delay_alu instid0(VALU_DEP_1)
	v_cmp_gt_i32_e32 vcc_lo, 32, v10
	v_cndmask_b32_e32 v10, v14, v10, vcc_lo
	ds_bpermute_b32 v12, v13, v8
	ds_bpermute_b32 v13, v13, v9
	s_wait_dscnt 0x0
	v_dual_add_f64 v[8:9], v[8:9], v[12:13] :: v_dual_lshlrev_b32 v13, 2, v10
	;; [unrolled: 12-line block ×4, first 2 shown]
	ds_bpermute_b32 v10, v13, v0
	ds_bpermute_b32 v11, v13, v1
	s_wait_dscnt 0x0
	v_add_f64_e32 v[0:1], v[0:1], v[10:11]
	ds_bpermute_b32 v12, v13, v8
	ds_bpermute_b32 v13, v13, v9
	s_wait_dscnt 0x0
	v_dual_add_f64 v[10:11], v[8:9], v[12:13] :: v_dual_bitop2_b32 v8, 1, v14 bitop3:0x14
	s_delay_alu instid0(VALU_DEP_1) | instskip(SKIP_2) | instid1(VALU_DEP_2)
	v_cmp_gt_i32_e32 vcc_lo, 32, v8
	v_cndmask_b32_e32 v8, v14, v8, vcc_lo
	v_cmp_eq_u32_e32 vcc_lo, 63, v7
	v_lshlrev_b32_e32 v13, 2, v8
	ds_bpermute_b32 v8, v13, v0
	ds_bpermute_b32 v9, v13, v1
	;; [unrolled: 1-line block ×4, first 2 shown]
	s_and_b32 exec_lo, exec_lo, vcc_lo
	s_cbranch_execz .LBB95_23
; %bb.19:
	s_wait_dscnt 0x2
	v_add_f64_e32 v[8:9], v[0:1], v[8:9]
	s_wait_dscnt 0x0
	v_add_f64_e32 v[0:1], v[10:11], v[12:13]
	s_load_b64 s[0:1], s[0:1], 0x38
	s_mov_b32 s2, exec_lo
	v_cmpx_eq_f64_e32 0, v[4:5]
	s_xor_b32 s2, exec_lo, s2
	s_cbranch_execz .LBB95_21
; %bb.20:
	s_delay_alu instid0(VALU_DEP_3) | instskip(NEXT) | instid1(VALU_DEP_3)
	v_mul_f64_e32 v[8:9], v[2:3], v[8:9]
	v_dual_mul_f64 v[10:11], v[2:3], v[0:1] :: v_dual_lshlrev_b32 v0, 1, v6
                                        ; implicit-def: $vgpr6
                                        ; implicit-def: $vgpr2_vgpr3
                                        ; implicit-def: $vgpr4_vgpr5
	s_delay_alu instid0(VALU_DEP_1) | instskip(SKIP_1) | instid1(VALU_DEP_1)
	v_ashrrev_i32_e32 v1, 31, v0
	s_wait_kmcnt 0x0
	v_lshl_add_u64 v[0:1], v[0:1], 3, s[0:1]
	global_store_b128 v[0:1], v[8:11], off
                                        ; implicit-def: $vgpr8_vgpr9
                                        ; implicit-def: $vgpr0_vgpr1
.LBB95_21:
	s_wait_xcnt 0x0
	s_and_not1_saveexec_b32 s2, s2
	s_cbranch_execz .LBB95_23
; %bb.22:
	v_lshlrev_b32_e32 v6, 1, v6
	s_delay_alu instid0(VALU_DEP_1) | instskip(SKIP_1) | instid1(VALU_DEP_1)
	v_ashrrev_i32_e32 v7, 31, v6
	s_wait_kmcnt 0x0
	v_lshl_add_u64 v[14:15], v[6:7], 3, s[0:1]
	v_mul_f64_e32 v[6:7], v[2:3], v[8:9]
	v_mul_f64_e32 v[8:9], v[2:3], v[0:1]
	global_load_b128 v[10:13], v[14:15], off
	s_wait_loadcnt 0x0
	v_fmac_f64_e32 v[6:7], v[4:5], v[10:11]
	v_fmac_f64_e32 v[8:9], v[4:5], v[12:13]
	global_store_b128 v[14:15], v[6:9], off
.LBB95_23:
	s_endpgm
	.section	.rodata,"a",@progbits
	.p2align	6, 0x0
	.amdhsa_kernel _ZN9rocsparseL19gebsrmvn_2xn_kernelILj128ELj5ELj64EdEEvi20rocsparse_direction_NS_24const_host_device_scalarIT2_EEPKiS6_PKS3_S8_S4_PS3_21rocsparse_index_base_b
		.amdhsa_group_segment_fixed_size 0
		.amdhsa_private_segment_fixed_size 0
		.amdhsa_kernarg_size 72
		.amdhsa_user_sgpr_count 2
		.amdhsa_user_sgpr_dispatch_ptr 0
		.amdhsa_user_sgpr_queue_ptr 0
		.amdhsa_user_sgpr_kernarg_segment_ptr 1
		.amdhsa_user_sgpr_dispatch_id 0
		.amdhsa_user_sgpr_kernarg_preload_length 0
		.amdhsa_user_sgpr_kernarg_preload_offset 0
		.amdhsa_user_sgpr_private_segment_size 0
		.amdhsa_wavefront_size32 1
		.amdhsa_uses_dynamic_stack 0
		.amdhsa_enable_private_segment 0
		.amdhsa_system_sgpr_workgroup_id_x 1
		.amdhsa_system_sgpr_workgroup_id_y 0
		.amdhsa_system_sgpr_workgroup_id_z 0
		.amdhsa_system_sgpr_workgroup_info 0
		.amdhsa_system_vgpr_workitem_id 0
		.amdhsa_next_free_vgpr 50
		.amdhsa_next_free_sgpr 14
		.amdhsa_named_barrier_count 0
		.amdhsa_reserve_vcc 1
		.amdhsa_float_round_mode_32 0
		.amdhsa_float_round_mode_16_64 0
		.amdhsa_float_denorm_mode_32 3
		.amdhsa_float_denorm_mode_16_64 3
		.amdhsa_fp16_overflow 0
		.amdhsa_memory_ordered 1
		.amdhsa_forward_progress 1
		.amdhsa_inst_pref_size 15
		.amdhsa_round_robin_scheduling 0
		.amdhsa_exception_fp_ieee_invalid_op 0
		.amdhsa_exception_fp_denorm_src 0
		.amdhsa_exception_fp_ieee_div_zero 0
		.amdhsa_exception_fp_ieee_overflow 0
		.amdhsa_exception_fp_ieee_underflow 0
		.amdhsa_exception_fp_ieee_inexact 0
		.amdhsa_exception_int_div_zero 0
	.end_amdhsa_kernel
	.section	.text._ZN9rocsparseL19gebsrmvn_2xn_kernelILj128ELj5ELj64EdEEvi20rocsparse_direction_NS_24const_host_device_scalarIT2_EEPKiS6_PKS3_S8_S4_PS3_21rocsparse_index_base_b,"axG",@progbits,_ZN9rocsparseL19gebsrmvn_2xn_kernelILj128ELj5ELj64EdEEvi20rocsparse_direction_NS_24const_host_device_scalarIT2_EEPKiS6_PKS3_S8_S4_PS3_21rocsparse_index_base_b,comdat
.Lfunc_end95:
	.size	_ZN9rocsparseL19gebsrmvn_2xn_kernelILj128ELj5ELj64EdEEvi20rocsparse_direction_NS_24const_host_device_scalarIT2_EEPKiS6_PKS3_S8_S4_PS3_21rocsparse_index_base_b, .Lfunc_end95-_ZN9rocsparseL19gebsrmvn_2xn_kernelILj128ELj5ELj64EdEEvi20rocsparse_direction_NS_24const_host_device_scalarIT2_EEPKiS6_PKS3_S8_S4_PS3_21rocsparse_index_base_b
                                        ; -- End function
	.set _ZN9rocsparseL19gebsrmvn_2xn_kernelILj128ELj5ELj64EdEEvi20rocsparse_direction_NS_24const_host_device_scalarIT2_EEPKiS6_PKS3_S8_S4_PS3_21rocsparse_index_base_b.num_vgpr, 50
	.set _ZN9rocsparseL19gebsrmvn_2xn_kernelILj128ELj5ELj64EdEEvi20rocsparse_direction_NS_24const_host_device_scalarIT2_EEPKiS6_PKS3_S8_S4_PS3_21rocsparse_index_base_b.num_agpr, 0
	.set _ZN9rocsparseL19gebsrmvn_2xn_kernelILj128ELj5ELj64EdEEvi20rocsparse_direction_NS_24const_host_device_scalarIT2_EEPKiS6_PKS3_S8_S4_PS3_21rocsparse_index_base_b.numbered_sgpr, 14
	.set _ZN9rocsparseL19gebsrmvn_2xn_kernelILj128ELj5ELj64EdEEvi20rocsparse_direction_NS_24const_host_device_scalarIT2_EEPKiS6_PKS3_S8_S4_PS3_21rocsparse_index_base_b.num_named_barrier, 0
	.set _ZN9rocsparseL19gebsrmvn_2xn_kernelILj128ELj5ELj64EdEEvi20rocsparse_direction_NS_24const_host_device_scalarIT2_EEPKiS6_PKS3_S8_S4_PS3_21rocsparse_index_base_b.private_seg_size, 0
	.set _ZN9rocsparseL19gebsrmvn_2xn_kernelILj128ELj5ELj64EdEEvi20rocsparse_direction_NS_24const_host_device_scalarIT2_EEPKiS6_PKS3_S8_S4_PS3_21rocsparse_index_base_b.uses_vcc, 1
	.set _ZN9rocsparseL19gebsrmvn_2xn_kernelILj128ELj5ELj64EdEEvi20rocsparse_direction_NS_24const_host_device_scalarIT2_EEPKiS6_PKS3_S8_S4_PS3_21rocsparse_index_base_b.uses_flat_scratch, 0
	.set _ZN9rocsparseL19gebsrmvn_2xn_kernelILj128ELj5ELj64EdEEvi20rocsparse_direction_NS_24const_host_device_scalarIT2_EEPKiS6_PKS3_S8_S4_PS3_21rocsparse_index_base_b.has_dyn_sized_stack, 0
	.set _ZN9rocsparseL19gebsrmvn_2xn_kernelILj128ELj5ELj64EdEEvi20rocsparse_direction_NS_24const_host_device_scalarIT2_EEPKiS6_PKS3_S8_S4_PS3_21rocsparse_index_base_b.has_recursion, 0
	.set _ZN9rocsparseL19gebsrmvn_2xn_kernelILj128ELj5ELj64EdEEvi20rocsparse_direction_NS_24const_host_device_scalarIT2_EEPKiS6_PKS3_S8_S4_PS3_21rocsparse_index_base_b.has_indirect_call, 0
	.section	.AMDGPU.csdata,"",@progbits
; Kernel info:
; codeLenInByte = 1824
; TotalNumSgprs: 16
; NumVgprs: 50
; ScratchSize: 0
; MemoryBound: 0
; FloatMode: 240
; IeeeMode: 1
; LDSByteSize: 0 bytes/workgroup (compile time only)
; SGPRBlocks: 0
; VGPRBlocks: 3
; NumSGPRsForWavesPerEU: 16
; NumVGPRsForWavesPerEU: 50
; NamedBarCnt: 0
; Occupancy: 16
; WaveLimiterHint : 1
; COMPUTE_PGM_RSRC2:SCRATCH_EN: 0
; COMPUTE_PGM_RSRC2:USER_SGPR: 2
; COMPUTE_PGM_RSRC2:TRAP_HANDLER: 0
; COMPUTE_PGM_RSRC2:TGID_X_EN: 1
; COMPUTE_PGM_RSRC2:TGID_Y_EN: 0
; COMPUTE_PGM_RSRC2:TGID_Z_EN: 0
; COMPUTE_PGM_RSRC2:TIDIG_COMP_CNT: 0
	.section	.text._ZN9rocsparseL19gebsrmvn_2xn_kernelILj128ELj6ELj4EdEEvi20rocsparse_direction_NS_24const_host_device_scalarIT2_EEPKiS6_PKS3_S8_S4_PS3_21rocsparse_index_base_b,"axG",@progbits,_ZN9rocsparseL19gebsrmvn_2xn_kernelILj128ELj6ELj4EdEEvi20rocsparse_direction_NS_24const_host_device_scalarIT2_EEPKiS6_PKS3_S8_S4_PS3_21rocsparse_index_base_b,comdat
	.globl	_ZN9rocsparseL19gebsrmvn_2xn_kernelILj128ELj6ELj4EdEEvi20rocsparse_direction_NS_24const_host_device_scalarIT2_EEPKiS6_PKS3_S8_S4_PS3_21rocsparse_index_base_b ; -- Begin function _ZN9rocsparseL19gebsrmvn_2xn_kernelILj128ELj6ELj4EdEEvi20rocsparse_direction_NS_24const_host_device_scalarIT2_EEPKiS6_PKS3_S8_S4_PS3_21rocsparse_index_base_b
	.p2align	8
	.type	_ZN9rocsparseL19gebsrmvn_2xn_kernelILj128ELj6ELj4EdEEvi20rocsparse_direction_NS_24const_host_device_scalarIT2_EEPKiS6_PKS3_S8_S4_PS3_21rocsparse_index_base_b,@function
_ZN9rocsparseL19gebsrmvn_2xn_kernelILj128ELj6ELj4EdEEvi20rocsparse_direction_NS_24const_host_device_scalarIT2_EEPKiS6_PKS3_S8_S4_PS3_21rocsparse_index_base_b: ; @_ZN9rocsparseL19gebsrmvn_2xn_kernelILj128ELj6ELj4EdEEvi20rocsparse_direction_NS_24const_host_device_scalarIT2_EEPKiS6_PKS3_S8_S4_PS3_21rocsparse_index_base_b
; %bb.0:
	s_clause 0x2
	s_load_b64 s[12:13], s[0:1], 0x40
	s_load_b64 s[4:5], s[0:1], 0x8
	;; [unrolled: 1-line block ×3, first 2 shown]
	s_wait_kmcnt 0x0
	s_bitcmp1_b32 s13, 0
	v_mov_b64_e32 v[2:3], s[4:5]
	s_cselect_b32 s6, -1, 0
	s_delay_alu instid0(SALU_CYCLE_1)
	s_and_b32 vcc_lo, exec_lo, s6
	s_xor_b32 s6, s6, -1
	s_cbranch_vccnz .LBB96_2
; %bb.1:
	v_mov_b32_e32 v1, 0
	flat_load_b64 v[2:3], v1, s[4:5]
.LBB96_2:
	v_mov_b64_e32 v[4:5], s[2:3]
	s_and_not1_b32 vcc_lo, exec_lo, s6
	s_cbranch_vccnz .LBB96_4
; %bb.3:
	s_wait_xcnt 0x0
	v_mov_b32_e32 v1, 0
	flat_load_b64 v[4:5], v1, s[2:3]
.LBB96_4:
	s_wait_loadcnt_dscnt 0x0
	v_cmp_neq_f64_e32 vcc_lo, 0, v[2:3]
	s_delay_alu instid0(VALU_DEP_2) | instskip(SKIP_1) | instid1(SALU_CYCLE_1)
	v_cmp_neq_f64_e64 s2, 1.0, v[4:5]
	s_or_b32 s2, vcc_lo, s2
	s_and_saveexec_b32 s3, s2
	s_cbranch_execz .LBB96_23
; %bb.5:
	s_load_b64 s[2:3], s[0:1], 0x0
	s_bfe_u32 s4, ttmp6, 0x4000c
	s_and_b32 s5, ttmp6, 15
	s_add_co_i32 s4, s4, 1
	s_getreg_b32 s6, hwreg(HW_REG_IB_STS2, 6, 4)
	s_mul_i32 s4, ttmp9, s4
	v_lshrrev_b32_e32 v1, 2, v0
	s_add_co_i32 s5, s5, s4
	s_cmp_eq_u32 s6, 0
	s_cselect_b32 s4, ttmp9, s5
	s_delay_alu instid0(VALU_DEP_1) | instid1(SALU_CYCLE_1)
	v_lshl_or_b32 v6, s4, 5, v1
	s_wait_kmcnt 0x0
	s_delay_alu instid0(VALU_DEP_1)
	v_cmp_gt_i32_e32 vcc_lo, s2, v6
	s_and_b32 exec_lo, exec_lo, vcc_lo
	s_cbranch_execz .LBB96_23
; %bb.6:
	s_load_b256 s[4:11], s[0:1], 0x10
	v_ashrrev_i32_e32 v7, 31, v6
	s_cmp_lg_u32 s3, 0
	s_wait_kmcnt 0x0
	s_delay_alu instid0(VALU_DEP_1)
	v_lshl_add_u64 v[8:9], v[6:7], 2, s[4:5]
	v_and_b32_e32 v7, 3, v0
	global_load_b64 v[8:9], v[8:9], off
	s_wait_loadcnt 0x0
	v_subrev_nc_u32_e32 v0, s12, v8
	v_subrev_nc_u32_e32 v14, s12, v9
	s_delay_alu instid0(VALU_DEP_2) | instskip(NEXT) | instid1(VALU_DEP_1)
	v_add_nc_u32_e32 v15, v0, v7
	v_cmp_lt_i32_e64 s2, v15, v14
	s_cbranch_scc0 .LBB96_12
; %bb.7:
	v_mov_b64_e32 v[0:1], 0
	v_mov_b64_e32 v[8:9], 0
	s_and_saveexec_b32 s3, s2
	s_cbranch_execz .LBB96_11
; %bb.8:
	v_mad_u32 v10, v15, 12, 10
	v_mov_b64_e32 v[0:1], 0
	v_mov_b64_e32 v[8:9], 0
	v_dual_mov_b32 v13, 0 :: v_dual_mov_b32 v16, v15
	s_mov_b32 s4, 0
.LBB96_9:                               ; =>This Inner Loop Header: Depth=1
	global_load_b32 v11, v16, s[6:7] scale_offset
	v_dual_mov_b32 v43, v13 :: v_dual_add_nc_u32 v12, -10, v10
	s_wait_xcnt 0x0
	v_add_nc_u32_e32 v16, 4, v16
	s_delay_alu instid0(VALU_DEP_2) | instskip(SKIP_1) | instid1(VALU_DEP_3)
	v_lshl_add_u64 v[30:31], v[12:13], 3, s[8:9]
	v_add_nc_u32_e32 v12, -6, v10
	v_cmp_ge_i32_e32 vcc_lo, v16, v14
	s_or_b32 s4, vcc_lo, s4
	s_wait_loadcnt 0x0
	v_subrev_nc_u32_e32 v11, s12, v11
	s_delay_alu instid0(VALU_DEP_1) | instskip(SKIP_2) | instid1(VALU_DEP_3)
	v_mul_lo_u32 v42, v11, 6
	v_mov_b32_e32 v11, v13
	v_lshl_add_u64 v[38:39], v[12:13], 3, s[8:9]
	v_lshl_add_u64 v[32:33], v[42:43], 3, s[10:11]
	s_clause 0x1
	global_load_b128 v[18:21], v[30:31], off offset:16
	global_load_b128 v[22:25], v[30:31], off
	global_load_b128 v[26:29], v[32:33], off
	v_add_nc_u32_e32 v12, 2, v42
	s_delay_alu instid0(VALU_DEP_1) | instskip(SKIP_4) | instid1(VALU_DEP_1)
	v_lshl_add_u64 v[40:41], v[12:13], 3, s[10:11]
	global_load_b128 v[30:33], v[38:39], off
	global_load_b128 v[34:37], v[40:41], off
	v_add_nc_u32_e32 v12, -4, v10
	s_wait_xcnt 0x1
	v_lshl_add_u64 v[38:39], v[12:13], 3, s[8:9]
	v_add_nc_u32_e32 v12, -2, v10
	global_load_b128 v[38:41], v[38:39], off
	v_lshl_add_u64 v[50:51], v[12:13], 3, s[8:9]
	v_add_nc_u32_e32 v12, 4, v42
	s_delay_alu instid0(VALU_DEP_1)
	v_lshl_add_u64 v[52:53], v[12:13], 3, s[10:11]
	global_load_b128 v[42:45], v[50:51], off
	global_load_b128 v[46:49], v[52:53], off
	s_wait_xcnt 0x1
	v_lshl_add_u64 v[50:51], v[10:11], 3, s[8:9]
	v_add_nc_u32_e32 v10, 48, v10
	global_load_b128 v[50:53], v[50:51], off
	s_wait_loadcnt 0x6
	v_fmac_f64_e32 v[0:1], v[22:23], v[26:27]
	v_fmac_f64_e32 v[8:9], v[24:25], v[26:27]
	s_delay_alu instid0(VALU_DEP_2) | instskip(NEXT) | instid1(VALU_DEP_2)
	v_fmac_f64_e32 v[0:1], v[18:19], v[28:29]
	v_fmac_f64_e32 v[8:9], v[20:21], v[28:29]
	s_wait_loadcnt 0x4
	s_delay_alu instid0(VALU_DEP_2) | instskip(NEXT) | instid1(VALU_DEP_2)
	v_fmac_f64_e32 v[0:1], v[30:31], v[34:35]
	v_fmac_f64_e32 v[8:9], v[32:33], v[34:35]
	s_wait_loadcnt 0x3
	;; [unrolled: 4-line block ×4, first 2 shown]
	s_delay_alu instid0(VALU_DEP_2) | instskip(NEXT) | instid1(VALU_DEP_2)
	v_fmac_f64_e32 v[0:1], v[50:51], v[48:49]
	v_fmac_f64_e32 v[8:9], v[52:53], v[48:49]
	s_and_not1_b32 exec_lo, exec_lo, s4
	s_cbranch_execnz .LBB96_9
; %bb.10:
	s_or_b32 exec_lo, exec_lo, s4
.LBB96_11:
	s_delay_alu instid0(SALU_CYCLE_1)
	s_or_b32 exec_lo, exec_lo, s3
	s_cbranch_execz .LBB96_13
	s_branch .LBB96_18
.LBB96_12:
                                        ; implicit-def: $vgpr0_vgpr1
                                        ; implicit-def: $vgpr8_vgpr9
.LBB96_13:
	v_mov_b64_e32 v[0:1], 0
	v_mov_b64_e32 v[8:9], 0
	s_and_saveexec_b32 s3, s2
	s_cbranch_execz .LBB96_17
; %bb.14:
	v_mad_u32 v12, v15, 12, 11
	v_mov_b64_e32 v[0:1], 0
	v_mov_b64_e32 v[8:9], 0
	v_mov_b32_e32 v11, 0
	s_mov_b32 s2, 0
.LBB96_15:                              ; =>This Inner Loop Header: Depth=1
	global_load_b32 v10, v15, s[6:7] scale_offset
	v_dual_add_nc_u32 v13, -5, v12 :: v_dual_mov_b32 v33, v11
	s_wait_xcnt 0x0
	v_dual_add_nc_u32 v15, 4, v15 :: v_dual_add_nc_u32 v50, -1, v12
	s_delay_alu instid0(VALU_DEP_1) | instskip(SKIP_3) | instid1(VALU_DEP_1)
	v_cmp_ge_i32_e32 vcc_lo, v15, v14
	s_or_b32 s2, vcc_lo, s2
	s_wait_loadcnt 0x0
	v_subrev_nc_u32_e32 v10, s12, v10
	v_mul_lo_u32 v32, v10, 6
	v_add_nc_u32_e32 v10, -11, v12
	s_delay_alu instid0(VALU_DEP_1) | instskip(SKIP_1) | instid1(VALU_DEP_4)
	v_lshl_add_u64 v[34:35], v[10:11], 3, s[8:9]
	v_add_nc_u32_e32 v10, -4, v12
	v_lshl_add_u64 v[24:25], v[32:33], 3, s[10:11]
	s_clause 0x1
	global_load_b128 v[16:19], v[34:35], off
	global_load_b64 v[36:37], v13, s[8:9] scale_offset
	global_load_b128 v[20:23], v[24:25], off
	global_load_b64 v[38:39], v10, s[8:9] scale_offset
	s_wait_xcnt 0x0
	v_add_nc_u32_e32 v10, 2, v32
	v_add_nc_u32_e32 v13, -3, v12
	s_delay_alu instid0(VALU_DEP_2)
	v_lshl_add_u64 v[40:41], v[10:11], 3, s[10:11]
	v_add_nc_u32_e32 v10, -2, v12
	s_clause 0x1
	global_load_b64 v[42:43], v13, s[8:9] scale_offset
	global_load_b128 v[24:27], v[34:35], off offset:16
	global_load_b128 v[28:31], v[40:41], off
	s_wait_xcnt 0x2
	v_add_nc_u32_e32 v13, -7, v12
	global_load_b64 v[40:41], v10, s[8:9] scale_offset
	s_wait_xcnt 0x0
	v_add_nc_u32_e32 v10, 4, v32
	s_delay_alu instid0(VALU_DEP_1)
	v_lshl_add_u64 v[44:45], v[10:11], 3, s[10:11]
	s_clause 0x1
	global_load_b64 v[46:47], v13, s[8:9] scale_offset
	global_load_b64 v[48:49], v50, s[8:9] scale_offset
	global_load_b128 v[32:35], v[44:45], off
	v_add_nc_u32_e32 v10, -6, v12
	s_clause 0x1
	global_load_b64 v[44:45], v10, s[8:9] scale_offset
	global_load_b64 v[50:51], v12, s[8:9] scale_offset
	s_wait_xcnt 0x0
	v_add_nc_u32_e32 v12, 48, v12
	s_wait_loadcnt 0xa
	v_fmac_f64_e32 v[0:1], v[16:17], v[20:21]
	v_fmac_f64_e32 v[8:9], v[36:37], v[20:21]
	s_delay_alu instid0(VALU_DEP_2) | instskip(SKIP_1) | instid1(VALU_DEP_2)
	v_fmac_f64_e32 v[0:1], v[18:19], v[22:23]
	s_wait_loadcnt 0x9
	v_fmac_f64_e32 v[8:9], v[38:39], v[22:23]
	s_wait_loadcnt 0x6
	s_delay_alu instid0(VALU_DEP_2) | instskip(NEXT) | instid1(VALU_DEP_2)
	v_fmac_f64_e32 v[0:1], v[24:25], v[28:29]
	v_fmac_f64_e32 v[8:9], v[42:43], v[28:29]
	s_delay_alu instid0(VALU_DEP_2) | instskip(SKIP_1) | instid1(VALU_DEP_2)
	v_fmac_f64_e32 v[0:1], v[26:27], v[30:31]
	s_wait_loadcnt 0x5
	v_fmac_f64_e32 v[8:9], v[40:41], v[30:31]
	s_wait_loadcnt 0x2
	s_delay_alu instid0(VALU_DEP_2) | instskip(NEXT) | instid1(VALU_DEP_2)
	v_fmac_f64_e32 v[0:1], v[46:47], v[32:33]
	v_fmac_f64_e32 v[8:9], v[48:49], v[32:33]
	s_wait_loadcnt 0x1
	s_delay_alu instid0(VALU_DEP_2) | instskip(SKIP_1) | instid1(VALU_DEP_2)
	v_fmac_f64_e32 v[0:1], v[44:45], v[34:35]
	s_wait_loadcnt 0x0
	v_fmac_f64_e32 v[8:9], v[50:51], v[34:35]
	s_and_not1_b32 exec_lo, exec_lo, s2
	s_cbranch_execnz .LBB96_15
; %bb.16:
	s_or_b32 exec_lo, exec_lo, s2
.LBB96_17:
	s_delay_alu instid0(SALU_CYCLE_1)
	s_or_b32 exec_lo, exec_lo, s3
.LBB96_18:
	v_mbcnt_lo_u32_b32 v14, -1, 0
	s_delay_alu instid0(VALU_DEP_1) | instskip(NEXT) | instid1(VALU_DEP_1)
	v_xor_b32_e32 v10, 2, v14
	v_cmp_gt_i32_e32 vcc_lo, 32, v10
	v_cndmask_b32_e32 v10, v14, v10, vcc_lo
	s_delay_alu instid0(VALU_DEP_1)
	v_lshlrev_b32_e32 v13, 2, v10
	ds_bpermute_b32 v10, v13, v0
	ds_bpermute_b32 v11, v13, v1
	;; [unrolled: 1-line block ×4, first 2 shown]
	s_wait_dscnt 0x2
	v_add_f64_e32 v[0:1], v[0:1], v[10:11]
	s_wait_dscnt 0x0
	v_dual_add_f64 v[10:11], v[8:9], v[12:13] :: v_dual_bitop2_b32 v8, 1, v14 bitop3:0x14
	s_delay_alu instid0(VALU_DEP_1) | instskip(SKIP_2) | instid1(VALU_DEP_2)
	v_cmp_gt_i32_e32 vcc_lo, 32, v8
	v_cndmask_b32_e32 v8, v14, v8, vcc_lo
	v_cmp_eq_u32_e32 vcc_lo, 3, v7
	v_lshlrev_b32_e32 v13, 2, v8
	ds_bpermute_b32 v8, v13, v0
	ds_bpermute_b32 v9, v13, v1
	;; [unrolled: 1-line block ×4, first 2 shown]
	s_and_b32 exec_lo, exec_lo, vcc_lo
	s_cbranch_execz .LBB96_23
; %bb.19:
	s_wait_dscnt 0x2
	v_add_f64_e32 v[8:9], v[0:1], v[8:9]
	s_wait_dscnt 0x0
	v_add_f64_e32 v[0:1], v[10:11], v[12:13]
	s_load_b64 s[0:1], s[0:1], 0x38
	s_mov_b32 s2, exec_lo
	v_cmpx_eq_f64_e32 0, v[4:5]
	s_xor_b32 s2, exec_lo, s2
	s_cbranch_execz .LBB96_21
; %bb.20:
	s_delay_alu instid0(VALU_DEP_3) | instskip(NEXT) | instid1(VALU_DEP_3)
	v_mul_f64_e32 v[8:9], v[2:3], v[8:9]
	v_dual_mul_f64 v[10:11], v[2:3], v[0:1] :: v_dual_lshlrev_b32 v0, 1, v6
                                        ; implicit-def: $vgpr6
                                        ; implicit-def: $vgpr2_vgpr3
                                        ; implicit-def: $vgpr4_vgpr5
	s_delay_alu instid0(VALU_DEP_1) | instskip(SKIP_1) | instid1(VALU_DEP_1)
	v_ashrrev_i32_e32 v1, 31, v0
	s_wait_kmcnt 0x0
	v_lshl_add_u64 v[0:1], v[0:1], 3, s[0:1]
	global_store_b128 v[0:1], v[8:11], off
                                        ; implicit-def: $vgpr8_vgpr9
                                        ; implicit-def: $vgpr0_vgpr1
.LBB96_21:
	s_wait_xcnt 0x0
	s_and_not1_saveexec_b32 s2, s2
	s_cbranch_execz .LBB96_23
; %bb.22:
	v_lshlrev_b32_e32 v6, 1, v6
	s_delay_alu instid0(VALU_DEP_1) | instskip(SKIP_1) | instid1(VALU_DEP_1)
	v_ashrrev_i32_e32 v7, 31, v6
	s_wait_kmcnt 0x0
	v_lshl_add_u64 v[14:15], v[6:7], 3, s[0:1]
	v_mul_f64_e32 v[6:7], v[2:3], v[8:9]
	v_mul_f64_e32 v[8:9], v[2:3], v[0:1]
	global_load_b128 v[10:13], v[14:15], off
	s_wait_loadcnt 0x0
	v_fmac_f64_e32 v[6:7], v[4:5], v[10:11]
	v_fmac_f64_e32 v[8:9], v[4:5], v[12:13]
	global_store_b128 v[14:15], v[6:9], off
.LBB96_23:
	s_endpgm
	.section	.rodata,"a",@progbits
	.p2align	6, 0x0
	.amdhsa_kernel _ZN9rocsparseL19gebsrmvn_2xn_kernelILj128ELj6ELj4EdEEvi20rocsparse_direction_NS_24const_host_device_scalarIT2_EEPKiS6_PKS3_S8_S4_PS3_21rocsparse_index_base_b
		.amdhsa_group_segment_fixed_size 0
		.amdhsa_private_segment_fixed_size 0
		.amdhsa_kernarg_size 72
		.amdhsa_user_sgpr_count 2
		.amdhsa_user_sgpr_dispatch_ptr 0
		.amdhsa_user_sgpr_queue_ptr 0
		.amdhsa_user_sgpr_kernarg_segment_ptr 1
		.amdhsa_user_sgpr_dispatch_id 0
		.amdhsa_user_sgpr_kernarg_preload_length 0
		.amdhsa_user_sgpr_kernarg_preload_offset 0
		.amdhsa_user_sgpr_private_segment_size 0
		.amdhsa_wavefront_size32 1
		.amdhsa_uses_dynamic_stack 0
		.amdhsa_enable_private_segment 0
		.amdhsa_system_sgpr_workgroup_id_x 1
		.amdhsa_system_sgpr_workgroup_id_y 0
		.amdhsa_system_sgpr_workgroup_id_z 0
		.amdhsa_system_sgpr_workgroup_info 0
		.amdhsa_system_vgpr_workitem_id 0
		.amdhsa_next_free_vgpr 54
		.amdhsa_next_free_sgpr 14
		.amdhsa_named_barrier_count 0
		.amdhsa_reserve_vcc 1
		.amdhsa_float_round_mode_32 0
		.amdhsa_float_round_mode_16_64 0
		.amdhsa_float_denorm_mode_32 3
		.amdhsa_float_denorm_mode_16_64 3
		.amdhsa_fp16_overflow 0
		.amdhsa_memory_ordered 1
		.amdhsa_forward_progress 1
		.amdhsa_inst_pref_size 13
		.amdhsa_round_robin_scheduling 0
		.amdhsa_exception_fp_ieee_invalid_op 0
		.amdhsa_exception_fp_denorm_src 0
		.amdhsa_exception_fp_ieee_div_zero 0
		.amdhsa_exception_fp_ieee_overflow 0
		.amdhsa_exception_fp_ieee_underflow 0
		.amdhsa_exception_fp_ieee_inexact 0
		.amdhsa_exception_int_div_zero 0
	.end_amdhsa_kernel
	.section	.text._ZN9rocsparseL19gebsrmvn_2xn_kernelILj128ELj6ELj4EdEEvi20rocsparse_direction_NS_24const_host_device_scalarIT2_EEPKiS6_PKS3_S8_S4_PS3_21rocsparse_index_base_b,"axG",@progbits,_ZN9rocsparseL19gebsrmvn_2xn_kernelILj128ELj6ELj4EdEEvi20rocsparse_direction_NS_24const_host_device_scalarIT2_EEPKiS6_PKS3_S8_S4_PS3_21rocsparse_index_base_b,comdat
.Lfunc_end96:
	.size	_ZN9rocsparseL19gebsrmvn_2xn_kernelILj128ELj6ELj4EdEEvi20rocsparse_direction_NS_24const_host_device_scalarIT2_EEPKiS6_PKS3_S8_S4_PS3_21rocsparse_index_base_b, .Lfunc_end96-_ZN9rocsparseL19gebsrmvn_2xn_kernelILj128ELj6ELj4EdEEvi20rocsparse_direction_NS_24const_host_device_scalarIT2_EEPKiS6_PKS3_S8_S4_PS3_21rocsparse_index_base_b
                                        ; -- End function
	.set _ZN9rocsparseL19gebsrmvn_2xn_kernelILj128ELj6ELj4EdEEvi20rocsparse_direction_NS_24const_host_device_scalarIT2_EEPKiS6_PKS3_S8_S4_PS3_21rocsparse_index_base_b.num_vgpr, 54
	.set _ZN9rocsparseL19gebsrmvn_2xn_kernelILj128ELj6ELj4EdEEvi20rocsparse_direction_NS_24const_host_device_scalarIT2_EEPKiS6_PKS3_S8_S4_PS3_21rocsparse_index_base_b.num_agpr, 0
	.set _ZN9rocsparseL19gebsrmvn_2xn_kernelILj128ELj6ELj4EdEEvi20rocsparse_direction_NS_24const_host_device_scalarIT2_EEPKiS6_PKS3_S8_S4_PS3_21rocsparse_index_base_b.numbered_sgpr, 14
	.set _ZN9rocsparseL19gebsrmvn_2xn_kernelILj128ELj6ELj4EdEEvi20rocsparse_direction_NS_24const_host_device_scalarIT2_EEPKiS6_PKS3_S8_S4_PS3_21rocsparse_index_base_b.num_named_barrier, 0
	.set _ZN9rocsparseL19gebsrmvn_2xn_kernelILj128ELj6ELj4EdEEvi20rocsparse_direction_NS_24const_host_device_scalarIT2_EEPKiS6_PKS3_S8_S4_PS3_21rocsparse_index_base_b.private_seg_size, 0
	.set _ZN9rocsparseL19gebsrmvn_2xn_kernelILj128ELj6ELj4EdEEvi20rocsparse_direction_NS_24const_host_device_scalarIT2_EEPKiS6_PKS3_S8_S4_PS3_21rocsparse_index_base_b.uses_vcc, 1
	.set _ZN9rocsparseL19gebsrmvn_2xn_kernelILj128ELj6ELj4EdEEvi20rocsparse_direction_NS_24const_host_device_scalarIT2_EEPKiS6_PKS3_S8_S4_PS3_21rocsparse_index_base_b.uses_flat_scratch, 0
	.set _ZN9rocsparseL19gebsrmvn_2xn_kernelILj128ELj6ELj4EdEEvi20rocsparse_direction_NS_24const_host_device_scalarIT2_EEPKiS6_PKS3_S8_S4_PS3_21rocsparse_index_base_b.has_dyn_sized_stack, 0
	.set _ZN9rocsparseL19gebsrmvn_2xn_kernelILj128ELj6ELj4EdEEvi20rocsparse_direction_NS_24const_host_device_scalarIT2_EEPKiS6_PKS3_S8_S4_PS3_21rocsparse_index_base_b.has_recursion, 0
	.set _ZN9rocsparseL19gebsrmvn_2xn_kernelILj128ELj6ELj4EdEEvi20rocsparse_direction_NS_24const_host_device_scalarIT2_EEPKiS6_PKS3_S8_S4_PS3_21rocsparse_index_base_b.has_indirect_call, 0
	.section	.AMDGPU.csdata,"",@progbits
; Kernel info:
; codeLenInByte = 1556
; TotalNumSgprs: 16
; NumVgprs: 54
; ScratchSize: 0
; MemoryBound: 0
; FloatMode: 240
; IeeeMode: 1
; LDSByteSize: 0 bytes/workgroup (compile time only)
; SGPRBlocks: 0
; VGPRBlocks: 3
; NumSGPRsForWavesPerEU: 16
; NumVGPRsForWavesPerEU: 54
; NamedBarCnt: 0
; Occupancy: 16
; WaveLimiterHint : 1
; COMPUTE_PGM_RSRC2:SCRATCH_EN: 0
; COMPUTE_PGM_RSRC2:USER_SGPR: 2
; COMPUTE_PGM_RSRC2:TRAP_HANDLER: 0
; COMPUTE_PGM_RSRC2:TGID_X_EN: 1
; COMPUTE_PGM_RSRC2:TGID_Y_EN: 0
; COMPUTE_PGM_RSRC2:TGID_Z_EN: 0
; COMPUTE_PGM_RSRC2:TIDIG_COMP_CNT: 0
	.section	.text._ZN9rocsparseL19gebsrmvn_2xn_kernelILj128ELj6ELj8EdEEvi20rocsparse_direction_NS_24const_host_device_scalarIT2_EEPKiS6_PKS3_S8_S4_PS3_21rocsparse_index_base_b,"axG",@progbits,_ZN9rocsparseL19gebsrmvn_2xn_kernelILj128ELj6ELj8EdEEvi20rocsparse_direction_NS_24const_host_device_scalarIT2_EEPKiS6_PKS3_S8_S4_PS3_21rocsparse_index_base_b,comdat
	.globl	_ZN9rocsparseL19gebsrmvn_2xn_kernelILj128ELj6ELj8EdEEvi20rocsparse_direction_NS_24const_host_device_scalarIT2_EEPKiS6_PKS3_S8_S4_PS3_21rocsparse_index_base_b ; -- Begin function _ZN9rocsparseL19gebsrmvn_2xn_kernelILj128ELj6ELj8EdEEvi20rocsparse_direction_NS_24const_host_device_scalarIT2_EEPKiS6_PKS3_S8_S4_PS3_21rocsparse_index_base_b
	.p2align	8
	.type	_ZN9rocsparseL19gebsrmvn_2xn_kernelILj128ELj6ELj8EdEEvi20rocsparse_direction_NS_24const_host_device_scalarIT2_EEPKiS6_PKS3_S8_S4_PS3_21rocsparse_index_base_b,@function
_ZN9rocsparseL19gebsrmvn_2xn_kernelILj128ELj6ELj8EdEEvi20rocsparse_direction_NS_24const_host_device_scalarIT2_EEPKiS6_PKS3_S8_S4_PS3_21rocsparse_index_base_b: ; @_ZN9rocsparseL19gebsrmvn_2xn_kernelILj128ELj6ELj8EdEEvi20rocsparse_direction_NS_24const_host_device_scalarIT2_EEPKiS6_PKS3_S8_S4_PS3_21rocsparse_index_base_b
; %bb.0:
	s_clause 0x2
	s_load_b64 s[12:13], s[0:1], 0x40
	s_load_b64 s[4:5], s[0:1], 0x8
	;; [unrolled: 1-line block ×3, first 2 shown]
	s_wait_kmcnt 0x0
	s_bitcmp1_b32 s13, 0
	v_mov_b64_e32 v[2:3], s[4:5]
	s_cselect_b32 s6, -1, 0
	s_delay_alu instid0(SALU_CYCLE_1)
	s_and_b32 vcc_lo, exec_lo, s6
	s_xor_b32 s6, s6, -1
	s_cbranch_vccnz .LBB97_2
; %bb.1:
	v_mov_b32_e32 v1, 0
	flat_load_b64 v[2:3], v1, s[4:5]
.LBB97_2:
	v_mov_b64_e32 v[4:5], s[2:3]
	s_and_not1_b32 vcc_lo, exec_lo, s6
	s_cbranch_vccnz .LBB97_4
; %bb.3:
	s_wait_xcnt 0x0
	v_mov_b32_e32 v1, 0
	flat_load_b64 v[4:5], v1, s[2:3]
.LBB97_4:
	s_wait_loadcnt_dscnt 0x0
	v_cmp_neq_f64_e32 vcc_lo, 0, v[2:3]
	s_delay_alu instid0(VALU_DEP_2) | instskip(SKIP_1) | instid1(SALU_CYCLE_1)
	v_cmp_neq_f64_e64 s2, 1.0, v[4:5]
	s_or_b32 s2, vcc_lo, s2
	s_and_saveexec_b32 s3, s2
	s_cbranch_execz .LBB97_23
; %bb.5:
	s_load_b64 s[2:3], s[0:1], 0x0
	s_bfe_u32 s4, ttmp6, 0x4000c
	s_and_b32 s5, ttmp6, 15
	s_add_co_i32 s4, s4, 1
	s_getreg_b32 s6, hwreg(HW_REG_IB_STS2, 6, 4)
	s_mul_i32 s4, ttmp9, s4
	v_lshrrev_b32_e32 v1, 3, v0
	s_add_co_i32 s5, s5, s4
	s_cmp_eq_u32 s6, 0
	s_cselect_b32 s4, ttmp9, s5
	s_delay_alu instid0(VALU_DEP_1) | instid1(SALU_CYCLE_1)
	v_lshl_or_b32 v6, s4, 4, v1
	s_wait_kmcnt 0x0
	s_delay_alu instid0(VALU_DEP_1)
	v_cmp_gt_i32_e32 vcc_lo, s2, v6
	s_and_b32 exec_lo, exec_lo, vcc_lo
	s_cbranch_execz .LBB97_23
; %bb.6:
	s_load_b256 s[4:11], s[0:1], 0x10
	v_ashrrev_i32_e32 v7, 31, v6
	s_cmp_lg_u32 s3, 0
	s_wait_kmcnt 0x0
	s_delay_alu instid0(VALU_DEP_1)
	v_lshl_add_u64 v[8:9], v[6:7], 2, s[4:5]
	v_and_b32_e32 v7, 7, v0
	global_load_b64 v[8:9], v[8:9], off
	s_wait_loadcnt 0x0
	v_subrev_nc_u32_e32 v0, s12, v8
	v_subrev_nc_u32_e32 v14, s12, v9
	s_delay_alu instid0(VALU_DEP_2) | instskip(NEXT) | instid1(VALU_DEP_1)
	v_add_nc_u32_e32 v15, v0, v7
	v_cmp_lt_i32_e64 s2, v15, v14
	s_cbranch_scc0 .LBB97_12
; %bb.7:
	v_mov_b64_e32 v[0:1], 0
	v_mov_b64_e32 v[8:9], 0
	s_and_saveexec_b32 s3, s2
	s_cbranch_execz .LBB97_11
; %bb.8:
	v_mad_u32 v10, v15, 12, 10
	v_mov_b64_e32 v[0:1], 0
	v_mov_b64_e32 v[8:9], 0
	v_dual_mov_b32 v13, 0 :: v_dual_mov_b32 v16, v15
	s_mov_b32 s4, 0
.LBB97_9:                               ; =>This Inner Loop Header: Depth=1
	global_load_b32 v11, v16, s[6:7] scale_offset
	v_dual_mov_b32 v43, v13 :: v_dual_add_nc_u32 v12, -10, v10
	s_wait_xcnt 0x0
	v_add_nc_u32_e32 v16, 8, v16
	s_delay_alu instid0(VALU_DEP_2) | instskip(SKIP_1) | instid1(VALU_DEP_3)
	v_lshl_add_u64 v[30:31], v[12:13], 3, s[8:9]
	v_add_nc_u32_e32 v12, -6, v10
	v_cmp_ge_i32_e32 vcc_lo, v16, v14
	s_or_b32 s4, vcc_lo, s4
	s_wait_loadcnt 0x0
	v_subrev_nc_u32_e32 v11, s12, v11
	s_delay_alu instid0(VALU_DEP_1) | instskip(SKIP_2) | instid1(VALU_DEP_3)
	v_mul_lo_u32 v42, v11, 6
	v_mov_b32_e32 v11, v13
	v_lshl_add_u64 v[38:39], v[12:13], 3, s[8:9]
	v_lshl_add_u64 v[32:33], v[42:43], 3, s[10:11]
	s_clause 0x1
	global_load_b128 v[18:21], v[30:31], off offset:16
	global_load_b128 v[22:25], v[30:31], off
	global_load_b128 v[26:29], v[32:33], off
	v_add_nc_u32_e32 v12, 2, v42
	s_delay_alu instid0(VALU_DEP_1) | instskip(SKIP_4) | instid1(VALU_DEP_1)
	v_lshl_add_u64 v[40:41], v[12:13], 3, s[10:11]
	global_load_b128 v[30:33], v[38:39], off
	global_load_b128 v[34:37], v[40:41], off
	v_add_nc_u32_e32 v12, -4, v10
	s_wait_xcnt 0x1
	v_lshl_add_u64 v[38:39], v[12:13], 3, s[8:9]
	v_add_nc_u32_e32 v12, -2, v10
	global_load_b128 v[38:41], v[38:39], off
	v_lshl_add_u64 v[50:51], v[12:13], 3, s[8:9]
	v_add_nc_u32_e32 v12, 4, v42
	s_delay_alu instid0(VALU_DEP_1)
	v_lshl_add_u64 v[52:53], v[12:13], 3, s[10:11]
	global_load_b128 v[42:45], v[50:51], off
	global_load_b128 v[46:49], v[52:53], off
	s_wait_xcnt 0x1
	v_lshl_add_u64 v[50:51], v[10:11], 3, s[8:9]
	v_add_nc_u32_e32 v10, 0x60, v10
	global_load_b128 v[50:53], v[50:51], off
	s_wait_loadcnt 0x6
	v_fmac_f64_e32 v[0:1], v[22:23], v[26:27]
	v_fmac_f64_e32 v[8:9], v[24:25], v[26:27]
	s_delay_alu instid0(VALU_DEP_2) | instskip(NEXT) | instid1(VALU_DEP_2)
	v_fmac_f64_e32 v[0:1], v[18:19], v[28:29]
	v_fmac_f64_e32 v[8:9], v[20:21], v[28:29]
	s_wait_loadcnt 0x4
	s_delay_alu instid0(VALU_DEP_2) | instskip(NEXT) | instid1(VALU_DEP_2)
	v_fmac_f64_e32 v[0:1], v[30:31], v[34:35]
	v_fmac_f64_e32 v[8:9], v[32:33], v[34:35]
	s_wait_loadcnt 0x3
	;; [unrolled: 4-line block ×4, first 2 shown]
	s_delay_alu instid0(VALU_DEP_2) | instskip(NEXT) | instid1(VALU_DEP_2)
	v_fmac_f64_e32 v[0:1], v[50:51], v[48:49]
	v_fmac_f64_e32 v[8:9], v[52:53], v[48:49]
	s_and_not1_b32 exec_lo, exec_lo, s4
	s_cbranch_execnz .LBB97_9
; %bb.10:
	s_or_b32 exec_lo, exec_lo, s4
.LBB97_11:
	s_delay_alu instid0(SALU_CYCLE_1)
	s_or_b32 exec_lo, exec_lo, s3
	s_cbranch_execz .LBB97_13
	s_branch .LBB97_18
.LBB97_12:
                                        ; implicit-def: $vgpr0_vgpr1
                                        ; implicit-def: $vgpr8_vgpr9
.LBB97_13:
	v_mov_b64_e32 v[0:1], 0
	v_mov_b64_e32 v[8:9], 0
	s_and_saveexec_b32 s3, s2
	s_cbranch_execz .LBB97_17
; %bb.14:
	v_mad_u32 v12, v15, 12, 11
	v_mov_b64_e32 v[0:1], 0
	v_mov_b64_e32 v[8:9], 0
	v_mov_b32_e32 v11, 0
	s_mov_b32 s2, 0
.LBB97_15:                              ; =>This Inner Loop Header: Depth=1
	global_load_b32 v10, v15, s[6:7] scale_offset
	v_dual_add_nc_u32 v13, -5, v12 :: v_dual_mov_b32 v33, v11
	s_wait_xcnt 0x0
	v_dual_add_nc_u32 v15, 8, v15 :: v_dual_add_nc_u32 v50, -1, v12
	s_delay_alu instid0(VALU_DEP_1) | instskip(SKIP_3) | instid1(VALU_DEP_1)
	v_cmp_ge_i32_e32 vcc_lo, v15, v14
	s_or_b32 s2, vcc_lo, s2
	s_wait_loadcnt 0x0
	v_subrev_nc_u32_e32 v10, s12, v10
	v_mul_lo_u32 v32, v10, 6
	v_add_nc_u32_e32 v10, -11, v12
	s_delay_alu instid0(VALU_DEP_1) | instskip(SKIP_1) | instid1(VALU_DEP_4)
	v_lshl_add_u64 v[34:35], v[10:11], 3, s[8:9]
	v_add_nc_u32_e32 v10, -4, v12
	v_lshl_add_u64 v[24:25], v[32:33], 3, s[10:11]
	s_clause 0x1
	global_load_b128 v[16:19], v[34:35], off
	global_load_b64 v[36:37], v13, s[8:9] scale_offset
	global_load_b128 v[20:23], v[24:25], off
	global_load_b64 v[38:39], v10, s[8:9] scale_offset
	s_wait_xcnt 0x0
	v_add_nc_u32_e32 v10, 2, v32
	v_add_nc_u32_e32 v13, -3, v12
	s_delay_alu instid0(VALU_DEP_2)
	v_lshl_add_u64 v[40:41], v[10:11], 3, s[10:11]
	v_add_nc_u32_e32 v10, -2, v12
	s_clause 0x1
	global_load_b64 v[42:43], v13, s[8:9] scale_offset
	global_load_b128 v[24:27], v[34:35], off offset:16
	global_load_b128 v[28:31], v[40:41], off
	s_wait_xcnt 0x2
	v_add_nc_u32_e32 v13, -7, v12
	global_load_b64 v[40:41], v10, s[8:9] scale_offset
	s_wait_xcnt 0x0
	v_add_nc_u32_e32 v10, 4, v32
	s_delay_alu instid0(VALU_DEP_1)
	v_lshl_add_u64 v[44:45], v[10:11], 3, s[10:11]
	s_clause 0x1
	global_load_b64 v[46:47], v13, s[8:9] scale_offset
	global_load_b64 v[48:49], v50, s[8:9] scale_offset
	global_load_b128 v[32:35], v[44:45], off
	v_add_nc_u32_e32 v10, -6, v12
	s_clause 0x1
	global_load_b64 v[44:45], v10, s[8:9] scale_offset
	global_load_b64 v[50:51], v12, s[8:9] scale_offset
	s_wait_xcnt 0x0
	v_add_nc_u32_e32 v12, 0x60, v12
	s_wait_loadcnt 0xa
	v_fmac_f64_e32 v[0:1], v[16:17], v[20:21]
	v_fmac_f64_e32 v[8:9], v[36:37], v[20:21]
	s_delay_alu instid0(VALU_DEP_2) | instskip(SKIP_1) | instid1(VALU_DEP_2)
	v_fmac_f64_e32 v[0:1], v[18:19], v[22:23]
	s_wait_loadcnt 0x9
	v_fmac_f64_e32 v[8:9], v[38:39], v[22:23]
	s_wait_loadcnt 0x6
	s_delay_alu instid0(VALU_DEP_2) | instskip(NEXT) | instid1(VALU_DEP_2)
	v_fmac_f64_e32 v[0:1], v[24:25], v[28:29]
	v_fmac_f64_e32 v[8:9], v[42:43], v[28:29]
	s_delay_alu instid0(VALU_DEP_2) | instskip(SKIP_1) | instid1(VALU_DEP_2)
	v_fmac_f64_e32 v[0:1], v[26:27], v[30:31]
	s_wait_loadcnt 0x5
	v_fmac_f64_e32 v[8:9], v[40:41], v[30:31]
	s_wait_loadcnt 0x2
	s_delay_alu instid0(VALU_DEP_2) | instskip(NEXT) | instid1(VALU_DEP_2)
	v_fmac_f64_e32 v[0:1], v[46:47], v[32:33]
	v_fmac_f64_e32 v[8:9], v[48:49], v[32:33]
	s_wait_loadcnt 0x1
	s_delay_alu instid0(VALU_DEP_2) | instskip(SKIP_1) | instid1(VALU_DEP_2)
	v_fmac_f64_e32 v[0:1], v[44:45], v[34:35]
	s_wait_loadcnt 0x0
	v_fmac_f64_e32 v[8:9], v[50:51], v[34:35]
	s_and_not1_b32 exec_lo, exec_lo, s2
	s_cbranch_execnz .LBB97_15
; %bb.16:
	s_or_b32 exec_lo, exec_lo, s2
.LBB97_17:
	s_delay_alu instid0(SALU_CYCLE_1)
	s_or_b32 exec_lo, exec_lo, s3
.LBB97_18:
	v_mbcnt_lo_u32_b32 v14, -1, 0
	s_delay_alu instid0(VALU_DEP_1) | instskip(NEXT) | instid1(VALU_DEP_1)
	v_xor_b32_e32 v10, 4, v14
	v_cmp_gt_i32_e32 vcc_lo, 32, v10
	v_cndmask_b32_e32 v10, v14, v10, vcc_lo
	s_delay_alu instid0(VALU_DEP_1)
	v_lshlrev_b32_e32 v13, 2, v10
	ds_bpermute_b32 v10, v13, v0
	ds_bpermute_b32 v11, v13, v1
	s_wait_dscnt 0x0
	v_add_f64_e32 v[0:1], v[0:1], v[10:11]
	v_xor_b32_e32 v10, 2, v14
	s_delay_alu instid0(VALU_DEP_1)
	v_cmp_gt_i32_e32 vcc_lo, 32, v10
	v_cndmask_b32_e32 v10, v14, v10, vcc_lo
	ds_bpermute_b32 v12, v13, v8
	ds_bpermute_b32 v13, v13, v9
	s_wait_dscnt 0x0
	v_dual_add_f64 v[8:9], v[8:9], v[12:13] :: v_dual_lshlrev_b32 v13, 2, v10
	ds_bpermute_b32 v10, v13, v0
	ds_bpermute_b32 v11, v13, v1
	s_wait_dscnt 0x0
	v_add_f64_e32 v[0:1], v[0:1], v[10:11]
	ds_bpermute_b32 v12, v13, v8
	ds_bpermute_b32 v13, v13, v9
	s_wait_dscnt 0x0
	v_dual_add_f64 v[10:11], v[8:9], v[12:13] :: v_dual_bitop2_b32 v8, 1, v14 bitop3:0x14
	s_delay_alu instid0(VALU_DEP_1) | instskip(SKIP_2) | instid1(VALU_DEP_2)
	v_cmp_gt_i32_e32 vcc_lo, 32, v8
	v_cndmask_b32_e32 v8, v14, v8, vcc_lo
	v_cmp_eq_u32_e32 vcc_lo, 7, v7
	v_lshlrev_b32_e32 v13, 2, v8
	ds_bpermute_b32 v8, v13, v0
	ds_bpermute_b32 v9, v13, v1
	;; [unrolled: 1-line block ×4, first 2 shown]
	s_and_b32 exec_lo, exec_lo, vcc_lo
	s_cbranch_execz .LBB97_23
; %bb.19:
	s_wait_dscnt 0x2
	v_add_f64_e32 v[8:9], v[0:1], v[8:9]
	s_wait_dscnt 0x0
	v_add_f64_e32 v[0:1], v[10:11], v[12:13]
	s_load_b64 s[0:1], s[0:1], 0x38
	s_mov_b32 s2, exec_lo
	v_cmpx_eq_f64_e32 0, v[4:5]
	s_xor_b32 s2, exec_lo, s2
	s_cbranch_execz .LBB97_21
; %bb.20:
	s_delay_alu instid0(VALU_DEP_3) | instskip(NEXT) | instid1(VALU_DEP_3)
	v_mul_f64_e32 v[8:9], v[2:3], v[8:9]
	v_dual_mul_f64 v[10:11], v[2:3], v[0:1] :: v_dual_lshlrev_b32 v0, 1, v6
                                        ; implicit-def: $vgpr6
                                        ; implicit-def: $vgpr2_vgpr3
                                        ; implicit-def: $vgpr4_vgpr5
	s_delay_alu instid0(VALU_DEP_1) | instskip(SKIP_1) | instid1(VALU_DEP_1)
	v_ashrrev_i32_e32 v1, 31, v0
	s_wait_kmcnt 0x0
	v_lshl_add_u64 v[0:1], v[0:1], 3, s[0:1]
	global_store_b128 v[0:1], v[8:11], off
                                        ; implicit-def: $vgpr8_vgpr9
                                        ; implicit-def: $vgpr0_vgpr1
.LBB97_21:
	s_wait_xcnt 0x0
	s_and_not1_saveexec_b32 s2, s2
	s_cbranch_execz .LBB97_23
; %bb.22:
	v_lshlrev_b32_e32 v6, 1, v6
	s_delay_alu instid0(VALU_DEP_1) | instskip(SKIP_1) | instid1(VALU_DEP_1)
	v_ashrrev_i32_e32 v7, 31, v6
	s_wait_kmcnt 0x0
	v_lshl_add_u64 v[14:15], v[6:7], 3, s[0:1]
	v_mul_f64_e32 v[6:7], v[2:3], v[8:9]
	v_mul_f64_e32 v[8:9], v[2:3], v[0:1]
	global_load_b128 v[10:13], v[14:15], off
	s_wait_loadcnt 0x0
	v_fmac_f64_e32 v[6:7], v[4:5], v[10:11]
	v_fmac_f64_e32 v[8:9], v[4:5], v[12:13]
	global_store_b128 v[14:15], v[6:9], off
.LBB97_23:
	s_endpgm
	.section	.rodata,"a",@progbits
	.p2align	6, 0x0
	.amdhsa_kernel _ZN9rocsparseL19gebsrmvn_2xn_kernelILj128ELj6ELj8EdEEvi20rocsparse_direction_NS_24const_host_device_scalarIT2_EEPKiS6_PKS3_S8_S4_PS3_21rocsparse_index_base_b
		.amdhsa_group_segment_fixed_size 0
		.amdhsa_private_segment_fixed_size 0
		.amdhsa_kernarg_size 72
		.amdhsa_user_sgpr_count 2
		.amdhsa_user_sgpr_dispatch_ptr 0
		.amdhsa_user_sgpr_queue_ptr 0
		.amdhsa_user_sgpr_kernarg_segment_ptr 1
		.amdhsa_user_sgpr_dispatch_id 0
		.amdhsa_user_sgpr_kernarg_preload_length 0
		.amdhsa_user_sgpr_kernarg_preload_offset 0
		.amdhsa_user_sgpr_private_segment_size 0
		.amdhsa_wavefront_size32 1
		.amdhsa_uses_dynamic_stack 0
		.amdhsa_enable_private_segment 0
		.amdhsa_system_sgpr_workgroup_id_x 1
		.amdhsa_system_sgpr_workgroup_id_y 0
		.amdhsa_system_sgpr_workgroup_id_z 0
		.amdhsa_system_sgpr_workgroup_info 0
		.amdhsa_system_vgpr_workitem_id 0
		.amdhsa_next_free_vgpr 54
		.amdhsa_next_free_sgpr 14
		.amdhsa_named_barrier_count 0
		.amdhsa_reserve_vcc 1
		.amdhsa_float_round_mode_32 0
		.amdhsa_float_round_mode_16_64 0
		.amdhsa_float_denorm_mode_32 3
		.amdhsa_float_denorm_mode_16_64 3
		.amdhsa_fp16_overflow 0
		.amdhsa_memory_ordered 1
		.amdhsa_forward_progress 1
		.amdhsa_inst_pref_size 13
		.amdhsa_round_robin_scheduling 0
		.amdhsa_exception_fp_ieee_invalid_op 0
		.amdhsa_exception_fp_denorm_src 0
		.amdhsa_exception_fp_ieee_div_zero 0
		.amdhsa_exception_fp_ieee_overflow 0
		.amdhsa_exception_fp_ieee_underflow 0
		.amdhsa_exception_fp_ieee_inexact 0
		.amdhsa_exception_int_div_zero 0
	.end_amdhsa_kernel
	.section	.text._ZN9rocsparseL19gebsrmvn_2xn_kernelILj128ELj6ELj8EdEEvi20rocsparse_direction_NS_24const_host_device_scalarIT2_EEPKiS6_PKS3_S8_S4_PS3_21rocsparse_index_base_b,"axG",@progbits,_ZN9rocsparseL19gebsrmvn_2xn_kernelILj128ELj6ELj8EdEEvi20rocsparse_direction_NS_24const_host_device_scalarIT2_EEPKiS6_PKS3_S8_S4_PS3_21rocsparse_index_base_b,comdat
.Lfunc_end97:
	.size	_ZN9rocsparseL19gebsrmvn_2xn_kernelILj128ELj6ELj8EdEEvi20rocsparse_direction_NS_24const_host_device_scalarIT2_EEPKiS6_PKS3_S8_S4_PS3_21rocsparse_index_base_b, .Lfunc_end97-_ZN9rocsparseL19gebsrmvn_2xn_kernelILj128ELj6ELj8EdEEvi20rocsparse_direction_NS_24const_host_device_scalarIT2_EEPKiS6_PKS3_S8_S4_PS3_21rocsparse_index_base_b
                                        ; -- End function
	.set _ZN9rocsparseL19gebsrmvn_2xn_kernelILj128ELj6ELj8EdEEvi20rocsparse_direction_NS_24const_host_device_scalarIT2_EEPKiS6_PKS3_S8_S4_PS3_21rocsparse_index_base_b.num_vgpr, 54
	.set _ZN9rocsparseL19gebsrmvn_2xn_kernelILj128ELj6ELj8EdEEvi20rocsparse_direction_NS_24const_host_device_scalarIT2_EEPKiS6_PKS3_S8_S4_PS3_21rocsparse_index_base_b.num_agpr, 0
	.set _ZN9rocsparseL19gebsrmvn_2xn_kernelILj128ELj6ELj8EdEEvi20rocsparse_direction_NS_24const_host_device_scalarIT2_EEPKiS6_PKS3_S8_S4_PS3_21rocsparse_index_base_b.numbered_sgpr, 14
	.set _ZN9rocsparseL19gebsrmvn_2xn_kernelILj128ELj6ELj8EdEEvi20rocsparse_direction_NS_24const_host_device_scalarIT2_EEPKiS6_PKS3_S8_S4_PS3_21rocsparse_index_base_b.num_named_barrier, 0
	.set _ZN9rocsparseL19gebsrmvn_2xn_kernelILj128ELj6ELj8EdEEvi20rocsparse_direction_NS_24const_host_device_scalarIT2_EEPKiS6_PKS3_S8_S4_PS3_21rocsparse_index_base_b.private_seg_size, 0
	.set _ZN9rocsparseL19gebsrmvn_2xn_kernelILj128ELj6ELj8EdEEvi20rocsparse_direction_NS_24const_host_device_scalarIT2_EEPKiS6_PKS3_S8_S4_PS3_21rocsparse_index_base_b.uses_vcc, 1
	.set _ZN9rocsparseL19gebsrmvn_2xn_kernelILj128ELj6ELj8EdEEvi20rocsparse_direction_NS_24const_host_device_scalarIT2_EEPKiS6_PKS3_S8_S4_PS3_21rocsparse_index_base_b.uses_flat_scratch, 0
	.set _ZN9rocsparseL19gebsrmvn_2xn_kernelILj128ELj6ELj8EdEEvi20rocsparse_direction_NS_24const_host_device_scalarIT2_EEPKiS6_PKS3_S8_S4_PS3_21rocsparse_index_base_b.has_dyn_sized_stack, 0
	.set _ZN9rocsparseL19gebsrmvn_2xn_kernelILj128ELj6ELj8EdEEvi20rocsparse_direction_NS_24const_host_device_scalarIT2_EEPKiS6_PKS3_S8_S4_PS3_21rocsparse_index_base_b.has_recursion, 0
	.set _ZN9rocsparseL19gebsrmvn_2xn_kernelILj128ELj6ELj8EdEEvi20rocsparse_direction_NS_24const_host_device_scalarIT2_EEPKiS6_PKS3_S8_S4_PS3_21rocsparse_index_base_b.has_indirect_call, 0
	.section	.AMDGPU.csdata,"",@progbits
; Kernel info:
; codeLenInByte = 1636
; TotalNumSgprs: 16
; NumVgprs: 54
; ScratchSize: 0
; MemoryBound: 0
; FloatMode: 240
; IeeeMode: 1
; LDSByteSize: 0 bytes/workgroup (compile time only)
; SGPRBlocks: 0
; VGPRBlocks: 3
; NumSGPRsForWavesPerEU: 16
; NumVGPRsForWavesPerEU: 54
; NamedBarCnt: 0
; Occupancy: 16
; WaveLimiterHint : 1
; COMPUTE_PGM_RSRC2:SCRATCH_EN: 0
; COMPUTE_PGM_RSRC2:USER_SGPR: 2
; COMPUTE_PGM_RSRC2:TRAP_HANDLER: 0
; COMPUTE_PGM_RSRC2:TGID_X_EN: 1
; COMPUTE_PGM_RSRC2:TGID_Y_EN: 0
; COMPUTE_PGM_RSRC2:TGID_Z_EN: 0
; COMPUTE_PGM_RSRC2:TIDIG_COMP_CNT: 0
	.section	.text._ZN9rocsparseL19gebsrmvn_2xn_kernelILj128ELj6ELj16EdEEvi20rocsparse_direction_NS_24const_host_device_scalarIT2_EEPKiS6_PKS3_S8_S4_PS3_21rocsparse_index_base_b,"axG",@progbits,_ZN9rocsparseL19gebsrmvn_2xn_kernelILj128ELj6ELj16EdEEvi20rocsparse_direction_NS_24const_host_device_scalarIT2_EEPKiS6_PKS3_S8_S4_PS3_21rocsparse_index_base_b,comdat
	.globl	_ZN9rocsparseL19gebsrmvn_2xn_kernelILj128ELj6ELj16EdEEvi20rocsparse_direction_NS_24const_host_device_scalarIT2_EEPKiS6_PKS3_S8_S4_PS3_21rocsparse_index_base_b ; -- Begin function _ZN9rocsparseL19gebsrmvn_2xn_kernelILj128ELj6ELj16EdEEvi20rocsparse_direction_NS_24const_host_device_scalarIT2_EEPKiS6_PKS3_S8_S4_PS3_21rocsparse_index_base_b
	.p2align	8
	.type	_ZN9rocsparseL19gebsrmvn_2xn_kernelILj128ELj6ELj16EdEEvi20rocsparse_direction_NS_24const_host_device_scalarIT2_EEPKiS6_PKS3_S8_S4_PS3_21rocsparse_index_base_b,@function
_ZN9rocsparseL19gebsrmvn_2xn_kernelILj128ELj6ELj16EdEEvi20rocsparse_direction_NS_24const_host_device_scalarIT2_EEPKiS6_PKS3_S8_S4_PS3_21rocsparse_index_base_b: ; @_ZN9rocsparseL19gebsrmvn_2xn_kernelILj128ELj6ELj16EdEEvi20rocsparse_direction_NS_24const_host_device_scalarIT2_EEPKiS6_PKS3_S8_S4_PS3_21rocsparse_index_base_b
; %bb.0:
	s_clause 0x2
	s_load_b64 s[12:13], s[0:1], 0x40
	s_load_b64 s[4:5], s[0:1], 0x8
	;; [unrolled: 1-line block ×3, first 2 shown]
	s_wait_kmcnt 0x0
	s_bitcmp1_b32 s13, 0
	v_mov_b64_e32 v[2:3], s[4:5]
	s_cselect_b32 s6, -1, 0
	s_delay_alu instid0(SALU_CYCLE_1)
	s_and_b32 vcc_lo, exec_lo, s6
	s_xor_b32 s6, s6, -1
	s_cbranch_vccnz .LBB98_2
; %bb.1:
	v_mov_b32_e32 v1, 0
	flat_load_b64 v[2:3], v1, s[4:5]
.LBB98_2:
	v_mov_b64_e32 v[4:5], s[2:3]
	s_and_not1_b32 vcc_lo, exec_lo, s6
	s_cbranch_vccnz .LBB98_4
; %bb.3:
	s_wait_xcnt 0x0
	v_mov_b32_e32 v1, 0
	flat_load_b64 v[4:5], v1, s[2:3]
.LBB98_4:
	s_wait_loadcnt_dscnt 0x0
	v_cmp_neq_f64_e32 vcc_lo, 0, v[2:3]
	s_delay_alu instid0(VALU_DEP_2) | instskip(SKIP_1) | instid1(SALU_CYCLE_1)
	v_cmp_neq_f64_e64 s2, 1.0, v[4:5]
	s_or_b32 s2, vcc_lo, s2
	s_and_saveexec_b32 s3, s2
	s_cbranch_execz .LBB98_23
; %bb.5:
	s_load_b64 s[2:3], s[0:1], 0x0
	s_bfe_u32 s4, ttmp6, 0x4000c
	s_and_b32 s5, ttmp6, 15
	s_add_co_i32 s4, s4, 1
	s_getreg_b32 s6, hwreg(HW_REG_IB_STS2, 6, 4)
	s_mul_i32 s4, ttmp9, s4
	v_lshrrev_b32_e32 v1, 4, v0
	s_add_co_i32 s5, s5, s4
	s_cmp_eq_u32 s6, 0
	s_cselect_b32 s4, ttmp9, s5
	s_delay_alu instid0(VALU_DEP_1) | instid1(SALU_CYCLE_1)
	v_lshl_or_b32 v6, s4, 3, v1
	s_wait_kmcnt 0x0
	s_delay_alu instid0(VALU_DEP_1)
	v_cmp_gt_i32_e32 vcc_lo, s2, v6
	s_and_b32 exec_lo, exec_lo, vcc_lo
	s_cbranch_execz .LBB98_23
; %bb.6:
	s_load_b256 s[4:11], s[0:1], 0x10
	v_ashrrev_i32_e32 v7, 31, v6
	s_cmp_lg_u32 s3, 0
	s_wait_kmcnt 0x0
	s_delay_alu instid0(VALU_DEP_1)
	v_lshl_add_u64 v[8:9], v[6:7], 2, s[4:5]
	v_and_b32_e32 v7, 15, v0
	global_load_b64 v[8:9], v[8:9], off
	s_wait_loadcnt 0x0
	v_subrev_nc_u32_e32 v0, s12, v8
	v_subrev_nc_u32_e32 v14, s12, v9
	s_delay_alu instid0(VALU_DEP_2) | instskip(NEXT) | instid1(VALU_DEP_1)
	v_add_nc_u32_e32 v15, v0, v7
	v_cmp_lt_i32_e64 s2, v15, v14
	s_cbranch_scc0 .LBB98_12
; %bb.7:
	v_mov_b64_e32 v[0:1], 0
	v_mov_b64_e32 v[8:9], 0
	s_and_saveexec_b32 s3, s2
	s_cbranch_execz .LBB98_11
; %bb.8:
	v_mad_u32 v10, v15, 12, 10
	v_mov_b64_e32 v[0:1], 0
	v_mov_b64_e32 v[8:9], 0
	v_dual_mov_b32 v13, 0 :: v_dual_mov_b32 v16, v15
	s_mov_b32 s4, 0
.LBB98_9:                               ; =>This Inner Loop Header: Depth=1
	global_load_b32 v11, v16, s[6:7] scale_offset
	v_dual_mov_b32 v43, v13 :: v_dual_add_nc_u32 v12, -10, v10
	s_wait_xcnt 0x0
	v_add_nc_u32_e32 v16, 16, v16
	s_delay_alu instid0(VALU_DEP_2) | instskip(SKIP_1) | instid1(VALU_DEP_3)
	v_lshl_add_u64 v[30:31], v[12:13], 3, s[8:9]
	v_add_nc_u32_e32 v12, -6, v10
	v_cmp_ge_i32_e32 vcc_lo, v16, v14
	s_or_b32 s4, vcc_lo, s4
	s_wait_loadcnt 0x0
	v_subrev_nc_u32_e32 v11, s12, v11
	s_delay_alu instid0(VALU_DEP_1) | instskip(SKIP_2) | instid1(VALU_DEP_3)
	v_mul_lo_u32 v42, v11, 6
	v_mov_b32_e32 v11, v13
	v_lshl_add_u64 v[38:39], v[12:13], 3, s[8:9]
	v_lshl_add_u64 v[32:33], v[42:43], 3, s[10:11]
	s_clause 0x1
	global_load_b128 v[18:21], v[30:31], off offset:16
	global_load_b128 v[22:25], v[30:31], off
	global_load_b128 v[26:29], v[32:33], off
	v_add_nc_u32_e32 v12, 2, v42
	s_delay_alu instid0(VALU_DEP_1) | instskip(SKIP_4) | instid1(VALU_DEP_1)
	v_lshl_add_u64 v[40:41], v[12:13], 3, s[10:11]
	global_load_b128 v[30:33], v[38:39], off
	global_load_b128 v[34:37], v[40:41], off
	v_add_nc_u32_e32 v12, -4, v10
	s_wait_xcnt 0x1
	v_lshl_add_u64 v[38:39], v[12:13], 3, s[8:9]
	v_add_nc_u32_e32 v12, -2, v10
	global_load_b128 v[38:41], v[38:39], off
	v_lshl_add_u64 v[50:51], v[12:13], 3, s[8:9]
	v_add_nc_u32_e32 v12, 4, v42
	s_delay_alu instid0(VALU_DEP_1)
	v_lshl_add_u64 v[52:53], v[12:13], 3, s[10:11]
	global_load_b128 v[42:45], v[50:51], off
	global_load_b128 v[46:49], v[52:53], off
	s_wait_xcnt 0x1
	v_lshl_add_u64 v[50:51], v[10:11], 3, s[8:9]
	v_add_nc_u32_e32 v10, 0xc0, v10
	global_load_b128 v[50:53], v[50:51], off
	s_wait_loadcnt 0x6
	v_fmac_f64_e32 v[0:1], v[22:23], v[26:27]
	v_fmac_f64_e32 v[8:9], v[24:25], v[26:27]
	s_delay_alu instid0(VALU_DEP_2) | instskip(NEXT) | instid1(VALU_DEP_2)
	v_fmac_f64_e32 v[0:1], v[18:19], v[28:29]
	v_fmac_f64_e32 v[8:9], v[20:21], v[28:29]
	s_wait_loadcnt 0x4
	s_delay_alu instid0(VALU_DEP_2) | instskip(NEXT) | instid1(VALU_DEP_2)
	v_fmac_f64_e32 v[0:1], v[30:31], v[34:35]
	v_fmac_f64_e32 v[8:9], v[32:33], v[34:35]
	s_wait_loadcnt 0x3
	s_delay_alu instid0(VALU_DEP_2) | instskip(NEXT) | instid1(VALU_DEP_2)
	v_fmac_f64_e32 v[0:1], v[38:39], v[36:37]
	v_fmac_f64_e32 v[8:9], v[40:41], v[36:37]
	s_wait_loadcnt 0x1
	s_delay_alu instid0(VALU_DEP_2) | instskip(NEXT) | instid1(VALU_DEP_2)
	v_fmac_f64_e32 v[0:1], v[42:43], v[46:47]
	v_fmac_f64_e32 v[8:9], v[44:45], v[46:47]
	s_wait_loadcnt 0x0
	s_delay_alu instid0(VALU_DEP_2) | instskip(NEXT) | instid1(VALU_DEP_2)
	v_fmac_f64_e32 v[0:1], v[50:51], v[48:49]
	v_fmac_f64_e32 v[8:9], v[52:53], v[48:49]
	s_and_not1_b32 exec_lo, exec_lo, s4
	s_cbranch_execnz .LBB98_9
; %bb.10:
	s_or_b32 exec_lo, exec_lo, s4
.LBB98_11:
	s_delay_alu instid0(SALU_CYCLE_1)
	s_or_b32 exec_lo, exec_lo, s3
	s_cbranch_execz .LBB98_13
	s_branch .LBB98_18
.LBB98_12:
                                        ; implicit-def: $vgpr0_vgpr1
                                        ; implicit-def: $vgpr8_vgpr9
.LBB98_13:
	v_mov_b64_e32 v[0:1], 0
	v_mov_b64_e32 v[8:9], 0
	s_and_saveexec_b32 s3, s2
	s_cbranch_execz .LBB98_17
; %bb.14:
	v_mad_u32 v12, v15, 12, 11
	v_mov_b64_e32 v[0:1], 0
	v_mov_b64_e32 v[8:9], 0
	v_mov_b32_e32 v11, 0
	s_mov_b32 s2, 0
.LBB98_15:                              ; =>This Inner Loop Header: Depth=1
	global_load_b32 v10, v15, s[6:7] scale_offset
	v_dual_add_nc_u32 v13, -5, v12 :: v_dual_mov_b32 v33, v11
	s_wait_xcnt 0x0
	v_dual_add_nc_u32 v15, 16, v15 :: v_dual_add_nc_u32 v50, -1, v12
	s_delay_alu instid0(VALU_DEP_1) | instskip(SKIP_3) | instid1(VALU_DEP_1)
	v_cmp_ge_i32_e32 vcc_lo, v15, v14
	s_or_b32 s2, vcc_lo, s2
	s_wait_loadcnt 0x0
	v_subrev_nc_u32_e32 v10, s12, v10
	v_mul_lo_u32 v32, v10, 6
	v_add_nc_u32_e32 v10, -11, v12
	s_delay_alu instid0(VALU_DEP_1) | instskip(SKIP_1) | instid1(VALU_DEP_4)
	v_lshl_add_u64 v[34:35], v[10:11], 3, s[8:9]
	v_add_nc_u32_e32 v10, -4, v12
	v_lshl_add_u64 v[24:25], v[32:33], 3, s[10:11]
	s_clause 0x1
	global_load_b128 v[16:19], v[34:35], off
	global_load_b64 v[36:37], v13, s[8:9] scale_offset
	global_load_b128 v[20:23], v[24:25], off
	global_load_b64 v[38:39], v10, s[8:9] scale_offset
	s_wait_xcnt 0x0
	v_add_nc_u32_e32 v10, 2, v32
	v_add_nc_u32_e32 v13, -3, v12
	s_delay_alu instid0(VALU_DEP_2)
	v_lshl_add_u64 v[40:41], v[10:11], 3, s[10:11]
	v_add_nc_u32_e32 v10, -2, v12
	s_clause 0x1
	global_load_b64 v[42:43], v13, s[8:9] scale_offset
	global_load_b128 v[24:27], v[34:35], off offset:16
	global_load_b128 v[28:31], v[40:41], off
	s_wait_xcnt 0x2
	v_add_nc_u32_e32 v13, -7, v12
	global_load_b64 v[40:41], v10, s[8:9] scale_offset
	s_wait_xcnt 0x0
	v_add_nc_u32_e32 v10, 4, v32
	s_delay_alu instid0(VALU_DEP_1)
	v_lshl_add_u64 v[44:45], v[10:11], 3, s[10:11]
	s_clause 0x1
	global_load_b64 v[46:47], v13, s[8:9] scale_offset
	global_load_b64 v[48:49], v50, s[8:9] scale_offset
	global_load_b128 v[32:35], v[44:45], off
	v_add_nc_u32_e32 v10, -6, v12
	s_clause 0x1
	global_load_b64 v[44:45], v10, s[8:9] scale_offset
	global_load_b64 v[50:51], v12, s[8:9] scale_offset
	s_wait_xcnt 0x0
	v_add_nc_u32_e32 v12, 0xc0, v12
	s_wait_loadcnt 0xa
	v_fmac_f64_e32 v[0:1], v[16:17], v[20:21]
	v_fmac_f64_e32 v[8:9], v[36:37], v[20:21]
	s_delay_alu instid0(VALU_DEP_2) | instskip(SKIP_1) | instid1(VALU_DEP_2)
	v_fmac_f64_e32 v[0:1], v[18:19], v[22:23]
	s_wait_loadcnt 0x9
	v_fmac_f64_e32 v[8:9], v[38:39], v[22:23]
	s_wait_loadcnt 0x6
	s_delay_alu instid0(VALU_DEP_2) | instskip(NEXT) | instid1(VALU_DEP_2)
	v_fmac_f64_e32 v[0:1], v[24:25], v[28:29]
	v_fmac_f64_e32 v[8:9], v[42:43], v[28:29]
	s_delay_alu instid0(VALU_DEP_2) | instskip(SKIP_1) | instid1(VALU_DEP_2)
	v_fmac_f64_e32 v[0:1], v[26:27], v[30:31]
	s_wait_loadcnt 0x5
	v_fmac_f64_e32 v[8:9], v[40:41], v[30:31]
	s_wait_loadcnt 0x2
	s_delay_alu instid0(VALU_DEP_2) | instskip(NEXT) | instid1(VALU_DEP_2)
	v_fmac_f64_e32 v[0:1], v[46:47], v[32:33]
	v_fmac_f64_e32 v[8:9], v[48:49], v[32:33]
	s_wait_loadcnt 0x1
	s_delay_alu instid0(VALU_DEP_2) | instskip(SKIP_1) | instid1(VALU_DEP_2)
	v_fmac_f64_e32 v[0:1], v[44:45], v[34:35]
	s_wait_loadcnt 0x0
	v_fmac_f64_e32 v[8:9], v[50:51], v[34:35]
	s_and_not1_b32 exec_lo, exec_lo, s2
	s_cbranch_execnz .LBB98_15
; %bb.16:
	s_or_b32 exec_lo, exec_lo, s2
.LBB98_17:
	s_delay_alu instid0(SALU_CYCLE_1)
	s_or_b32 exec_lo, exec_lo, s3
.LBB98_18:
	v_mbcnt_lo_u32_b32 v14, -1, 0
	s_delay_alu instid0(VALU_DEP_1) | instskip(NEXT) | instid1(VALU_DEP_1)
	v_xor_b32_e32 v10, 8, v14
	v_cmp_gt_i32_e32 vcc_lo, 32, v10
	v_cndmask_b32_e32 v10, v14, v10, vcc_lo
	s_delay_alu instid0(VALU_DEP_1)
	v_lshlrev_b32_e32 v13, 2, v10
	ds_bpermute_b32 v10, v13, v0
	ds_bpermute_b32 v11, v13, v1
	s_wait_dscnt 0x0
	v_add_f64_e32 v[0:1], v[0:1], v[10:11]
	v_xor_b32_e32 v10, 4, v14
	s_delay_alu instid0(VALU_DEP_1)
	v_cmp_gt_i32_e32 vcc_lo, 32, v10
	v_cndmask_b32_e32 v10, v14, v10, vcc_lo
	ds_bpermute_b32 v12, v13, v8
	ds_bpermute_b32 v13, v13, v9
	s_wait_dscnt 0x0
	v_dual_add_f64 v[8:9], v[8:9], v[12:13] :: v_dual_lshlrev_b32 v13, 2, v10
	ds_bpermute_b32 v10, v13, v0
	ds_bpermute_b32 v11, v13, v1
	s_wait_dscnt 0x0
	v_add_f64_e32 v[0:1], v[0:1], v[10:11]
	v_xor_b32_e32 v10, 2, v14
	s_delay_alu instid0(VALU_DEP_1)
	v_cmp_gt_i32_e32 vcc_lo, 32, v10
	v_cndmask_b32_e32 v10, v14, v10, vcc_lo
	ds_bpermute_b32 v12, v13, v8
	ds_bpermute_b32 v13, v13, v9
	s_wait_dscnt 0x0
	v_dual_add_f64 v[8:9], v[8:9], v[12:13] :: v_dual_lshlrev_b32 v13, 2, v10
	ds_bpermute_b32 v10, v13, v0
	ds_bpermute_b32 v11, v13, v1
	s_wait_dscnt 0x0
	v_add_f64_e32 v[0:1], v[0:1], v[10:11]
	ds_bpermute_b32 v12, v13, v8
	ds_bpermute_b32 v13, v13, v9
	s_wait_dscnt 0x0
	v_dual_add_f64 v[10:11], v[8:9], v[12:13] :: v_dual_bitop2_b32 v8, 1, v14 bitop3:0x14
	s_delay_alu instid0(VALU_DEP_1) | instskip(SKIP_2) | instid1(VALU_DEP_2)
	v_cmp_gt_i32_e32 vcc_lo, 32, v8
	v_cndmask_b32_e32 v8, v14, v8, vcc_lo
	v_cmp_eq_u32_e32 vcc_lo, 15, v7
	v_lshlrev_b32_e32 v13, 2, v8
	ds_bpermute_b32 v8, v13, v0
	ds_bpermute_b32 v9, v13, v1
	;; [unrolled: 1-line block ×4, first 2 shown]
	s_and_b32 exec_lo, exec_lo, vcc_lo
	s_cbranch_execz .LBB98_23
; %bb.19:
	s_wait_dscnt 0x2
	v_add_f64_e32 v[8:9], v[0:1], v[8:9]
	s_wait_dscnt 0x0
	v_add_f64_e32 v[0:1], v[10:11], v[12:13]
	s_load_b64 s[0:1], s[0:1], 0x38
	s_mov_b32 s2, exec_lo
	v_cmpx_eq_f64_e32 0, v[4:5]
	s_xor_b32 s2, exec_lo, s2
	s_cbranch_execz .LBB98_21
; %bb.20:
	s_delay_alu instid0(VALU_DEP_3) | instskip(NEXT) | instid1(VALU_DEP_3)
	v_mul_f64_e32 v[8:9], v[2:3], v[8:9]
	v_dual_mul_f64 v[10:11], v[2:3], v[0:1] :: v_dual_lshlrev_b32 v0, 1, v6
                                        ; implicit-def: $vgpr6
                                        ; implicit-def: $vgpr2_vgpr3
                                        ; implicit-def: $vgpr4_vgpr5
	s_delay_alu instid0(VALU_DEP_1) | instskip(SKIP_1) | instid1(VALU_DEP_1)
	v_ashrrev_i32_e32 v1, 31, v0
	s_wait_kmcnt 0x0
	v_lshl_add_u64 v[0:1], v[0:1], 3, s[0:1]
	global_store_b128 v[0:1], v[8:11], off
                                        ; implicit-def: $vgpr8_vgpr9
                                        ; implicit-def: $vgpr0_vgpr1
.LBB98_21:
	s_wait_xcnt 0x0
	s_and_not1_saveexec_b32 s2, s2
	s_cbranch_execz .LBB98_23
; %bb.22:
	v_lshlrev_b32_e32 v6, 1, v6
	s_delay_alu instid0(VALU_DEP_1) | instskip(SKIP_1) | instid1(VALU_DEP_1)
	v_ashrrev_i32_e32 v7, 31, v6
	s_wait_kmcnt 0x0
	v_lshl_add_u64 v[14:15], v[6:7], 3, s[0:1]
	v_mul_f64_e32 v[6:7], v[2:3], v[8:9]
	v_mul_f64_e32 v[8:9], v[2:3], v[0:1]
	global_load_b128 v[10:13], v[14:15], off
	s_wait_loadcnt 0x0
	v_fmac_f64_e32 v[6:7], v[4:5], v[10:11]
	v_fmac_f64_e32 v[8:9], v[4:5], v[12:13]
	global_store_b128 v[14:15], v[6:9], off
.LBB98_23:
	s_endpgm
	.section	.rodata,"a",@progbits
	.p2align	6, 0x0
	.amdhsa_kernel _ZN9rocsparseL19gebsrmvn_2xn_kernelILj128ELj6ELj16EdEEvi20rocsparse_direction_NS_24const_host_device_scalarIT2_EEPKiS6_PKS3_S8_S4_PS3_21rocsparse_index_base_b
		.amdhsa_group_segment_fixed_size 0
		.amdhsa_private_segment_fixed_size 0
		.amdhsa_kernarg_size 72
		.amdhsa_user_sgpr_count 2
		.amdhsa_user_sgpr_dispatch_ptr 0
		.amdhsa_user_sgpr_queue_ptr 0
		.amdhsa_user_sgpr_kernarg_segment_ptr 1
		.amdhsa_user_sgpr_dispatch_id 0
		.amdhsa_user_sgpr_kernarg_preload_length 0
		.amdhsa_user_sgpr_kernarg_preload_offset 0
		.amdhsa_user_sgpr_private_segment_size 0
		.amdhsa_wavefront_size32 1
		.amdhsa_uses_dynamic_stack 0
		.amdhsa_enable_private_segment 0
		.amdhsa_system_sgpr_workgroup_id_x 1
		.amdhsa_system_sgpr_workgroup_id_y 0
		.amdhsa_system_sgpr_workgroup_id_z 0
		.amdhsa_system_sgpr_workgroup_info 0
		.amdhsa_system_vgpr_workitem_id 0
		.amdhsa_next_free_vgpr 54
		.amdhsa_next_free_sgpr 14
		.amdhsa_named_barrier_count 0
		.amdhsa_reserve_vcc 1
		.amdhsa_float_round_mode_32 0
		.amdhsa_float_round_mode_16_64 0
		.amdhsa_float_denorm_mode_32 3
		.amdhsa_float_denorm_mode_16_64 3
		.amdhsa_fp16_overflow 0
		.amdhsa_memory_ordered 1
		.amdhsa_forward_progress 1
		.amdhsa_inst_pref_size 14
		.amdhsa_round_robin_scheduling 0
		.amdhsa_exception_fp_ieee_invalid_op 0
		.amdhsa_exception_fp_denorm_src 0
		.amdhsa_exception_fp_ieee_div_zero 0
		.amdhsa_exception_fp_ieee_overflow 0
		.amdhsa_exception_fp_ieee_underflow 0
		.amdhsa_exception_fp_ieee_inexact 0
		.amdhsa_exception_int_div_zero 0
	.end_amdhsa_kernel
	.section	.text._ZN9rocsparseL19gebsrmvn_2xn_kernelILj128ELj6ELj16EdEEvi20rocsparse_direction_NS_24const_host_device_scalarIT2_EEPKiS6_PKS3_S8_S4_PS3_21rocsparse_index_base_b,"axG",@progbits,_ZN9rocsparseL19gebsrmvn_2xn_kernelILj128ELj6ELj16EdEEvi20rocsparse_direction_NS_24const_host_device_scalarIT2_EEPKiS6_PKS3_S8_S4_PS3_21rocsparse_index_base_b,comdat
.Lfunc_end98:
	.size	_ZN9rocsparseL19gebsrmvn_2xn_kernelILj128ELj6ELj16EdEEvi20rocsparse_direction_NS_24const_host_device_scalarIT2_EEPKiS6_PKS3_S8_S4_PS3_21rocsparse_index_base_b, .Lfunc_end98-_ZN9rocsparseL19gebsrmvn_2xn_kernelILj128ELj6ELj16EdEEvi20rocsparse_direction_NS_24const_host_device_scalarIT2_EEPKiS6_PKS3_S8_S4_PS3_21rocsparse_index_base_b
                                        ; -- End function
	.set _ZN9rocsparseL19gebsrmvn_2xn_kernelILj128ELj6ELj16EdEEvi20rocsparse_direction_NS_24const_host_device_scalarIT2_EEPKiS6_PKS3_S8_S4_PS3_21rocsparse_index_base_b.num_vgpr, 54
	.set _ZN9rocsparseL19gebsrmvn_2xn_kernelILj128ELj6ELj16EdEEvi20rocsparse_direction_NS_24const_host_device_scalarIT2_EEPKiS6_PKS3_S8_S4_PS3_21rocsparse_index_base_b.num_agpr, 0
	.set _ZN9rocsparseL19gebsrmvn_2xn_kernelILj128ELj6ELj16EdEEvi20rocsparse_direction_NS_24const_host_device_scalarIT2_EEPKiS6_PKS3_S8_S4_PS3_21rocsparse_index_base_b.numbered_sgpr, 14
	.set _ZN9rocsparseL19gebsrmvn_2xn_kernelILj128ELj6ELj16EdEEvi20rocsparse_direction_NS_24const_host_device_scalarIT2_EEPKiS6_PKS3_S8_S4_PS3_21rocsparse_index_base_b.num_named_barrier, 0
	.set _ZN9rocsparseL19gebsrmvn_2xn_kernelILj128ELj6ELj16EdEEvi20rocsparse_direction_NS_24const_host_device_scalarIT2_EEPKiS6_PKS3_S8_S4_PS3_21rocsparse_index_base_b.private_seg_size, 0
	.set _ZN9rocsparseL19gebsrmvn_2xn_kernelILj128ELj6ELj16EdEEvi20rocsparse_direction_NS_24const_host_device_scalarIT2_EEPKiS6_PKS3_S8_S4_PS3_21rocsparse_index_base_b.uses_vcc, 1
	.set _ZN9rocsparseL19gebsrmvn_2xn_kernelILj128ELj6ELj16EdEEvi20rocsparse_direction_NS_24const_host_device_scalarIT2_EEPKiS6_PKS3_S8_S4_PS3_21rocsparse_index_base_b.uses_flat_scratch, 0
	.set _ZN9rocsparseL19gebsrmvn_2xn_kernelILj128ELj6ELj16EdEEvi20rocsparse_direction_NS_24const_host_device_scalarIT2_EEPKiS6_PKS3_S8_S4_PS3_21rocsparse_index_base_b.has_dyn_sized_stack, 0
	.set _ZN9rocsparseL19gebsrmvn_2xn_kernelILj128ELj6ELj16EdEEvi20rocsparse_direction_NS_24const_host_device_scalarIT2_EEPKiS6_PKS3_S8_S4_PS3_21rocsparse_index_base_b.has_recursion, 0
	.set _ZN9rocsparseL19gebsrmvn_2xn_kernelILj128ELj6ELj16EdEEvi20rocsparse_direction_NS_24const_host_device_scalarIT2_EEPKiS6_PKS3_S8_S4_PS3_21rocsparse_index_base_b.has_indirect_call, 0
	.section	.AMDGPU.csdata,"",@progbits
; Kernel info:
; codeLenInByte = 1708
; TotalNumSgprs: 16
; NumVgprs: 54
; ScratchSize: 0
; MemoryBound: 0
; FloatMode: 240
; IeeeMode: 1
; LDSByteSize: 0 bytes/workgroup (compile time only)
; SGPRBlocks: 0
; VGPRBlocks: 3
; NumSGPRsForWavesPerEU: 16
; NumVGPRsForWavesPerEU: 54
; NamedBarCnt: 0
; Occupancy: 16
; WaveLimiterHint : 1
; COMPUTE_PGM_RSRC2:SCRATCH_EN: 0
; COMPUTE_PGM_RSRC2:USER_SGPR: 2
; COMPUTE_PGM_RSRC2:TRAP_HANDLER: 0
; COMPUTE_PGM_RSRC2:TGID_X_EN: 1
; COMPUTE_PGM_RSRC2:TGID_Y_EN: 0
; COMPUTE_PGM_RSRC2:TGID_Z_EN: 0
; COMPUTE_PGM_RSRC2:TIDIG_COMP_CNT: 0
	.section	.text._ZN9rocsparseL19gebsrmvn_2xn_kernelILj128ELj6ELj32EdEEvi20rocsparse_direction_NS_24const_host_device_scalarIT2_EEPKiS6_PKS3_S8_S4_PS3_21rocsparse_index_base_b,"axG",@progbits,_ZN9rocsparseL19gebsrmvn_2xn_kernelILj128ELj6ELj32EdEEvi20rocsparse_direction_NS_24const_host_device_scalarIT2_EEPKiS6_PKS3_S8_S4_PS3_21rocsparse_index_base_b,comdat
	.globl	_ZN9rocsparseL19gebsrmvn_2xn_kernelILj128ELj6ELj32EdEEvi20rocsparse_direction_NS_24const_host_device_scalarIT2_EEPKiS6_PKS3_S8_S4_PS3_21rocsparse_index_base_b ; -- Begin function _ZN9rocsparseL19gebsrmvn_2xn_kernelILj128ELj6ELj32EdEEvi20rocsparse_direction_NS_24const_host_device_scalarIT2_EEPKiS6_PKS3_S8_S4_PS3_21rocsparse_index_base_b
	.p2align	8
	.type	_ZN9rocsparseL19gebsrmvn_2xn_kernelILj128ELj6ELj32EdEEvi20rocsparse_direction_NS_24const_host_device_scalarIT2_EEPKiS6_PKS3_S8_S4_PS3_21rocsparse_index_base_b,@function
_ZN9rocsparseL19gebsrmvn_2xn_kernelILj128ELj6ELj32EdEEvi20rocsparse_direction_NS_24const_host_device_scalarIT2_EEPKiS6_PKS3_S8_S4_PS3_21rocsparse_index_base_b: ; @_ZN9rocsparseL19gebsrmvn_2xn_kernelILj128ELj6ELj32EdEEvi20rocsparse_direction_NS_24const_host_device_scalarIT2_EEPKiS6_PKS3_S8_S4_PS3_21rocsparse_index_base_b
; %bb.0:
	s_clause 0x2
	s_load_b64 s[12:13], s[0:1], 0x40
	s_load_b64 s[4:5], s[0:1], 0x8
	;; [unrolled: 1-line block ×3, first 2 shown]
	s_wait_kmcnt 0x0
	s_bitcmp1_b32 s13, 0
	v_mov_b64_e32 v[2:3], s[4:5]
	s_cselect_b32 s6, -1, 0
	s_delay_alu instid0(SALU_CYCLE_1)
	s_and_b32 vcc_lo, exec_lo, s6
	s_xor_b32 s6, s6, -1
	s_cbranch_vccnz .LBB99_2
; %bb.1:
	v_mov_b32_e32 v1, 0
	flat_load_b64 v[2:3], v1, s[4:5]
.LBB99_2:
	v_mov_b64_e32 v[4:5], s[2:3]
	s_and_not1_b32 vcc_lo, exec_lo, s6
	s_cbranch_vccnz .LBB99_4
; %bb.3:
	s_wait_xcnt 0x0
	v_mov_b32_e32 v1, 0
	flat_load_b64 v[4:5], v1, s[2:3]
.LBB99_4:
	s_wait_loadcnt_dscnt 0x0
	v_cmp_neq_f64_e32 vcc_lo, 0, v[2:3]
	s_delay_alu instid0(VALU_DEP_2) | instskip(SKIP_1) | instid1(SALU_CYCLE_1)
	v_cmp_neq_f64_e64 s2, 1.0, v[4:5]
	s_or_b32 s2, vcc_lo, s2
	s_and_saveexec_b32 s3, s2
	s_cbranch_execz .LBB99_23
; %bb.5:
	s_load_b64 s[2:3], s[0:1], 0x0
	s_bfe_u32 s4, ttmp6, 0x4000c
	s_and_b32 s5, ttmp6, 15
	s_add_co_i32 s4, s4, 1
	s_getreg_b32 s6, hwreg(HW_REG_IB_STS2, 6, 4)
	s_mul_i32 s4, ttmp9, s4
	v_lshrrev_b32_e32 v1, 5, v0
	s_add_co_i32 s5, s5, s4
	s_cmp_eq_u32 s6, 0
	s_cselect_b32 s4, ttmp9, s5
	s_delay_alu instid0(VALU_DEP_1) | instid1(SALU_CYCLE_1)
	v_lshl_or_b32 v6, s4, 2, v1
	s_wait_kmcnt 0x0
	s_delay_alu instid0(VALU_DEP_1)
	v_cmp_gt_i32_e32 vcc_lo, s2, v6
	s_and_b32 exec_lo, exec_lo, vcc_lo
	s_cbranch_execz .LBB99_23
; %bb.6:
	s_load_b256 s[4:11], s[0:1], 0x10
	v_ashrrev_i32_e32 v7, 31, v6
	s_cmp_lg_u32 s3, 0
	s_wait_kmcnt 0x0
	s_delay_alu instid0(VALU_DEP_1)
	v_lshl_add_u64 v[8:9], v[6:7], 2, s[4:5]
	v_and_b32_e32 v7, 31, v0
	global_load_b64 v[8:9], v[8:9], off
	s_wait_loadcnt 0x0
	v_subrev_nc_u32_e32 v0, s12, v8
	v_subrev_nc_u32_e32 v14, s12, v9
	s_delay_alu instid0(VALU_DEP_2) | instskip(NEXT) | instid1(VALU_DEP_1)
	v_add_nc_u32_e32 v15, v0, v7
	v_cmp_lt_i32_e64 s2, v15, v14
	s_cbranch_scc0 .LBB99_12
; %bb.7:
	v_mov_b64_e32 v[0:1], 0
	v_mov_b64_e32 v[8:9], 0
	s_and_saveexec_b32 s3, s2
	s_cbranch_execz .LBB99_11
; %bb.8:
	v_mad_u32 v10, v15, 12, 10
	v_mov_b64_e32 v[0:1], 0
	v_mov_b64_e32 v[8:9], 0
	v_dual_mov_b32 v13, 0 :: v_dual_mov_b32 v16, v15
	s_mov_b32 s4, 0
.LBB99_9:                               ; =>This Inner Loop Header: Depth=1
	global_load_b32 v11, v16, s[6:7] scale_offset
	v_dual_mov_b32 v43, v13 :: v_dual_add_nc_u32 v12, -10, v10
	s_wait_xcnt 0x0
	v_add_nc_u32_e32 v16, 32, v16
	s_delay_alu instid0(VALU_DEP_2) | instskip(SKIP_1) | instid1(VALU_DEP_3)
	v_lshl_add_u64 v[30:31], v[12:13], 3, s[8:9]
	v_add_nc_u32_e32 v12, -6, v10
	v_cmp_ge_i32_e32 vcc_lo, v16, v14
	s_or_b32 s4, vcc_lo, s4
	s_wait_loadcnt 0x0
	v_subrev_nc_u32_e32 v11, s12, v11
	s_delay_alu instid0(VALU_DEP_1) | instskip(SKIP_2) | instid1(VALU_DEP_3)
	v_mul_lo_u32 v42, v11, 6
	v_mov_b32_e32 v11, v13
	v_lshl_add_u64 v[38:39], v[12:13], 3, s[8:9]
	v_lshl_add_u64 v[32:33], v[42:43], 3, s[10:11]
	s_clause 0x1
	global_load_b128 v[18:21], v[30:31], off offset:16
	global_load_b128 v[22:25], v[30:31], off
	global_load_b128 v[26:29], v[32:33], off
	v_add_nc_u32_e32 v12, 2, v42
	s_delay_alu instid0(VALU_DEP_1) | instskip(SKIP_4) | instid1(VALU_DEP_1)
	v_lshl_add_u64 v[40:41], v[12:13], 3, s[10:11]
	global_load_b128 v[30:33], v[38:39], off
	global_load_b128 v[34:37], v[40:41], off
	v_add_nc_u32_e32 v12, -4, v10
	s_wait_xcnt 0x1
	v_lshl_add_u64 v[38:39], v[12:13], 3, s[8:9]
	v_add_nc_u32_e32 v12, -2, v10
	global_load_b128 v[38:41], v[38:39], off
	v_lshl_add_u64 v[50:51], v[12:13], 3, s[8:9]
	v_add_nc_u32_e32 v12, 4, v42
	s_delay_alu instid0(VALU_DEP_1)
	v_lshl_add_u64 v[52:53], v[12:13], 3, s[10:11]
	global_load_b128 v[42:45], v[50:51], off
	global_load_b128 v[46:49], v[52:53], off
	s_wait_xcnt 0x1
	v_lshl_add_u64 v[50:51], v[10:11], 3, s[8:9]
	v_add_nc_u32_e32 v10, 0x180, v10
	global_load_b128 v[50:53], v[50:51], off
	s_wait_loadcnt 0x6
	v_fmac_f64_e32 v[0:1], v[22:23], v[26:27]
	v_fmac_f64_e32 v[8:9], v[24:25], v[26:27]
	s_delay_alu instid0(VALU_DEP_2) | instskip(NEXT) | instid1(VALU_DEP_2)
	v_fmac_f64_e32 v[0:1], v[18:19], v[28:29]
	v_fmac_f64_e32 v[8:9], v[20:21], v[28:29]
	s_wait_loadcnt 0x4
	s_delay_alu instid0(VALU_DEP_2) | instskip(NEXT) | instid1(VALU_DEP_2)
	v_fmac_f64_e32 v[0:1], v[30:31], v[34:35]
	v_fmac_f64_e32 v[8:9], v[32:33], v[34:35]
	s_wait_loadcnt 0x3
	;; [unrolled: 4-line block ×4, first 2 shown]
	s_delay_alu instid0(VALU_DEP_2) | instskip(NEXT) | instid1(VALU_DEP_2)
	v_fmac_f64_e32 v[0:1], v[50:51], v[48:49]
	v_fmac_f64_e32 v[8:9], v[52:53], v[48:49]
	s_and_not1_b32 exec_lo, exec_lo, s4
	s_cbranch_execnz .LBB99_9
; %bb.10:
	s_or_b32 exec_lo, exec_lo, s4
.LBB99_11:
	s_delay_alu instid0(SALU_CYCLE_1)
	s_or_b32 exec_lo, exec_lo, s3
	s_cbranch_execz .LBB99_13
	s_branch .LBB99_18
.LBB99_12:
                                        ; implicit-def: $vgpr0_vgpr1
                                        ; implicit-def: $vgpr8_vgpr9
.LBB99_13:
	v_mov_b64_e32 v[0:1], 0
	v_mov_b64_e32 v[8:9], 0
	s_and_saveexec_b32 s3, s2
	s_cbranch_execz .LBB99_17
; %bb.14:
	v_mad_u32 v12, v15, 12, 11
	v_mov_b64_e32 v[0:1], 0
	v_mov_b64_e32 v[8:9], 0
	v_mov_b32_e32 v11, 0
	s_mov_b32 s2, 0
.LBB99_15:                              ; =>This Inner Loop Header: Depth=1
	global_load_b32 v10, v15, s[6:7] scale_offset
	v_dual_add_nc_u32 v13, -5, v12 :: v_dual_mov_b32 v33, v11
	s_wait_xcnt 0x0
	v_dual_add_nc_u32 v15, 32, v15 :: v_dual_add_nc_u32 v50, -1, v12
	s_delay_alu instid0(VALU_DEP_1) | instskip(SKIP_3) | instid1(VALU_DEP_1)
	v_cmp_ge_i32_e32 vcc_lo, v15, v14
	s_or_b32 s2, vcc_lo, s2
	s_wait_loadcnt 0x0
	v_subrev_nc_u32_e32 v10, s12, v10
	v_mul_lo_u32 v32, v10, 6
	v_add_nc_u32_e32 v10, -11, v12
	s_delay_alu instid0(VALU_DEP_1) | instskip(SKIP_1) | instid1(VALU_DEP_4)
	v_lshl_add_u64 v[34:35], v[10:11], 3, s[8:9]
	v_add_nc_u32_e32 v10, -4, v12
	v_lshl_add_u64 v[24:25], v[32:33], 3, s[10:11]
	s_clause 0x1
	global_load_b128 v[16:19], v[34:35], off
	global_load_b64 v[36:37], v13, s[8:9] scale_offset
	global_load_b128 v[20:23], v[24:25], off
	global_load_b64 v[38:39], v10, s[8:9] scale_offset
	s_wait_xcnt 0x0
	v_add_nc_u32_e32 v10, 2, v32
	v_add_nc_u32_e32 v13, -3, v12
	s_delay_alu instid0(VALU_DEP_2)
	v_lshl_add_u64 v[40:41], v[10:11], 3, s[10:11]
	v_add_nc_u32_e32 v10, -2, v12
	s_clause 0x1
	global_load_b64 v[42:43], v13, s[8:9] scale_offset
	global_load_b128 v[24:27], v[34:35], off offset:16
	global_load_b128 v[28:31], v[40:41], off
	s_wait_xcnt 0x2
	v_add_nc_u32_e32 v13, -7, v12
	global_load_b64 v[40:41], v10, s[8:9] scale_offset
	s_wait_xcnt 0x0
	v_add_nc_u32_e32 v10, 4, v32
	s_delay_alu instid0(VALU_DEP_1)
	v_lshl_add_u64 v[44:45], v[10:11], 3, s[10:11]
	s_clause 0x1
	global_load_b64 v[46:47], v13, s[8:9] scale_offset
	global_load_b64 v[48:49], v50, s[8:9] scale_offset
	global_load_b128 v[32:35], v[44:45], off
	v_add_nc_u32_e32 v10, -6, v12
	s_clause 0x1
	global_load_b64 v[44:45], v10, s[8:9] scale_offset
	global_load_b64 v[50:51], v12, s[8:9] scale_offset
	s_wait_xcnt 0x0
	v_add_nc_u32_e32 v12, 0x180, v12
	s_wait_loadcnt 0xa
	v_fmac_f64_e32 v[0:1], v[16:17], v[20:21]
	v_fmac_f64_e32 v[8:9], v[36:37], v[20:21]
	s_delay_alu instid0(VALU_DEP_2) | instskip(SKIP_1) | instid1(VALU_DEP_2)
	v_fmac_f64_e32 v[0:1], v[18:19], v[22:23]
	s_wait_loadcnt 0x9
	v_fmac_f64_e32 v[8:9], v[38:39], v[22:23]
	s_wait_loadcnt 0x6
	s_delay_alu instid0(VALU_DEP_2) | instskip(NEXT) | instid1(VALU_DEP_2)
	v_fmac_f64_e32 v[0:1], v[24:25], v[28:29]
	v_fmac_f64_e32 v[8:9], v[42:43], v[28:29]
	s_delay_alu instid0(VALU_DEP_2) | instskip(SKIP_1) | instid1(VALU_DEP_2)
	v_fmac_f64_e32 v[0:1], v[26:27], v[30:31]
	s_wait_loadcnt 0x5
	v_fmac_f64_e32 v[8:9], v[40:41], v[30:31]
	s_wait_loadcnt 0x2
	s_delay_alu instid0(VALU_DEP_2) | instskip(NEXT) | instid1(VALU_DEP_2)
	v_fmac_f64_e32 v[0:1], v[46:47], v[32:33]
	v_fmac_f64_e32 v[8:9], v[48:49], v[32:33]
	s_wait_loadcnt 0x1
	s_delay_alu instid0(VALU_DEP_2) | instskip(SKIP_1) | instid1(VALU_DEP_2)
	v_fmac_f64_e32 v[0:1], v[44:45], v[34:35]
	s_wait_loadcnt 0x0
	v_fmac_f64_e32 v[8:9], v[50:51], v[34:35]
	s_and_not1_b32 exec_lo, exec_lo, s2
	s_cbranch_execnz .LBB99_15
; %bb.16:
	s_or_b32 exec_lo, exec_lo, s2
.LBB99_17:
	s_delay_alu instid0(SALU_CYCLE_1)
	s_or_b32 exec_lo, exec_lo, s3
.LBB99_18:
	v_mbcnt_lo_u32_b32 v14, -1, 0
	s_delay_alu instid0(VALU_DEP_1) | instskip(NEXT) | instid1(VALU_DEP_1)
	v_xor_b32_e32 v10, 16, v14
	v_cmp_gt_i32_e32 vcc_lo, 32, v10
	v_cndmask_b32_e32 v10, v14, v10, vcc_lo
	s_delay_alu instid0(VALU_DEP_1)
	v_lshlrev_b32_e32 v13, 2, v10
	ds_bpermute_b32 v10, v13, v0
	ds_bpermute_b32 v11, v13, v1
	s_wait_dscnt 0x0
	v_add_f64_e32 v[0:1], v[0:1], v[10:11]
	v_xor_b32_e32 v10, 8, v14
	s_delay_alu instid0(VALU_DEP_1)
	v_cmp_gt_i32_e32 vcc_lo, 32, v10
	v_cndmask_b32_e32 v10, v14, v10, vcc_lo
	ds_bpermute_b32 v12, v13, v8
	ds_bpermute_b32 v13, v13, v9
	s_wait_dscnt 0x0
	v_dual_add_f64 v[8:9], v[8:9], v[12:13] :: v_dual_lshlrev_b32 v13, 2, v10
	ds_bpermute_b32 v10, v13, v0
	ds_bpermute_b32 v11, v13, v1
	s_wait_dscnt 0x0
	v_add_f64_e32 v[0:1], v[0:1], v[10:11]
	v_xor_b32_e32 v10, 4, v14
	s_delay_alu instid0(VALU_DEP_1)
	v_cmp_gt_i32_e32 vcc_lo, 32, v10
	v_cndmask_b32_e32 v10, v14, v10, vcc_lo
	ds_bpermute_b32 v12, v13, v8
	ds_bpermute_b32 v13, v13, v9
	s_wait_dscnt 0x0
	v_dual_add_f64 v[8:9], v[8:9], v[12:13] :: v_dual_lshlrev_b32 v13, 2, v10
	ds_bpermute_b32 v10, v13, v0
	ds_bpermute_b32 v11, v13, v1
	s_wait_dscnt 0x0
	v_add_f64_e32 v[0:1], v[0:1], v[10:11]
	v_xor_b32_e32 v10, 2, v14
	s_delay_alu instid0(VALU_DEP_1)
	v_cmp_gt_i32_e32 vcc_lo, 32, v10
	v_cndmask_b32_e32 v10, v14, v10, vcc_lo
	ds_bpermute_b32 v12, v13, v8
	ds_bpermute_b32 v13, v13, v9
	s_wait_dscnt 0x0
	v_dual_add_f64 v[8:9], v[8:9], v[12:13] :: v_dual_lshlrev_b32 v13, 2, v10
	ds_bpermute_b32 v10, v13, v0
	ds_bpermute_b32 v11, v13, v1
	s_wait_dscnt 0x0
	v_add_f64_e32 v[0:1], v[0:1], v[10:11]
	ds_bpermute_b32 v12, v13, v8
	ds_bpermute_b32 v13, v13, v9
	s_wait_dscnt 0x0
	v_dual_add_f64 v[10:11], v[8:9], v[12:13] :: v_dual_bitop2_b32 v8, 1, v14 bitop3:0x14
	s_delay_alu instid0(VALU_DEP_1) | instskip(SKIP_2) | instid1(VALU_DEP_2)
	v_cmp_gt_i32_e32 vcc_lo, 32, v8
	v_cndmask_b32_e32 v8, v14, v8, vcc_lo
	v_cmp_eq_u32_e32 vcc_lo, 31, v7
	v_lshlrev_b32_e32 v13, 2, v8
	ds_bpermute_b32 v8, v13, v0
	ds_bpermute_b32 v9, v13, v1
	;; [unrolled: 1-line block ×4, first 2 shown]
	s_and_b32 exec_lo, exec_lo, vcc_lo
	s_cbranch_execz .LBB99_23
; %bb.19:
	s_wait_dscnt 0x2
	v_add_f64_e32 v[8:9], v[0:1], v[8:9]
	s_wait_dscnt 0x0
	v_add_f64_e32 v[0:1], v[10:11], v[12:13]
	s_load_b64 s[0:1], s[0:1], 0x38
	s_mov_b32 s2, exec_lo
	v_cmpx_eq_f64_e32 0, v[4:5]
	s_xor_b32 s2, exec_lo, s2
	s_cbranch_execz .LBB99_21
; %bb.20:
	s_delay_alu instid0(VALU_DEP_3) | instskip(NEXT) | instid1(VALU_DEP_3)
	v_mul_f64_e32 v[8:9], v[2:3], v[8:9]
	v_dual_mul_f64 v[10:11], v[2:3], v[0:1] :: v_dual_lshlrev_b32 v0, 1, v6
                                        ; implicit-def: $vgpr6
                                        ; implicit-def: $vgpr2_vgpr3
                                        ; implicit-def: $vgpr4_vgpr5
	s_delay_alu instid0(VALU_DEP_1) | instskip(SKIP_1) | instid1(VALU_DEP_1)
	v_ashrrev_i32_e32 v1, 31, v0
	s_wait_kmcnt 0x0
	v_lshl_add_u64 v[0:1], v[0:1], 3, s[0:1]
	global_store_b128 v[0:1], v[8:11], off
                                        ; implicit-def: $vgpr8_vgpr9
                                        ; implicit-def: $vgpr0_vgpr1
.LBB99_21:
	s_wait_xcnt 0x0
	s_and_not1_saveexec_b32 s2, s2
	s_cbranch_execz .LBB99_23
; %bb.22:
	v_lshlrev_b32_e32 v6, 1, v6
	s_delay_alu instid0(VALU_DEP_1) | instskip(SKIP_1) | instid1(VALU_DEP_1)
	v_ashrrev_i32_e32 v7, 31, v6
	s_wait_kmcnt 0x0
	v_lshl_add_u64 v[14:15], v[6:7], 3, s[0:1]
	v_mul_f64_e32 v[6:7], v[2:3], v[8:9]
	v_mul_f64_e32 v[8:9], v[2:3], v[0:1]
	global_load_b128 v[10:13], v[14:15], off
	s_wait_loadcnt 0x0
	v_fmac_f64_e32 v[6:7], v[4:5], v[10:11]
	v_fmac_f64_e32 v[8:9], v[4:5], v[12:13]
	global_store_b128 v[14:15], v[6:9], off
.LBB99_23:
	s_endpgm
	.section	.rodata,"a",@progbits
	.p2align	6, 0x0
	.amdhsa_kernel _ZN9rocsparseL19gebsrmvn_2xn_kernelILj128ELj6ELj32EdEEvi20rocsparse_direction_NS_24const_host_device_scalarIT2_EEPKiS6_PKS3_S8_S4_PS3_21rocsparse_index_base_b
		.amdhsa_group_segment_fixed_size 0
		.amdhsa_private_segment_fixed_size 0
		.amdhsa_kernarg_size 72
		.amdhsa_user_sgpr_count 2
		.amdhsa_user_sgpr_dispatch_ptr 0
		.amdhsa_user_sgpr_queue_ptr 0
		.amdhsa_user_sgpr_kernarg_segment_ptr 1
		.amdhsa_user_sgpr_dispatch_id 0
		.amdhsa_user_sgpr_kernarg_preload_length 0
		.amdhsa_user_sgpr_kernarg_preload_offset 0
		.amdhsa_user_sgpr_private_segment_size 0
		.amdhsa_wavefront_size32 1
		.amdhsa_uses_dynamic_stack 0
		.amdhsa_enable_private_segment 0
		.amdhsa_system_sgpr_workgroup_id_x 1
		.amdhsa_system_sgpr_workgroup_id_y 0
		.amdhsa_system_sgpr_workgroup_id_z 0
		.amdhsa_system_sgpr_workgroup_info 0
		.amdhsa_system_vgpr_workitem_id 0
		.amdhsa_next_free_vgpr 54
		.amdhsa_next_free_sgpr 14
		.amdhsa_named_barrier_count 0
		.amdhsa_reserve_vcc 1
		.amdhsa_float_round_mode_32 0
		.amdhsa_float_round_mode_16_64 0
		.amdhsa_float_denorm_mode_32 3
		.amdhsa_float_denorm_mode_16_64 3
		.amdhsa_fp16_overflow 0
		.amdhsa_memory_ordered 1
		.amdhsa_forward_progress 1
		.amdhsa_inst_pref_size 14
		.amdhsa_round_robin_scheduling 0
		.amdhsa_exception_fp_ieee_invalid_op 0
		.amdhsa_exception_fp_denorm_src 0
		.amdhsa_exception_fp_ieee_div_zero 0
		.amdhsa_exception_fp_ieee_overflow 0
		.amdhsa_exception_fp_ieee_underflow 0
		.amdhsa_exception_fp_ieee_inexact 0
		.amdhsa_exception_int_div_zero 0
	.end_amdhsa_kernel
	.section	.text._ZN9rocsparseL19gebsrmvn_2xn_kernelILj128ELj6ELj32EdEEvi20rocsparse_direction_NS_24const_host_device_scalarIT2_EEPKiS6_PKS3_S8_S4_PS3_21rocsparse_index_base_b,"axG",@progbits,_ZN9rocsparseL19gebsrmvn_2xn_kernelILj128ELj6ELj32EdEEvi20rocsparse_direction_NS_24const_host_device_scalarIT2_EEPKiS6_PKS3_S8_S4_PS3_21rocsparse_index_base_b,comdat
.Lfunc_end99:
	.size	_ZN9rocsparseL19gebsrmvn_2xn_kernelILj128ELj6ELj32EdEEvi20rocsparse_direction_NS_24const_host_device_scalarIT2_EEPKiS6_PKS3_S8_S4_PS3_21rocsparse_index_base_b, .Lfunc_end99-_ZN9rocsparseL19gebsrmvn_2xn_kernelILj128ELj6ELj32EdEEvi20rocsparse_direction_NS_24const_host_device_scalarIT2_EEPKiS6_PKS3_S8_S4_PS3_21rocsparse_index_base_b
                                        ; -- End function
	.set _ZN9rocsparseL19gebsrmvn_2xn_kernelILj128ELj6ELj32EdEEvi20rocsparse_direction_NS_24const_host_device_scalarIT2_EEPKiS6_PKS3_S8_S4_PS3_21rocsparse_index_base_b.num_vgpr, 54
	.set _ZN9rocsparseL19gebsrmvn_2xn_kernelILj128ELj6ELj32EdEEvi20rocsparse_direction_NS_24const_host_device_scalarIT2_EEPKiS6_PKS3_S8_S4_PS3_21rocsparse_index_base_b.num_agpr, 0
	.set _ZN9rocsparseL19gebsrmvn_2xn_kernelILj128ELj6ELj32EdEEvi20rocsparse_direction_NS_24const_host_device_scalarIT2_EEPKiS6_PKS3_S8_S4_PS3_21rocsparse_index_base_b.numbered_sgpr, 14
	.set _ZN9rocsparseL19gebsrmvn_2xn_kernelILj128ELj6ELj32EdEEvi20rocsparse_direction_NS_24const_host_device_scalarIT2_EEPKiS6_PKS3_S8_S4_PS3_21rocsparse_index_base_b.num_named_barrier, 0
	.set _ZN9rocsparseL19gebsrmvn_2xn_kernelILj128ELj6ELj32EdEEvi20rocsparse_direction_NS_24const_host_device_scalarIT2_EEPKiS6_PKS3_S8_S4_PS3_21rocsparse_index_base_b.private_seg_size, 0
	.set _ZN9rocsparseL19gebsrmvn_2xn_kernelILj128ELj6ELj32EdEEvi20rocsparse_direction_NS_24const_host_device_scalarIT2_EEPKiS6_PKS3_S8_S4_PS3_21rocsparse_index_base_b.uses_vcc, 1
	.set _ZN9rocsparseL19gebsrmvn_2xn_kernelILj128ELj6ELj32EdEEvi20rocsparse_direction_NS_24const_host_device_scalarIT2_EEPKiS6_PKS3_S8_S4_PS3_21rocsparse_index_base_b.uses_flat_scratch, 0
	.set _ZN9rocsparseL19gebsrmvn_2xn_kernelILj128ELj6ELj32EdEEvi20rocsparse_direction_NS_24const_host_device_scalarIT2_EEPKiS6_PKS3_S8_S4_PS3_21rocsparse_index_base_b.has_dyn_sized_stack, 0
	.set _ZN9rocsparseL19gebsrmvn_2xn_kernelILj128ELj6ELj32EdEEvi20rocsparse_direction_NS_24const_host_device_scalarIT2_EEPKiS6_PKS3_S8_S4_PS3_21rocsparse_index_base_b.has_recursion, 0
	.set _ZN9rocsparseL19gebsrmvn_2xn_kernelILj128ELj6ELj32EdEEvi20rocsparse_direction_NS_24const_host_device_scalarIT2_EEPKiS6_PKS3_S8_S4_PS3_21rocsparse_index_base_b.has_indirect_call, 0
	.section	.AMDGPU.csdata,"",@progbits
; Kernel info:
; codeLenInByte = 1780
; TotalNumSgprs: 16
; NumVgprs: 54
; ScratchSize: 0
; MemoryBound: 0
; FloatMode: 240
; IeeeMode: 1
; LDSByteSize: 0 bytes/workgroup (compile time only)
; SGPRBlocks: 0
; VGPRBlocks: 3
; NumSGPRsForWavesPerEU: 16
; NumVGPRsForWavesPerEU: 54
; NamedBarCnt: 0
; Occupancy: 16
; WaveLimiterHint : 1
; COMPUTE_PGM_RSRC2:SCRATCH_EN: 0
; COMPUTE_PGM_RSRC2:USER_SGPR: 2
; COMPUTE_PGM_RSRC2:TRAP_HANDLER: 0
; COMPUTE_PGM_RSRC2:TGID_X_EN: 1
; COMPUTE_PGM_RSRC2:TGID_Y_EN: 0
; COMPUTE_PGM_RSRC2:TGID_Z_EN: 0
; COMPUTE_PGM_RSRC2:TIDIG_COMP_CNT: 0
	.section	.text._ZN9rocsparseL19gebsrmvn_2xn_kernelILj128ELj6ELj64EdEEvi20rocsparse_direction_NS_24const_host_device_scalarIT2_EEPKiS6_PKS3_S8_S4_PS3_21rocsparse_index_base_b,"axG",@progbits,_ZN9rocsparseL19gebsrmvn_2xn_kernelILj128ELj6ELj64EdEEvi20rocsparse_direction_NS_24const_host_device_scalarIT2_EEPKiS6_PKS3_S8_S4_PS3_21rocsparse_index_base_b,comdat
	.globl	_ZN9rocsparseL19gebsrmvn_2xn_kernelILj128ELj6ELj64EdEEvi20rocsparse_direction_NS_24const_host_device_scalarIT2_EEPKiS6_PKS3_S8_S4_PS3_21rocsparse_index_base_b ; -- Begin function _ZN9rocsparseL19gebsrmvn_2xn_kernelILj128ELj6ELj64EdEEvi20rocsparse_direction_NS_24const_host_device_scalarIT2_EEPKiS6_PKS3_S8_S4_PS3_21rocsparse_index_base_b
	.p2align	8
	.type	_ZN9rocsparseL19gebsrmvn_2xn_kernelILj128ELj6ELj64EdEEvi20rocsparse_direction_NS_24const_host_device_scalarIT2_EEPKiS6_PKS3_S8_S4_PS3_21rocsparse_index_base_b,@function
_ZN9rocsparseL19gebsrmvn_2xn_kernelILj128ELj6ELj64EdEEvi20rocsparse_direction_NS_24const_host_device_scalarIT2_EEPKiS6_PKS3_S8_S4_PS3_21rocsparse_index_base_b: ; @_ZN9rocsparseL19gebsrmvn_2xn_kernelILj128ELj6ELj64EdEEvi20rocsparse_direction_NS_24const_host_device_scalarIT2_EEPKiS6_PKS3_S8_S4_PS3_21rocsparse_index_base_b
; %bb.0:
	s_clause 0x2
	s_load_b64 s[12:13], s[0:1], 0x40
	s_load_b64 s[4:5], s[0:1], 0x8
	;; [unrolled: 1-line block ×3, first 2 shown]
	s_wait_kmcnt 0x0
	s_bitcmp1_b32 s13, 0
	v_mov_b64_e32 v[2:3], s[4:5]
	s_cselect_b32 s6, -1, 0
	s_delay_alu instid0(SALU_CYCLE_1)
	s_and_b32 vcc_lo, exec_lo, s6
	s_xor_b32 s6, s6, -1
	s_cbranch_vccnz .LBB100_2
; %bb.1:
	v_mov_b32_e32 v1, 0
	flat_load_b64 v[2:3], v1, s[4:5]
.LBB100_2:
	v_mov_b64_e32 v[4:5], s[2:3]
	s_and_not1_b32 vcc_lo, exec_lo, s6
	s_cbranch_vccnz .LBB100_4
; %bb.3:
	s_wait_xcnt 0x0
	v_mov_b32_e32 v1, 0
	flat_load_b64 v[4:5], v1, s[2:3]
.LBB100_4:
	s_wait_loadcnt_dscnt 0x0
	v_cmp_neq_f64_e32 vcc_lo, 0, v[2:3]
	s_delay_alu instid0(VALU_DEP_2) | instskip(SKIP_1) | instid1(SALU_CYCLE_1)
	v_cmp_neq_f64_e64 s2, 1.0, v[4:5]
	s_or_b32 s2, vcc_lo, s2
	s_and_saveexec_b32 s3, s2
	s_cbranch_execz .LBB100_23
; %bb.5:
	s_load_b64 s[2:3], s[0:1], 0x0
	s_bfe_u32 s4, ttmp6, 0x4000c
	s_and_b32 s5, ttmp6, 15
	s_add_co_i32 s4, s4, 1
	s_getreg_b32 s6, hwreg(HW_REG_IB_STS2, 6, 4)
	s_mul_i32 s4, ttmp9, s4
	v_lshrrev_b32_e32 v1, 6, v0
	s_add_co_i32 s5, s5, s4
	s_cmp_eq_u32 s6, 0
	s_cselect_b32 s4, ttmp9, s5
	s_delay_alu instid0(VALU_DEP_1) | instid1(SALU_CYCLE_1)
	v_lshl_or_b32 v6, s4, 1, v1
	s_wait_kmcnt 0x0
	s_delay_alu instid0(VALU_DEP_1)
	v_cmp_gt_i32_e32 vcc_lo, s2, v6
	s_and_b32 exec_lo, exec_lo, vcc_lo
	s_cbranch_execz .LBB100_23
; %bb.6:
	s_load_b256 s[4:11], s[0:1], 0x10
	v_ashrrev_i32_e32 v7, 31, v6
	s_cmp_lg_u32 s3, 0
	s_wait_kmcnt 0x0
	s_delay_alu instid0(VALU_DEP_1)
	v_lshl_add_u64 v[8:9], v[6:7], 2, s[4:5]
	v_and_b32_e32 v7, 63, v0
	global_load_b64 v[8:9], v[8:9], off
	s_wait_loadcnt 0x0
	v_subrev_nc_u32_e32 v0, s12, v8
	v_subrev_nc_u32_e32 v14, s12, v9
	s_delay_alu instid0(VALU_DEP_2) | instskip(NEXT) | instid1(VALU_DEP_1)
	v_add_nc_u32_e32 v15, v0, v7
	v_cmp_lt_i32_e64 s2, v15, v14
	s_cbranch_scc0 .LBB100_12
; %bb.7:
	v_mov_b64_e32 v[0:1], 0
	v_mov_b64_e32 v[8:9], 0
	s_and_saveexec_b32 s3, s2
	s_cbranch_execz .LBB100_11
; %bb.8:
	v_mad_u32 v10, v15, 12, 10
	v_mov_b64_e32 v[0:1], 0
	v_mov_b64_e32 v[8:9], 0
	v_dual_mov_b32 v13, 0 :: v_dual_mov_b32 v16, v15
	s_mov_b32 s4, 0
.LBB100_9:                              ; =>This Inner Loop Header: Depth=1
	global_load_b32 v11, v16, s[6:7] scale_offset
	v_dual_mov_b32 v43, v13 :: v_dual_add_nc_u32 v12, -10, v10
	s_wait_xcnt 0x0
	v_add_nc_u32_e32 v16, 64, v16
	s_delay_alu instid0(VALU_DEP_2) | instskip(SKIP_1) | instid1(VALU_DEP_3)
	v_lshl_add_u64 v[30:31], v[12:13], 3, s[8:9]
	v_add_nc_u32_e32 v12, -6, v10
	v_cmp_ge_i32_e32 vcc_lo, v16, v14
	s_or_b32 s4, vcc_lo, s4
	s_wait_loadcnt 0x0
	v_subrev_nc_u32_e32 v11, s12, v11
	s_delay_alu instid0(VALU_DEP_1) | instskip(SKIP_2) | instid1(VALU_DEP_3)
	v_mul_lo_u32 v42, v11, 6
	v_mov_b32_e32 v11, v13
	v_lshl_add_u64 v[38:39], v[12:13], 3, s[8:9]
	v_lshl_add_u64 v[32:33], v[42:43], 3, s[10:11]
	s_clause 0x1
	global_load_b128 v[18:21], v[30:31], off offset:16
	global_load_b128 v[22:25], v[30:31], off
	global_load_b128 v[26:29], v[32:33], off
	v_add_nc_u32_e32 v12, 2, v42
	s_delay_alu instid0(VALU_DEP_1) | instskip(SKIP_4) | instid1(VALU_DEP_1)
	v_lshl_add_u64 v[40:41], v[12:13], 3, s[10:11]
	global_load_b128 v[30:33], v[38:39], off
	global_load_b128 v[34:37], v[40:41], off
	v_add_nc_u32_e32 v12, -4, v10
	s_wait_xcnt 0x1
	v_lshl_add_u64 v[38:39], v[12:13], 3, s[8:9]
	v_add_nc_u32_e32 v12, -2, v10
	global_load_b128 v[38:41], v[38:39], off
	v_lshl_add_u64 v[50:51], v[12:13], 3, s[8:9]
	v_add_nc_u32_e32 v12, 4, v42
	s_delay_alu instid0(VALU_DEP_1)
	v_lshl_add_u64 v[52:53], v[12:13], 3, s[10:11]
	global_load_b128 v[42:45], v[50:51], off
	global_load_b128 v[46:49], v[52:53], off
	s_wait_xcnt 0x1
	v_lshl_add_u64 v[50:51], v[10:11], 3, s[8:9]
	v_add_nc_u32_e32 v10, 0x300, v10
	global_load_b128 v[50:53], v[50:51], off
	s_wait_loadcnt 0x6
	v_fmac_f64_e32 v[0:1], v[22:23], v[26:27]
	v_fmac_f64_e32 v[8:9], v[24:25], v[26:27]
	s_delay_alu instid0(VALU_DEP_2) | instskip(NEXT) | instid1(VALU_DEP_2)
	v_fmac_f64_e32 v[0:1], v[18:19], v[28:29]
	v_fmac_f64_e32 v[8:9], v[20:21], v[28:29]
	s_wait_loadcnt 0x4
	s_delay_alu instid0(VALU_DEP_2) | instskip(NEXT) | instid1(VALU_DEP_2)
	v_fmac_f64_e32 v[0:1], v[30:31], v[34:35]
	v_fmac_f64_e32 v[8:9], v[32:33], v[34:35]
	s_wait_loadcnt 0x3
	;; [unrolled: 4-line block ×4, first 2 shown]
	s_delay_alu instid0(VALU_DEP_2) | instskip(NEXT) | instid1(VALU_DEP_2)
	v_fmac_f64_e32 v[0:1], v[50:51], v[48:49]
	v_fmac_f64_e32 v[8:9], v[52:53], v[48:49]
	s_and_not1_b32 exec_lo, exec_lo, s4
	s_cbranch_execnz .LBB100_9
; %bb.10:
	s_or_b32 exec_lo, exec_lo, s4
.LBB100_11:
	s_delay_alu instid0(SALU_CYCLE_1)
	s_or_b32 exec_lo, exec_lo, s3
	s_cbranch_execz .LBB100_13
	s_branch .LBB100_18
.LBB100_12:
                                        ; implicit-def: $vgpr0_vgpr1
                                        ; implicit-def: $vgpr8_vgpr9
.LBB100_13:
	v_mov_b64_e32 v[0:1], 0
	v_mov_b64_e32 v[8:9], 0
	s_and_saveexec_b32 s3, s2
	s_cbranch_execz .LBB100_17
; %bb.14:
	v_mad_u32 v12, v15, 12, 11
	v_mov_b64_e32 v[0:1], 0
	v_mov_b64_e32 v[8:9], 0
	v_mov_b32_e32 v11, 0
	s_mov_b32 s2, 0
.LBB100_15:                             ; =>This Inner Loop Header: Depth=1
	global_load_b32 v10, v15, s[6:7] scale_offset
	v_dual_add_nc_u32 v13, -5, v12 :: v_dual_mov_b32 v33, v11
	s_wait_xcnt 0x0
	v_dual_add_nc_u32 v15, 64, v15 :: v_dual_add_nc_u32 v50, -1, v12
	s_delay_alu instid0(VALU_DEP_1) | instskip(SKIP_3) | instid1(VALU_DEP_1)
	v_cmp_ge_i32_e32 vcc_lo, v15, v14
	s_or_b32 s2, vcc_lo, s2
	s_wait_loadcnt 0x0
	v_subrev_nc_u32_e32 v10, s12, v10
	v_mul_lo_u32 v32, v10, 6
	v_add_nc_u32_e32 v10, -11, v12
	s_delay_alu instid0(VALU_DEP_1) | instskip(SKIP_1) | instid1(VALU_DEP_4)
	v_lshl_add_u64 v[34:35], v[10:11], 3, s[8:9]
	v_add_nc_u32_e32 v10, -4, v12
	v_lshl_add_u64 v[24:25], v[32:33], 3, s[10:11]
	s_clause 0x1
	global_load_b128 v[16:19], v[34:35], off
	global_load_b64 v[36:37], v13, s[8:9] scale_offset
	global_load_b128 v[20:23], v[24:25], off
	global_load_b64 v[38:39], v10, s[8:9] scale_offset
	s_wait_xcnt 0x0
	v_add_nc_u32_e32 v10, 2, v32
	v_add_nc_u32_e32 v13, -3, v12
	s_delay_alu instid0(VALU_DEP_2)
	v_lshl_add_u64 v[40:41], v[10:11], 3, s[10:11]
	v_add_nc_u32_e32 v10, -2, v12
	s_clause 0x1
	global_load_b64 v[42:43], v13, s[8:9] scale_offset
	global_load_b128 v[24:27], v[34:35], off offset:16
	global_load_b128 v[28:31], v[40:41], off
	s_wait_xcnt 0x2
	v_add_nc_u32_e32 v13, -7, v12
	global_load_b64 v[40:41], v10, s[8:9] scale_offset
	s_wait_xcnt 0x0
	v_add_nc_u32_e32 v10, 4, v32
	s_delay_alu instid0(VALU_DEP_1)
	v_lshl_add_u64 v[44:45], v[10:11], 3, s[10:11]
	s_clause 0x1
	global_load_b64 v[46:47], v13, s[8:9] scale_offset
	global_load_b64 v[48:49], v50, s[8:9] scale_offset
	global_load_b128 v[32:35], v[44:45], off
	v_add_nc_u32_e32 v10, -6, v12
	s_clause 0x1
	global_load_b64 v[44:45], v10, s[8:9] scale_offset
	global_load_b64 v[50:51], v12, s[8:9] scale_offset
	s_wait_xcnt 0x0
	v_add_nc_u32_e32 v12, 0x300, v12
	s_wait_loadcnt 0xa
	v_fmac_f64_e32 v[0:1], v[16:17], v[20:21]
	v_fmac_f64_e32 v[8:9], v[36:37], v[20:21]
	s_delay_alu instid0(VALU_DEP_2) | instskip(SKIP_1) | instid1(VALU_DEP_2)
	v_fmac_f64_e32 v[0:1], v[18:19], v[22:23]
	s_wait_loadcnt 0x9
	v_fmac_f64_e32 v[8:9], v[38:39], v[22:23]
	s_wait_loadcnt 0x6
	s_delay_alu instid0(VALU_DEP_2) | instskip(NEXT) | instid1(VALU_DEP_2)
	v_fmac_f64_e32 v[0:1], v[24:25], v[28:29]
	v_fmac_f64_e32 v[8:9], v[42:43], v[28:29]
	s_delay_alu instid0(VALU_DEP_2) | instskip(SKIP_1) | instid1(VALU_DEP_2)
	v_fmac_f64_e32 v[0:1], v[26:27], v[30:31]
	s_wait_loadcnt 0x5
	v_fmac_f64_e32 v[8:9], v[40:41], v[30:31]
	s_wait_loadcnt 0x2
	s_delay_alu instid0(VALU_DEP_2) | instskip(NEXT) | instid1(VALU_DEP_2)
	v_fmac_f64_e32 v[0:1], v[46:47], v[32:33]
	v_fmac_f64_e32 v[8:9], v[48:49], v[32:33]
	s_wait_loadcnt 0x1
	s_delay_alu instid0(VALU_DEP_2) | instskip(SKIP_1) | instid1(VALU_DEP_2)
	v_fmac_f64_e32 v[0:1], v[44:45], v[34:35]
	s_wait_loadcnt 0x0
	v_fmac_f64_e32 v[8:9], v[50:51], v[34:35]
	s_and_not1_b32 exec_lo, exec_lo, s2
	s_cbranch_execnz .LBB100_15
; %bb.16:
	s_or_b32 exec_lo, exec_lo, s2
.LBB100_17:
	s_delay_alu instid0(SALU_CYCLE_1)
	s_or_b32 exec_lo, exec_lo, s3
.LBB100_18:
	v_mbcnt_lo_u32_b32 v14, -1, 0
	s_delay_alu instid0(VALU_DEP_1) | instskip(NEXT) | instid1(VALU_DEP_1)
	v_or_b32_e32 v10, 32, v14
	v_cmp_gt_i32_e32 vcc_lo, 32, v10
	v_cndmask_b32_e32 v10, v14, v10, vcc_lo
	s_delay_alu instid0(VALU_DEP_1)
	v_lshlrev_b32_e32 v13, 2, v10
	ds_bpermute_b32 v10, v13, v0
	ds_bpermute_b32 v11, v13, v1
	s_wait_dscnt 0x0
	v_add_f64_e32 v[0:1], v[0:1], v[10:11]
	v_xor_b32_e32 v10, 16, v14
	s_delay_alu instid0(VALU_DEP_1)
	v_cmp_gt_i32_e32 vcc_lo, 32, v10
	v_cndmask_b32_e32 v10, v14, v10, vcc_lo
	ds_bpermute_b32 v12, v13, v8
	ds_bpermute_b32 v13, v13, v9
	s_wait_dscnt 0x0
	v_dual_add_f64 v[8:9], v[8:9], v[12:13] :: v_dual_lshlrev_b32 v13, 2, v10
	ds_bpermute_b32 v10, v13, v0
	ds_bpermute_b32 v11, v13, v1
	s_wait_dscnt 0x0
	v_add_f64_e32 v[0:1], v[0:1], v[10:11]
	v_xor_b32_e32 v10, 8, v14
	s_delay_alu instid0(VALU_DEP_1)
	v_cmp_gt_i32_e32 vcc_lo, 32, v10
	v_cndmask_b32_e32 v10, v14, v10, vcc_lo
	ds_bpermute_b32 v12, v13, v8
	ds_bpermute_b32 v13, v13, v9
	s_wait_dscnt 0x0
	v_dual_add_f64 v[8:9], v[8:9], v[12:13] :: v_dual_lshlrev_b32 v13, 2, v10
	;; [unrolled: 12-line block ×4, first 2 shown]
	ds_bpermute_b32 v10, v13, v0
	ds_bpermute_b32 v11, v13, v1
	s_wait_dscnt 0x0
	v_add_f64_e32 v[0:1], v[0:1], v[10:11]
	ds_bpermute_b32 v12, v13, v8
	ds_bpermute_b32 v13, v13, v9
	s_wait_dscnt 0x0
	v_dual_add_f64 v[10:11], v[8:9], v[12:13] :: v_dual_bitop2_b32 v8, 1, v14 bitop3:0x14
	s_delay_alu instid0(VALU_DEP_1) | instskip(SKIP_2) | instid1(VALU_DEP_2)
	v_cmp_gt_i32_e32 vcc_lo, 32, v8
	v_cndmask_b32_e32 v8, v14, v8, vcc_lo
	v_cmp_eq_u32_e32 vcc_lo, 63, v7
	v_lshlrev_b32_e32 v13, 2, v8
	ds_bpermute_b32 v8, v13, v0
	ds_bpermute_b32 v9, v13, v1
	;; [unrolled: 1-line block ×4, first 2 shown]
	s_and_b32 exec_lo, exec_lo, vcc_lo
	s_cbranch_execz .LBB100_23
; %bb.19:
	s_wait_dscnt 0x2
	v_add_f64_e32 v[8:9], v[0:1], v[8:9]
	s_wait_dscnt 0x0
	v_add_f64_e32 v[0:1], v[10:11], v[12:13]
	s_load_b64 s[0:1], s[0:1], 0x38
	s_mov_b32 s2, exec_lo
	v_cmpx_eq_f64_e32 0, v[4:5]
	s_xor_b32 s2, exec_lo, s2
	s_cbranch_execz .LBB100_21
; %bb.20:
	s_delay_alu instid0(VALU_DEP_3) | instskip(NEXT) | instid1(VALU_DEP_3)
	v_mul_f64_e32 v[8:9], v[2:3], v[8:9]
	v_dual_mul_f64 v[10:11], v[2:3], v[0:1] :: v_dual_lshlrev_b32 v0, 1, v6
                                        ; implicit-def: $vgpr6
                                        ; implicit-def: $vgpr2_vgpr3
                                        ; implicit-def: $vgpr4_vgpr5
	s_delay_alu instid0(VALU_DEP_1) | instskip(SKIP_1) | instid1(VALU_DEP_1)
	v_ashrrev_i32_e32 v1, 31, v0
	s_wait_kmcnt 0x0
	v_lshl_add_u64 v[0:1], v[0:1], 3, s[0:1]
	global_store_b128 v[0:1], v[8:11], off
                                        ; implicit-def: $vgpr8_vgpr9
                                        ; implicit-def: $vgpr0_vgpr1
.LBB100_21:
	s_wait_xcnt 0x0
	s_and_not1_saveexec_b32 s2, s2
	s_cbranch_execz .LBB100_23
; %bb.22:
	v_lshlrev_b32_e32 v6, 1, v6
	s_delay_alu instid0(VALU_DEP_1) | instskip(SKIP_1) | instid1(VALU_DEP_1)
	v_ashrrev_i32_e32 v7, 31, v6
	s_wait_kmcnt 0x0
	v_lshl_add_u64 v[14:15], v[6:7], 3, s[0:1]
	v_mul_f64_e32 v[6:7], v[2:3], v[8:9]
	v_mul_f64_e32 v[8:9], v[2:3], v[0:1]
	global_load_b128 v[10:13], v[14:15], off
	s_wait_loadcnt 0x0
	v_fmac_f64_e32 v[6:7], v[4:5], v[10:11]
	v_fmac_f64_e32 v[8:9], v[4:5], v[12:13]
	global_store_b128 v[14:15], v[6:9], off
.LBB100_23:
	s_endpgm
	.section	.rodata,"a",@progbits
	.p2align	6, 0x0
	.amdhsa_kernel _ZN9rocsparseL19gebsrmvn_2xn_kernelILj128ELj6ELj64EdEEvi20rocsparse_direction_NS_24const_host_device_scalarIT2_EEPKiS6_PKS3_S8_S4_PS3_21rocsparse_index_base_b
		.amdhsa_group_segment_fixed_size 0
		.amdhsa_private_segment_fixed_size 0
		.amdhsa_kernarg_size 72
		.amdhsa_user_sgpr_count 2
		.amdhsa_user_sgpr_dispatch_ptr 0
		.amdhsa_user_sgpr_queue_ptr 0
		.amdhsa_user_sgpr_kernarg_segment_ptr 1
		.amdhsa_user_sgpr_dispatch_id 0
		.amdhsa_user_sgpr_kernarg_preload_length 0
		.amdhsa_user_sgpr_kernarg_preload_offset 0
		.amdhsa_user_sgpr_private_segment_size 0
		.amdhsa_wavefront_size32 1
		.amdhsa_uses_dynamic_stack 0
		.amdhsa_enable_private_segment 0
		.amdhsa_system_sgpr_workgroup_id_x 1
		.amdhsa_system_sgpr_workgroup_id_y 0
		.amdhsa_system_sgpr_workgroup_id_z 0
		.amdhsa_system_sgpr_workgroup_info 0
		.amdhsa_system_vgpr_workitem_id 0
		.amdhsa_next_free_vgpr 54
		.amdhsa_next_free_sgpr 14
		.amdhsa_named_barrier_count 0
		.amdhsa_reserve_vcc 1
		.amdhsa_float_round_mode_32 0
		.amdhsa_float_round_mode_16_64 0
		.amdhsa_float_denorm_mode_32 3
		.amdhsa_float_denorm_mode_16_64 3
		.amdhsa_fp16_overflow 0
		.amdhsa_memory_ordered 1
		.amdhsa_forward_progress 1
		.amdhsa_inst_pref_size 15
		.amdhsa_round_robin_scheduling 0
		.amdhsa_exception_fp_ieee_invalid_op 0
		.amdhsa_exception_fp_denorm_src 0
		.amdhsa_exception_fp_ieee_div_zero 0
		.amdhsa_exception_fp_ieee_overflow 0
		.amdhsa_exception_fp_ieee_underflow 0
		.amdhsa_exception_fp_ieee_inexact 0
		.amdhsa_exception_int_div_zero 0
	.end_amdhsa_kernel
	.section	.text._ZN9rocsparseL19gebsrmvn_2xn_kernelILj128ELj6ELj64EdEEvi20rocsparse_direction_NS_24const_host_device_scalarIT2_EEPKiS6_PKS3_S8_S4_PS3_21rocsparse_index_base_b,"axG",@progbits,_ZN9rocsparseL19gebsrmvn_2xn_kernelILj128ELj6ELj64EdEEvi20rocsparse_direction_NS_24const_host_device_scalarIT2_EEPKiS6_PKS3_S8_S4_PS3_21rocsparse_index_base_b,comdat
.Lfunc_end100:
	.size	_ZN9rocsparseL19gebsrmvn_2xn_kernelILj128ELj6ELj64EdEEvi20rocsparse_direction_NS_24const_host_device_scalarIT2_EEPKiS6_PKS3_S8_S4_PS3_21rocsparse_index_base_b, .Lfunc_end100-_ZN9rocsparseL19gebsrmvn_2xn_kernelILj128ELj6ELj64EdEEvi20rocsparse_direction_NS_24const_host_device_scalarIT2_EEPKiS6_PKS3_S8_S4_PS3_21rocsparse_index_base_b
                                        ; -- End function
	.set _ZN9rocsparseL19gebsrmvn_2xn_kernelILj128ELj6ELj64EdEEvi20rocsparse_direction_NS_24const_host_device_scalarIT2_EEPKiS6_PKS3_S8_S4_PS3_21rocsparse_index_base_b.num_vgpr, 54
	.set _ZN9rocsparseL19gebsrmvn_2xn_kernelILj128ELj6ELj64EdEEvi20rocsparse_direction_NS_24const_host_device_scalarIT2_EEPKiS6_PKS3_S8_S4_PS3_21rocsparse_index_base_b.num_agpr, 0
	.set _ZN9rocsparseL19gebsrmvn_2xn_kernelILj128ELj6ELj64EdEEvi20rocsparse_direction_NS_24const_host_device_scalarIT2_EEPKiS6_PKS3_S8_S4_PS3_21rocsparse_index_base_b.numbered_sgpr, 14
	.set _ZN9rocsparseL19gebsrmvn_2xn_kernelILj128ELj6ELj64EdEEvi20rocsparse_direction_NS_24const_host_device_scalarIT2_EEPKiS6_PKS3_S8_S4_PS3_21rocsparse_index_base_b.num_named_barrier, 0
	.set _ZN9rocsparseL19gebsrmvn_2xn_kernelILj128ELj6ELj64EdEEvi20rocsparse_direction_NS_24const_host_device_scalarIT2_EEPKiS6_PKS3_S8_S4_PS3_21rocsparse_index_base_b.private_seg_size, 0
	.set _ZN9rocsparseL19gebsrmvn_2xn_kernelILj128ELj6ELj64EdEEvi20rocsparse_direction_NS_24const_host_device_scalarIT2_EEPKiS6_PKS3_S8_S4_PS3_21rocsparse_index_base_b.uses_vcc, 1
	.set _ZN9rocsparseL19gebsrmvn_2xn_kernelILj128ELj6ELj64EdEEvi20rocsparse_direction_NS_24const_host_device_scalarIT2_EEPKiS6_PKS3_S8_S4_PS3_21rocsparse_index_base_b.uses_flat_scratch, 0
	.set _ZN9rocsparseL19gebsrmvn_2xn_kernelILj128ELj6ELj64EdEEvi20rocsparse_direction_NS_24const_host_device_scalarIT2_EEPKiS6_PKS3_S8_S4_PS3_21rocsparse_index_base_b.has_dyn_sized_stack, 0
	.set _ZN9rocsparseL19gebsrmvn_2xn_kernelILj128ELj6ELj64EdEEvi20rocsparse_direction_NS_24const_host_device_scalarIT2_EEPKiS6_PKS3_S8_S4_PS3_21rocsparse_index_base_b.has_recursion, 0
	.set _ZN9rocsparseL19gebsrmvn_2xn_kernelILj128ELj6ELj64EdEEvi20rocsparse_direction_NS_24const_host_device_scalarIT2_EEPKiS6_PKS3_S8_S4_PS3_21rocsparse_index_base_b.has_indirect_call, 0
	.section	.AMDGPU.csdata,"",@progbits
; Kernel info:
; codeLenInByte = 1852
; TotalNumSgprs: 16
; NumVgprs: 54
; ScratchSize: 0
; MemoryBound: 0
; FloatMode: 240
; IeeeMode: 1
; LDSByteSize: 0 bytes/workgroup (compile time only)
; SGPRBlocks: 0
; VGPRBlocks: 3
; NumSGPRsForWavesPerEU: 16
; NumVGPRsForWavesPerEU: 54
; NamedBarCnt: 0
; Occupancy: 16
; WaveLimiterHint : 1
; COMPUTE_PGM_RSRC2:SCRATCH_EN: 0
; COMPUTE_PGM_RSRC2:USER_SGPR: 2
; COMPUTE_PGM_RSRC2:TRAP_HANDLER: 0
; COMPUTE_PGM_RSRC2:TGID_X_EN: 1
; COMPUTE_PGM_RSRC2:TGID_Y_EN: 0
; COMPUTE_PGM_RSRC2:TGID_Z_EN: 0
; COMPUTE_PGM_RSRC2:TIDIG_COMP_CNT: 0
	.section	.text._ZN9rocsparseL19gebsrmvn_2xn_kernelILj128ELj7ELj4EdEEvi20rocsparse_direction_NS_24const_host_device_scalarIT2_EEPKiS6_PKS3_S8_S4_PS3_21rocsparse_index_base_b,"axG",@progbits,_ZN9rocsparseL19gebsrmvn_2xn_kernelILj128ELj7ELj4EdEEvi20rocsparse_direction_NS_24const_host_device_scalarIT2_EEPKiS6_PKS3_S8_S4_PS3_21rocsparse_index_base_b,comdat
	.globl	_ZN9rocsparseL19gebsrmvn_2xn_kernelILj128ELj7ELj4EdEEvi20rocsparse_direction_NS_24const_host_device_scalarIT2_EEPKiS6_PKS3_S8_S4_PS3_21rocsparse_index_base_b ; -- Begin function _ZN9rocsparseL19gebsrmvn_2xn_kernelILj128ELj7ELj4EdEEvi20rocsparse_direction_NS_24const_host_device_scalarIT2_EEPKiS6_PKS3_S8_S4_PS3_21rocsparse_index_base_b
	.p2align	8
	.type	_ZN9rocsparseL19gebsrmvn_2xn_kernelILj128ELj7ELj4EdEEvi20rocsparse_direction_NS_24const_host_device_scalarIT2_EEPKiS6_PKS3_S8_S4_PS3_21rocsparse_index_base_b,@function
_ZN9rocsparseL19gebsrmvn_2xn_kernelILj128ELj7ELj4EdEEvi20rocsparse_direction_NS_24const_host_device_scalarIT2_EEPKiS6_PKS3_S8_S4_PS3_21rocsparse_index_base_b: ; @_ZN9rocsparseL19gebsrmvn_2xn_kernelILj128ELj7ELj4EdEEvi20rocsparse_direction_NS_24const_host_device_scalarIT2_EEPKiS6_PKS3_S8_S4_PS3_21rocsparse_index_base_b
; %bb.0:
	s_clause 0x2
	s_load_b64 s[12:13], s[0:1], 0x40
	s_load_b64 s[4:5], s[0:1], 0x8
	;; [unrolled: 1-line block ×3, first 2 shown]
	s_wait_kmcnt 0x0
	s_bitcmp1_b32 s13, 0
	v_mov_b64_e32 v[2:3], s[4:5]
	s_cselect_b32 s6, -1, 0
	s_delay_alu instid0(SALU_CYCLE_1)
	s_and_b32 vcc_lo, exec_lo, s6
	s_xor_b32 s6, s6, -1
	s_cbranch_vccnz .LBB101_2
; %bb.1:
	v_mov_b32_e32 v1, 0
	flat_load_b64 v[2:3], v1, s[4:5]
.LBB101_2:
	v_mov_b64_e32 v[4:5], s[2:3]
	s_and_not1_b32 vcc_lo, exec_lo, s6
	s_cbranch_vccnz .LBB101_4
; %bb.3:
	s_wait_xcnt 0x0
	v_mov_b32_e32 v1, 0
	flat_load_b64 v[4:5], v1, s[2:3]
.LBB101_4:
	s_wait_loadcnt_dscnt 0x0
	v_cmp_neq_f64_e32 vcc_lo, 0, v[2:3]
	s_delay_alu instid0(VALU_DEP_2) | instskip(SKIP_1) | instid1(SALU_CYCLE_1)
	v_cmp_neq_f64_e64 s2, 1.0, v[4:5]
	s_or_b32 s2, vcc_lo, s2
	s_and_saveexec_b32 s3, s2
	s_cbranch_execz .LBB101_23
; %bb.5:
	s_load_b64 s[2:3], s[0:1], 0x0
	s_bfe_u32 s4, ttmp6, 0x4000c
	s_and_b32 s5, ttmp6, 15
	s_add_co_i32 s4, s4, 1
	s_getreg_b32 s6, hwreg(HW_REG_IB_STS2, 6, 4)
	s_mul_i32 s4, ttmp9, s4
	v_lshrrev_b32_e32 v1, 2, v0
	s_add_co_i32 s5, s5, s4
	s_cmp_eq_u32 s6, 0
	s_cselect_b32 s4, ttmp9, s5
	s_delay_alu instid0(VALU_DEP_1) | instid1(SALU_CYCLE_1)
	v_lshl_or_b32 v6, s4, 5, v1
	s_wait_kmcnt 0x0
	s_delay_alu instid0(VALU_DEP_1)
	v_cmp_gt_i32_e32 vcc_lo, s2, v6
	s_and_b32 exec_lo, exec_lo, vcc_lo
	s_cbranch_execz .LBB101_23
; %bb.6:
	s_load_b256 s[4:11], s[0:1], 0x10
	v_ashrrev_i32_e32 v7, 31, v6
	s_cmp_lg_u32 s3, 0
	s_wait_kmcnt 0x0
	s_delay_alu instid0(VALU_DEP_1)
	v_lshl_add_u64 v[8:9], v[6:7], 2, s[4:5]
	v_and_b32_e32 v7, 3, v0
	global_load_b64 v[8:9], v[8:9], off
	s_wait_loadcnt 0x0
	v_subrev_nc_u32_e32 v0, s12, v8
	v_subrev_nc_u32_e32 v14, s12, v9
	s_delay_alu instid0(VALU_DEP_2) | instskip(NEXT) | instid1(VALU_DEP_1)
	v_add_nc_u32_e32 v15, v0, v7
	v_cmp_lt_i32_e64 s2, v15, v14
	s_cbranch_scc0 .LBB101_12
; %bb.7:
	v_mov_b64_e32 v[0:1], 0
	v_mov_b64_e32 v[8:9], 0
	s_and_saveexec_b32 s3, s2
	s_cbranch_execz .LBB101_11
; %bb.8:
	v_mad_u32 v10, v15, 14, 12
	v_mov_b64_e32 v[0:1], 0
	v_mov_b64_e32 v[8:9], 0
	v_dual_mov_b32 v13, 0 :: v_dual_mov_b32 v16, v15
	s_mov_b32 s4, 0
.LBB101_9:                              ; =>This Inner Loop Header: Depth=1
	global_load_b32 v11, v16, s[6:7] scale_offset
	s_wait_xcnt 0x0
	v_add_nc_u32_e32 v16, 4, v16
	s_delay_alu instid0(VALU_DEP_1) | instskip(SKIP_3) | instid1(VALU_DEP_1)
	v_cmp_ge_i32_e32 vcc_lo, v16, v14
	s_or_b32 s4, vcc_lo, s4
	s_wait_loadcnt 0x0
	v_subrev_nc_u32_e32 v11, s12, v11
	v_mul_lo_u32 v17, v11, 7
	s_delay_alu instid0(VALU_DEP_1) | instskip(NEXT) | instid1(VALU_DEP_1)
	v_dual_add_nc_u32 v12, -12, v10 :: v_dual_add_nc_u32 v11, 1, v17
	v_lshl_add_u64 v[22:23], v[12:13], 3, s[8:9]
	global_load_b128 v[18:21], v[22:23], off
	global_load_b64 v[46:47], v17, s[10:11] scale_offset
	v_add_nc_u32_e32 v12, -10, v10
	s_delay_alu instid0(VALU_DEP_1) | instskip(SKIP_4) | instid1(VALU_DEP_1)
	v_lshl_add_u64 v[26:27], v[12:13], 3, s[8:9]
	global_load_b128 v[22:25], v[26:27], off
	global_load_b64 v[48:49], v11, s[10:11] scale_offset
	s_wait_xcnt 0x0
	v_dual_add_nc_u32 v12, -8, v10 :: v_dual_add_nc_u32 v11, 2, v17
	v_lshl_add_u64 v[30:31], v[12:13], 3, s[8:9]
	global_load_b128 v[26:29], v[30:31], off
	global_load_b64 v[50:51], v11, s[10:11] scale_offset
	s_wait_xcnt 0x0
	v_dual_add_nc_u32 v12, -6, v10 :: v_dual_add_nc_u32 v11, 3, v17
	s_delay_alu instid0(VALU_DEP_1) | instskip(SKIP_4) | instid1(VALU_DEP_1)
	v_lshl_add_u64 v[34:35], v[12:13], 3, s[8:9]
	global_load_b128 v[30:33], v[34:35], off
	global_load_b64 v[52:53], v11, s[10:11] scale_offset
	s_wait_xcnt 0x0
	v_dual_add_nc_u32 v12, -4, v10 :: v_dual_add_nc_u32 v11, 4, v17
	v_lshl_add_u64 v[38:39], v[12:13], 3, s[8:9]
	global_load_b128 v[34:37], v[38:39], off
	global_load_b64 v[54:55], v11, s[10:11] scale_offset
	s_wait_xcnt 0x0
	v_dual_add_nc_u32 v12, -2, v10 :: v_dual_add_nc_u32 v11, 5, v17
	s_delay_alu instid0(VALU_DEP_1) | instskip(SKIP_4) | instid1(VALU_DEP_1)
	v_lshl_add_u64 v[42:43], v[12:13], 3, s[8:9]
	global_load_b128 v[38:41], v[42:43], off
	global_load_b64 v[56:57], v11, s[10:11] scale_offset
	s_wait_xcnt 0x0
	v_mov_b32_e32 v11, v13
	v_lshl_add_u64 v[58:59], v[10:11], 3, s[8:9]
	v_add_nc_u32_e32 v11, 6, v17
	global_load_b128 v[42:45], v[58:59], off
	global_load_b64 v[60:61], v11, s[10:11] scale_offset
	v_add_nc_u32_e32 v10, 56, v10
	s_wait_loadcnt 0xc
	v_fmac_f64_e32 v[0:1], v[18:19], v[46:47]
	v_fmac_f64_e32 v[8:9], v[20:21], v[46:47]
	s_wait_loadcnt 0xa
	s_delay_alu instid0(VALU_DEP_2) | instskip(NEXT) | instid1(VALU_DEP_2)
	v_fmac_f64_e32 v[0:1], v[22:23], v[48:49]
	v_fmac_f64_e32 v[8:9], v[24:25], v[48:49]
	s_wait_loadcnt 0x8
	s_delay_alu instid0(VALU_DEP_2) | instskip(NEXT) | instid1(VALU_DEP_2)
	;; [unrolled: 4-line block ×6, first 2 shown]
	v_fmac_f64_e32 v[0:1], v[42:43], v[60:61]
	v_fmac_f64_e32 v[8:9], v[44:45], v[60:61]
	s_and_not1_b32 exec_lo, exec_lo, s4
	s_cbranch_execnz .LBB101_9
; %bb.10:
	s_or_b32 exec_lo, exec_lo, s4
.LBB101_11:
	s_delay_alu instid0(SALU_CYCLE_1)
	s_or_b32 exec_lo, exec_lo, s3
	s_cbranch_execz .LBB101_13
	s_branch .LBB101_18
.LBB101_12:
                                        ; implicit-def: $vgpr0_vgpr1
                                        ; implicit-def: $vgpr8_vgpr9
.LBB101_13:
	v_mov_b64_e32 v[0:1], 0
	v_mov_b64_e32 v[8:9], 0
	s_and_saveexec_b32 s3, s2
	s_cbranch_execz .LBB101_17
; %bb.14:
	v_mad_u32 v12, v15, 14, 13
	v_mov_b64_e32 v[0:1], 0
	v_mov_b64_e32 v[8:9], 0
	v_mov_b32_e32 v11, 0
	s_mov_b32 s2, 0
.LBB101_15:                             ; =>This Inner Loop Header: Depth=1
	global_load_b32 v10, v15, s[6:7] scale_offset
	s_wait_xcnt 0x0
	v_dual_add_nc_u32 v15, 4, v15 :: v_dual_add_nc_u32 v26, -6, v12
	v_dual_add_nc_u32 v34, -4, v12 :: v_dual_add_nc_u32 v46, -2, v12
	s_wait_loadcnt 0x0
	v_subrev_nc_u32_e32 v10, s12, v10
	s_delay_alu instid0(VALU_DEP_1) | instskip(SKIP_2) | instid1(VALU_DEP_2)
	v_mul_lo_u32 v13, v10, 7
	v_dual_add_nc_u32 v10, -13, v12 :: v_dual_add_nc_u32 v40, -3, v12
	v_add_nc_u32_e32 v52, -1, v12
	v_lshl_add_u64 v[20:21], v[10:11], 3, s[8:9]
	s_clause 0x1
	global_load_b128 v[16:19], v[20:21], off
	global_load_b64 v[22:23], v26, s[8:9] scale_offset
	global_load_b64 v[24:25], v13, s[10:11] scale_offset
	v_dual_add_nc_u32 v10, -5, v12 :: v_dual_add_nc_u32 v28, 1, v13
	global_load_b64 v[20:21], v10, s[8:9] scale_offset
	global_load_b64 v[26:27], v28, s[10:11] scale_offset
	s_wait_xcnt 0x1
	v_dual_add_nc_u32 v10, -11, v12 :: v_dual_add_nc_u32 v35, 2, v13
	s_clause 0x1
	global_load_b64 v[28:29], v10, s[8:9] scale_offset
	global_load_b64 v[30:31], v34, s[8:9] scale_offset
	global_load_b64 v[32:33], v35, s[10:11] scale_offset
	s_wait_xcnt 0x2
	v_dual_add_nc_u32 v10, -10, v12 :: v_dual_add_nc_u32 v41, 3, v13
	s_clause 0x1
	global_load_b64 v[34:35], v10, s[8:9] scale_offset
	global_load_b64 v[36:37], v40, s[8:9] scale_offset
	global_load_b64 v[38:39], v41, s[10:11] scale_offset
	s_wait_xcnt 0x2
	v_dual_add_nc_u32 v10, -9, v12 :: v_dual_add_nc_u32 v47, 4, v13
	s_clause 0x1
	global_load_b64 v[40:41], v10, s[8:9] scale_offset
	global_load_b64 v[42:43], v46, s[8:9] scale_offset
	global_load_b64 v[44:45], v47, s[10:11] scale_offset
	s_wait_xcnt 0x2
	v_dual_add_nc_u32 v10, -8, v12 :: v_dual_add_nc_u32 v53, 5, v13
	s_clause 0x1
	global_load_b64 v[46:47], v10, s[8:9] scale_offset
	global_load_b64 v[48:49], v52, s[8:9] scale_offset
	global_load_b64 v[50:51], v53, s[10:11] scale_offset
	s_wait_xcnt 0x2
	v_dual_add_nc_u32 v10, -7, v12 :: v_dual_add_nc_u32 v13, 6, v13
	s_clause 0x1
	global_load_b64 v[52:53], v12, s[8:9] scale_offset
	global_load_b64 v[54:55], v10, s[8:9] scale_offset
	global_load_b64 v[56:57], v13, s[10:11] scale_offset
	s_wait_xcnt 0x2
	v_add_nc_u32_e32 v12, 56, v12
	v_cmp_ge_i32_e32 vcc_lo, v15, v14
	s_or_b32 s2, vcc_lo, s2
	s_wait_loadcnt 0x11
	v_fmac_f64_e32 v[0:1], v[16:17], v[24:25]
	v_fmac_f64_e32 v[8:9], v[22:23], v[24:25]
	s_wait_loadcnt 0xf
	s_delay_alu instid0(VALU_DEP_2) | instskip(NEXT) | instid1(VALU_DEP_2)
	v_fmac_f64_e32 v[0:1], v[18:19], v[26:27]
	v_fmac_f64_e32 v[8:9], v[20:21], v[26:27]
	s_wait_loadcnt 0xc
	s_delay_alu instid0(VALU_DEP_2) | instskip(NEXT) | instid1(VALU_DEP_2)
	;; [unrolled: 4-line block ×6, first 2 shown]
	v_fmac_f64_e32 v[0:1], v[54:55], v[56:57]
	v_fmac_f64_e32 v[8:9], v[52:53], v[56:57]
	s_and_not1_b32 exec_lo, exec_lo, s2
	s_cbranch_execnz .LBB101_15
; %bb.16:
	s_or_b32 exec_lo, exec_lo, s2
.LBB101_17:
	s_delay_alu instid0(SALU_CYCLE_1)
	s_or_b32 exec_lo, exec_lo, s3
.LBB101_18:
	v_mbcnt_lo_u32_b32 v14, -1, 0
	s_delay_alu instid0(VALU_DEP_1) | instskip(NEXT) | instid1(VALU_DEP_1)
	v_xor_b32_e32 v10, 2, v14
	v_cmp_gt_i32_e32 vcc_lo, 32, v10
	v_cndmask_b32_e32 v10, v14, v10, vcc_lo
	s_delay_alu instid0(VALU_DEP_1)
	v_lshlrev_b32_e32 v13, 2, v10
	ds_bpermute_b32 v10, v13, v0
	ds_bpermute_b32 v11, v13, v1
	;; [unrolled: 1-line block ×4, first 2 shown]
	s_wait_dscnt 0x2
	v_add_f64_e32 v[0:1], v[0:1], v[10:11]
	s_wait_dscnt 0x0
	v_dual_add_f64 v[10:11], v[8:9], v[12:13] :: v_dual_bitop2_b32 v8, 1, v14 bitop3:0x14
	s_delay_alu instid0(VALU_DEP_1) | instskip(SKIP_2) | instid1(VALU_DEP_2)
	v_cmp_gt_i32_e32 vcc_lo, 32, v8
	v_cndmask_b32_e32 v8, v14, v8, vcc_lo
	v_cmp_eq_u32_e32 vcc_lo, 3, v7
	v_lshlrev_b32_e32 v13, 2, v8
	ds_bpermute_b32 v8, v13, v0
	ds_bpermute_b32 v9, v13, v1
	;; [unrolled: 1-line block ×4, first 2 shown]
	s_and_b32 exec_lo, exec_lo, vcc_lo
	s_cbranch_execz .LBB101_23
; %bb.19:
	s_wait_dscnt 0x2
	v_add_f64_e32 v[8:9], v[0:1], v[8:9]
	s_wait_dscnt 0x0
	v_add_f64_e32 v[0:1], v[10:11], v[12:13]
	s_load_b64 s[0:1], s[0:1], 0x38
	s_mov_b32 s2, exec_lo
	v_cmpx_eq_f64_e32 0, v[4:5]
	s_xor_b32 s2, exec_lo, s2
	s_cbranch_execz .LBB101_21
; %bb.20:
	s_delay_alu instid0(VALU_DEP_3) | instskip(NEXT) | instid1(VALU_DEP_3)
	v_mul_f64_e32 v[8:9], v[2:3], v[8:9]
	v_dual_mul_f64 v[10:11], v[2:3], v[0:1] :: v_dual_lshlrev_b32 v0, 1, v6
                                        ; implicit-def: $vgpr6
                                        ; implicit-def: $vgpr2_vgpr3
                                        ; implicit-def: $vgpr4_vgpr5
	s_delay_alu instid0(VALU_DEP_1) | instskip(SKIP_1) | instid1(VALU_DEP_1)
	v_ashrrev_i32_e32 v1, 31, v0
	s_wait_kmcnt 0x0
	v_lshl_add_u64 v[0:1], v[0:1], 3, s[0:1]
	global_store_b128 v[0:1], v[8:11], off
                                        ; implicit-def: $vgpr8_vgpr9
                                        ; implicit-def: $vgpr0_vgpr1
.LBB101_21:
	s_wait_xcnt 0x0
	s_and_not1_saveexec_b32 s2, s2
	s_cbranch_execz .LBB101_23
; %bb.22:
	v_lshlrev_b32_e32 v6, 1, v6
	s_delay_alu instid0(VALU_DEP_1) | instskip(SKIP_1) | instid1(VALU_DEP_1)
	v_ashrrev_i32_e32 v7, 31, v6
	s_wait_kmcnt 0x0
	v_lshl_add_u64 v[14:15], v[6:7], 3, s[0:1]
	v_mul_f64_e32 v[6:7], v[2:3], v[8:9]
	v_mul_f64_e32 v[8:9], v[2:3], v[0:1]
	global_load_b128 v[10:13], v[14:15], off
	s_wait_loadcnt 0x0
	v_fmac_f64_e32 v[6:7], v[4:5], v[10:11]
	v_fmac_f64_e32 v[8:9], v[4:5], v[12:13]
	global_store_b128 v[14:15], v[6:9], off
.LBB101_23:
	s_endpgm
	.section	.rodata,"a",@progbits
	.p2align	6, 0x0
	.amdhsa_kernel _ZN9rocsparseL19gebsrmvn_2xn_kernelILj128ELj7ELj4EdEEvi20rocsparse_direction_NS_24const_host_device_scalarIT2_EEPKiS6_PKS3_S8_S4_PS3_21rocsparse_index_base_b
		.amdhsa_group_segment_fixed_size 0
		.amdhsa_private_segment_fixed_size 0
		.amdhsa_kernarg_size 72
		.amdhsa_user_sgpr_count 2
		.amdhsa_user_sgpr_dispatch_ptr 0
		.amdhsa_user_sgpr_queue_ptr 0
		.amdhsa_user_sgpr_kernarg_segment_ptr 1
		.amdhsa_user_sgpr_dispatch_id 0
		.amdhsa_user_sgpr_kernarg_preload_length 0
		.amdhsa_user_sgpr_kernarg_preload_offset 0
		.amdhsa_user_sgpr_private_segment_size 0
		.amdhsa_wavefront_size32 1
		.amdhsa_uses_dynamic_stack 0
		.amdhsa_enable_private_segment 0
		.amdhsa_system_sgpr_workgroup_id_x 1
		.amdhsa_system_sgpr_workgroup_id_y 0
		.amdhsa_system_sgpr_workgroup_id_z 0
		.amdhsa_system_sgpr_workgroup_info 0
		.amdhsa_system_vgpr_workitem_id 0
		.amdhsa_next_free_vgpr 62
		.amdhsa_next_free_sgpr 14
		.amdhsa_named_barrier_count 0
		.amdhsa_reserve_vcc 1
		.amdhsa_float_round_mode_32 0
		.amdhsa_float_round_mode_16_64 0
		.amdhsa_float_denorm_mode_32 3
		.amdhsa_float_denorm_mode_16_64 3
		.amdhsa_fp16_overflow 0
		.amdhsa_memory_ordered 1
		.amdhsa_forward_progress 1
		.amdhsa_inst_pref_size 15
		.amdhsa_round_robin_scheduling 0
		.amdhsa_exception_fp_ieee_invalid_op 0
		.amdhsa_exception_fp_denorm_src 0
		.amdhsa_exception_fp_ieee_div_zero 0
		.amdhsa_exception_fp_ieee_overflow 0
		.amdhsa_exception_fp_ieee_underflow 0
		.amdhsa_exception_fp_ieee_inexact 0
		.amdhsa_exception_int_div_zero 0
	.end_amdhsa_kernel
	.section	.text._ZN9rocsparseL19gebsrmvn_2xn_kernelILj128ELj7ELj4EdEEvi20rocsparse_direction_NS_24const_host_device_scalarIT2_EEPKiS6_PKS3_S8_S4_PS3_21rocsparse_index_base_b,"axG",@progbits,_ZN9rocsparseL19gebsrmvn_2xn_kernelILj128ELj7ELj4EdEEvi20rocsparse_direction_NS_24const_host_device_scalarIT2_EEPKiS6_PKS3_S8_S4_PS3_21rocsparse_index_base_b,comdat
.Lfunc_end101:
	.size	_ZN9rocsparseL19gebsrmvn_2xn_kernelILj128ELj7ELj4EdEEvi20rocsparse_direction_NS_24const_host_device_scalarIT2_EEPKiS6_PKS3_S8_S4_PS3_21rocsparse_index_base_b, .Lfunc_end101-_ZN9rocsparseL19gebsrmvn_2xn_kernelILj128ELj7ELj4EdEEvi20rocsparse_direction_NS_24const_host_device_scalarIT2_EEPKiS6_PKS3_S8_S4_PS3_21rocsparse_index_base_b
                                        ; -- End function
	.set _ZN9rocsparseL19gebsrmvn_2xn_kernelILj128ELj7ELj4EdEEvi20rocsparse_direction_NS_24const_host_device_scalarIT2_EEPKiS6_PKS3_S8_S4_PS3_21rocsparse_index_base_b.num_vgpr, 62
	.set _ZN9rocsparseL19gebsrmvn_2xn_kernelILj128ELj7ELj4EdEEvi20rocsparse_direction_NS_24const_host_device_scalarIT2_EEPKiS6_PKS3_S8_S4_PS3_21rocsparse_index_base_b.num_agpr, 0
	.set _ZN9rocsparseL19gebsrmvn_2xn_kernelILj128ELj7ELj4EdEEvi20rocsparse_direction_NS_24const_host_device_scalarIT2_EEPKiS6_PKS3_S8_S4_PS3_21rocsparse_index_base_b.numbered_sgpr, 14
	.set _ZN9rocsparseL19gebsrmvn_2xn_kernelILj128ELj7ELj4EdEEvi20rocsparse_direction_NS_24const_host_device_scalarIT2_EEPKiS6_PKS3_S8_S4_PS3_21rocsparse_index_base_b.num_named_barrier, 0
	.set _ZN9rocsparseL19gebsrmvn_2xn_kernelILj128ELj7ELj4EdEEvi20rocsparse_direction_NS_24const_host_device_scalarIT2_EEPKiS6_PKS3_S8_S4_PS3_21rocsparse_index_base_b.private_seg_size, 0
	.set _ZN9rocsparseL19gebsrmvn_2xn_kernelILj128ELj7ELj4EdEEvi20rocsparse_direction_NS_24const_host_device_scalarIT2_EEPKiS6_PKS3_S8_S4_PS3_21rocsparse_index_base_b.uses_vcc, 1
	.set _ZN9rocsparseL19gebsrmvn_2xn_kernelILj128ELj7ELj4EdEEvi20rocsparse_direction_NS_24const_host_device_scalarIT2_EEPKiS6_PKS3_S8_S4_PS3_21rocsparse_index_base_b.uses_flat_scratch, 0
	.set _ZN9rocsparseL19gebsrmvn_2xn_kernelILj128ELj7ELj4EdEEvi20rocsparse_direction_NS_24const_host_device_scalarIT2_EEPKiS6_PKS3_S8_S4_PS3_21rocsparse_index_base_b.has_dyn_sized_stack, 0
	.set _ZN9rocsparseL19gebsrmvn_2xn_kernelILj128ELj7ELj4EdEEvi20rocsparse_direction_NS_24const_host_device_scalarIT2_EEPKiS6_PKS3_S8_S4_PS3_21rocsparse_index_base_b.has_recursion, 0
	.set _ZN9rocsparseL19gebsrmvn_2xn_kernelILj128ELj7ELj4EdEEvi20rocsparse_direction_NS_24const_host_device_scalarIT2_EEPKiS6_PKS3_S8_S4_PS3_21rocsparse_index_base_b.has_indirect_call, 0
	.section	.AMDGPU.csdata,"",@progbits
; Kernel info:
; codeLenInByte = 1812
; TotalNumSgprs: 16
; NumVgprs: 62
; ScratchSize: 0
; MemoryBound: 0
; FloatMode: 240
; IeeeMode: 1
; LDSByteSize: 0 bytes/workgroup (compile time only)
; SGPRBlocks: 0
; VGPRBlocks: 3
; NumSGPRsForWavesPerEU: 16
; NumVGPRsForWavesPerEU: 62
; NamedBarCnt: 0
; Occupancy: 16
; WaveLimiterHint : 1
; COMPUTE_PGM_RSRC2:SCRATCH_EN: 0
; COMPUTE_PGM_RSRC2:USER_SGPR: 2
; COMPUTE_PGM_RSRC2:TRAP_HANDLER: 0
; COMPUTE_PGM_RSRC2:TGID_X_EN: 1
; COMPUTE_PGM_RSRC2:TGID_Y_EN: 0
; COMPUTE_PGM_RSRC2:TGID_Z_EN: 0
; COMPUTE_PGM_RSRC2:TIDIG_COMP_CNT: 0
	.section	.text._ZN9rocsparseL19gebsrmvn_2xn_kernelILj128ELj7ELj8EdEEvi20rocsparse_direction_NS_24const_host_device_scalarIT2_EEPKiS6_PKS3_S8_S4_PS3_21rocsparse_index_base_b,"axG",@progbits,_ZN9rocsparseL19gebsrmvn_2xn_kernelILj128ELj7ELj8EdEEvi20rocsparse_direction_NS_24const_host_device_scalarIT2_EEPKiS6_PKS3_S8_S4_PS3_21rocsparse_index_base_b,comdat
	.globl	_ZN9rocsparseL19gebsrmvn_2xn_kernelILj128ELj7ELj8EdEEvi20rocsparse_direction_NS_24const_host_device_scalarIT2_EEPKiS6_PKS3_S8_S4_PS3_21rocsparse_index_base_b ; -- Begin function _ZN9rocsparseL19gebsrmvn_2xn_kernelILj128ELj7ELj8EdEEvi20rocsparse_direction_NS_24const_host_device_scalarIT2_EEPKiS6_PKS3_S8_S4_PS3_21rocsparse_index_base_b
	.p2align	8
	.type	_ZN9rocsparseL19gebsrmvn_2xn_kernelILj128ELj7ELj8EdEEvi20rocsparse_direction_NS_24const_host_device_scalarIT2_EEPKiS6_PKS3_S8_S4_PS3_21rocsparse_index_base_b,@function
_ZN9rocsparseL19gebsrmvn_2xn_kernelILj128ELj7ELj8EdEEvi20rocsparse_direction_NS_24const_host_device_scalarIT2_EEPKiS6_PKS3_S8_S4_PS3_21rocsparse_index_base_b: ; @_ZN9rocsparseL19gebsrmvn_2xn_kernelILj128ELj7ELj8EdEEvi20rocsparse_direction_NS_24const_host_device_scalarIT2_EEPKiS6_PKS3_S8_S4_PS3_21rocsparse_index_base_b
; %bb.0:
	s_clause 0x2
	s_load_b64 s[12:13], s[0:1], 0x40
	s_load_b64 s[4:5], s[0:1], 0x8
	;; [unrolled: 1-line block ×3, first 2 shown]
	s_wait_kmcnt 0x0
	s_bitcmp1_b32 s13, 0
	v_mov_b64_e32 v[2:3], s[4:5]
	s_cselect_b32 s6, -1, 0
	s_delay_alu instid0(SALU_CYCLE_1)
	s_and_b32 vcc_lo, exec_lo, s6
	s_xor_b32 s6, s6, -1
	s_cbranch_vccnz .LBB102_2
; %bb.1:
	v_mov_b32_e32 v1, 0
	flat_load_b64 v[2:3], v1, s[4:5]
.LBB102_2:
	v_mov_b64_e32 v[4:5], s[2:3]
	s_and_not1_b32 vcc_lo, exec_lo, s6
	s_cbranch_vccnz .LBB102_4
; %bb.3:
	s_wait_xcnt 0x0
	v_mov_b32_e32 v1, 0
	flat_load_b64 v[4:5], v1, s[2:3]
.LBB102_4:
	s_wait_loadcnt_dscnt 0x0
	v_cmp_neq_f64_e32 vcc_lo, 0, v[2:3]
	s_delay_alu instid0(VALU_DEP_2) | instskip(SKIP_1) | instid1(SALU_CYCLE_1)
	v_cmp_neq_f64_e64 s2, 1.0, v[4:5]
	s_or_b32 s2, vcc_lo, s2
	s_and_saveexec_b32 s3, s2
	s_cbranch_execz .LBB102_23
; %bb.5:
	s_load_b64 s[2:3], s[0:1], 0x0
	s_bfe_u32 s4, ttmp6, 0x4000c
	s_and_b32 s5, ttmp6, 15
	s_add_co_i32 s4, s4, 1
	s_getreg_b32 s6, hwreg(HW_REG_IB_STS2, 6, 4)
	s_mul_i32 s4, ttmp9, s4
	v_lshrrev_b32_e32 v1, 3, v0
	s_add_co_i32 s5, s5, s4
	s_cmp_eq_u32 s6, 0
	s_cselect_b32 s4, ttmp9, s5
	s_delay_alu instid0(VALU_DEP_1) | instid1(SALU_CYCLE_1)
	v_lshl_or_b32 v6, s4, 4, v1
	s_wait_kmcnt 0x0
	s_delay_alu instid0(VALU_DEP_1)
	v_cmp_gt_i32_e32 vcc_lo, s2, v6
	s_and_b32 exec_lo, exec_lo, vcc_lo
	s_cbranch_execz .LBB102_23
; %bb.6:
	s_load_b256 s[4:11], s[0:1], 0x10
	v_ashrrev_i32_e32 v7, 31, v6
	s_cmp_lg_u32 s3, 0
	s_wait_kmcnt 0x0
	s_delay_alu instid0(VALU_DEP_1)
	v_lshl_add_u64 v[8:9], v[6:7], 2, s[4:5]
	v_and_b32_e32 v7, 7, v0
	global_load_b64 v[8:9], v[8:9], off
	s_wait_loadcnt 0x0
	v_subrev_nc_u32_e32 v0, s12, v8
	v_subrev_nc_u32_e32 v14, s12, v9
	s_delay_alu instid0(VALU_DEP_2) | instskip(NEXT) | instid1(VALU_DEP_1)
	v_add_nc_u32_e32 v15, v0, v7
	v_cmp_lt_i32_e64 s2, v15, v14
	s_cbranch_scc0 .LBB102_12
; %bb.7:
	v_mov_b64_e32 v[0:1], 0
	v_mov_b64_e32 v[8:9], 0
	s_and_saveexec_b32 s3, s2
	s_cbranch_execz .LBB102_11
; %bb.8:
	v_mad_u32 v10, v15, 14, 12
	v_mov_b64_e32 v[0:1], 0
	v_mov_b64_e32 v[8:9], 0
	v_dual_mov_b32 v13, 0 :: v_dual_mov_b32 v16, v15
	s_mov_b32 s4, 0
.LBB102_9:                              ; =>This Inner Loop Header: Depth=1
	global_load_b32 v11, v16, s[6:7] scale_offset
	s_wait_xcnt 0x0
	v_add_nc_u32_e32 v16, 8, v16
	s_delay_alu instid0(VALU_DEP_1) | instskip(SKIP_3) | instid1(VALU_DEP_1)
	v_cmp_ge_i32_e32 vcc_lo, v16, v14
	s_or_b32 s4, vcc_lo, s4
	s_wait_loadcnt 0x0
	v_subrev_nc_u32_e32 v11, s12, v11
	v_mul_lo_u32 v17, v11, 7
	s_delay_alu instid0(VALU_DEP_1) | instskip(NEXT) | instid1(VALU_DEP_1)
	v_dual_add_nc_u32 v12, -12, v10 :: v_dual_add_nc_u32 v11, 1, v17
	v_lshl_add_u64 v[22:23], v[12:13], 3, s[8:9]
	global_load_b128 v[18:21], v[22:23], off
	global_load_b64 v[46:47], v17, s[10:11] scale_offset
	v_add_nc_u32_e32 v12, -10, v10
	s_delay_alu instid0(VALU_DEP_1) | instskip(SKIP_4) | instid1(VALU_DEP_1)
	v_lshl_add_u64 v[26:27], v[12:13], 3, s[8:9]
	global_load_b128 v[22:25], v[26:27], off
	global_load_b64 v[48:49], v11, s[10:11] scale_offset
	s_wait_xcnt 0x0
	v_dual_add_nc_u32 v12, -8, v10 :: v_dual_add_nc_u32 v11, 2, v17
	v_lshl_add_u64 v[30:31], v[12:13], 3, s[8:9]
	global_load_b128 v[26:29], v[30:31], off
	global_load_b64 v[50:51], v11, s[10:11] scale_offset
	s_wait_xcnt 0x0
	v_dual_add_nc_u32 v12, -6, v10 :: v_dual_add_nc_u32 v11, 3, v17
	s_delay_alu instid0(VALU_DEP_1) | instskip(SKIP_4) | instid1(VALU_DEP_1)
	v_lshl_add_u64 v[34:35], v[12:13], 3, s[8:9]
	global_load_b128 v[30:33], v[34:35], off
	global_load_b64 v[52:53], v11, s[10:11] scale_offset
	s_wait_xcnt 0x0
	v_dual_add_nc_u32 v12, -4, v10 :: v_dual_add_nc_u32 v11, 4, v17
	v_lshl_add_u64 v[38:39], v[12:13], 3, s[8:9]
	global_load_b128 v[34:37], v[38:39], off
	global_load_b64 v[54:55], v11, s[10:11] scale_offset
	s_wait_xcnt 0x0
	v_dual_add_nc_u32 v12, -2, v10 :: v_dual_add_nc_u32 v11, 5, v17
	s_delay_alu instid0(VALU_DEP_1) | instskip(SKIP_4) | instid1(VALU_DEP_1)
	v_lshl_add_u64 v[42:43], v[12:13], 3, s[8:9]
	global_load_b128 v[38:41], v[42:43], off
	global_load_b64 v[56:57], v11, s[10:11] scale_offset
	s_wait_xcnt 0x0
	v_mov_b32_e32 v11, v13
	v_lshl_add_u64 v[58:59], v[10:11], 3, s[8:9]
	v_add_nc_u32_e32 v11, 6, v17
	global_load_b128 v[42:45], v[58:59], off
	global_load_b64 v[60:61], v11, s[10:11] scale_offset
	v_add_nc_u32_e32 v10, 0x70, v10
	s_wait_loadcnt 0xc
	v_fmac_f64_e32 v[0:1], v[18:19], v[46:47]
	v_fmac_f64_e32 v[8:9], v[20:21], v[46:47]
	s_wait_loadcnt 0xa
	s_delay_alu instid0(VALU_DEP_2) | instskip(NEXT) | instid1(VALU_DEP_2)
	v_fmac_f64_e32 v[0:1], v[22:23], v[48:49]
	v_fmac_f64_e32 v[8:9], v[24:25], v[48:49]
	s_wait_loadcnt 0x8
	s_delay_alu instid0(VALU_DEP_2) | instskip(NEXT) | instid1(VALU_DEP_2)
	;; [unrolled: 4-line block ×6, first 2 shown]
	v_fmac_f64_e32 v[0:1], v[42:43], v[60:61]
	v_fmac_f64_e32 v[8:9], v[44:45], v[60:61]
	s_and_not1_b32 exec_lo, exec_lo, s4
	s_cbranch_execnz .LBB102_9
; %bb.10:
	s_or_b32 exec_lo, exec_lo, s4
.LBB102_11:
	s_delay_alu instid0(SALU_CYCLE_1)
	s_or_b32 exec_lo, exec_lo, s3
	s_cbranch_execz .LBB102_13
	s_branch .LBB102_18
.LBB102_12:
                                        ; implicit-def: $vgpr0_vgpr1
                                        ; implicit-def: $vgpr8_vgpr9
.LBB102_13:
	v_mov_b64_e32 v[0:1], 0
	v_mov_b64_e32 v[8:9], 0
	s_and_saveexec_b32 s3, s2
	s_cbranch_execz .LBB102_17
; %bb.14:
	v_mad_u32 v12, v15, 14, 13
	v_mov_b64_e32 v[0:1], 0
	v_mov_b64_e32 v[8:9], 0
	v_mov_b32_e32 v11, 0
	s_mov_b32 s2, 0
.LBB102_15:                             ; =>This Inner Loop Header: Depth=1
	global_load_b32 v10, v15, s[6:7] scale_offset
	s_wait_xcnt 0x0
	v_dual_add_nc_u32 v15, 8, v15 :: v_dual_add_nc_u32 v26, -6, v12
	v_dual_add_nc_u32 v34, -4, v12 :: v_dual_add_nc_u32 v46, -2, v12
	s_delay_alu instid0(VALU_DEP_2) | instskip(SKIP_3) | instid1(VALU_DEP_1)
	v_cmp_ge_i32_e32 vcc_lo, v15, v14
	s_or_b32 s2, vcc_lo, s2
	s_wait_loadcnt 0x0
	v_subrev_nc_u32_e32 v10, s12, v10
	v_mul_lo_u32 v13, v10, 7
	v_dual_add_nc_u32 v10, -13, v12 :: v_dual_add_nc_u32 v40, -3, v12
	v_add_nc_u32_e32 v52, -1, v12
	s_delay_alu instid0(VALU_DEP_2)
	v_lshl_add_u64 v[20:21], v[10:11], 3, s[8:9]
	s_clause 0x1
	global_load_b128 v[16:19], v[20:21], off
	global_load_b64 v[22:23], v26, s[8:9] scale_offset
	global_load_b64 v[24:25], v13, s[10:11] scale_offset
	v_dual_add_nc_u32 v10, -5, v12 :: v_dual_add_nc_u32 v28, 1, v13
	global_load_b64 v[20:21], v10, s[8:9] scale_offset
	global_load_b64 v[26:27], v28, s[10:11] scale_offset
	s_wait_xcnt 0x1
	v_dual_add_nc_u32 v10, -11, v12 :: v_dual_add_nc_u32 v35, 2, v13
	s_clause 0x1
	global_load_b64 v[28:29], v10, s[8:9] scale_offset
	global_load_b64 v[30:31], v34, s[8:9] scale_offset
	global_load_b64 v[32:33], v35, s[10:11] scale_offset
	s_wait_xcnt 0x2
	v_dual_add_nc_u32 v10, -10, v12 :: v_dual_add_nc_u32 v41, 3, v13
	s_clause 0x1
	global_load_b64 v[34:35], v10, s[8:9] scale_offset
	;; [unrolled: 6-line block ×5, first 2 shown]
	global_load_b64 v[54:55], v10, s[8:9] scale_offset
	global_load_b64 v[56:57], v13, s[10:11] scale_offset
	s_wait_xcnt 0x2
	v_add_nc_u32_e32 v12, 0x70, v12
	s_wait_loadcnt 0x11
	v_fmac_f64_e32 v[0:1], v[16:17], v[24:25]
	v_fmac_f64_e32 v[8:9], v[22:23], v[24:25]
	s_wait_loadcnt 0xf
	s_delay_alu instid0(VALU_DEP_2) | instskip(NEXT) | instid1(VALU_DEP_2)
	v_fmac_f64_e32 v[0:1], v[18:19], v[26:27]
	v_fmac_f64_e32 v[8:9], v[20:21], v[26:27]
	s_wait_loadcnt 0xc
	s_delay_alu instid0(VALU_DEP_2) | instskip(NEXT) | instid1(VALU_DEP_2)
	;; [unrolled: 4-line block ×6, first 2 shown]
	v_fmac_f64_e32 v[0:1], v[54:55], v[56:57]
	v_fmac_f64_e32 v[8:9], v[52:53], v[56:57]
	s_and_not1_b32 exec_lo, exec_lo, s2
	s_cbranch_execnz .LBB102_15
; %bb.16:
	s_or_b32 exec_lo, exec_lo, s2
.LBB102_17:
	s_delay_alu instid0(SALU_CYCLE_1)
	s_or_b32 exec_lo, exec_lo, s3
.LBB102_18:
	v_mbcnt_lo_u32_b32 v14, -1, 0
	s_delay_alu instid0(VALU_DEP_1) | instskip(NEXT) | instid1(VALU_DEP_1)
	v_xor_b32_e32 v10, 4, v14
	v_cmp_gt_i32_e32 vcc_lo, 32, v10
	v_cndmask_b32_e32 v10, v14, v10, vcc_lo
	s_delay_alu instid0(VALU_DEP_1)
	v_lshlrev_b32_e32 v13, 2, v10
	ds_bpermute_b32 v10, v13, v0
	ds_bpermute_b32 v11, v13, v1
	s_wait_dscnt 0x0
	v_add_f64_e32 v[0:1], v[0:1], v[10:11]
	v_xor_b32_e32 v10, 2, v14
	s_delay_alu instid0(VALU_DEP_1)
	v_cmp_gt_i32_e32 vcc_lo, 32, v10
	v_cndmask_b32_e32 v10, v14, v10, vcc_lo
	ds_bpermute_b32 v12, v13, v8
	ds_bpermute_b32 v13, v13, v9
	s_wait_dscnt 0x0
	v_dual_add_f64 v[8:9], v[8:9], v[12:13] :: v_dual_lshlrev_b32 v13, 2, v10
	ds_bpermute_b32 v10, v13, v0
	ds_bpermute_b32 v11, v13, v1
	s_wait_dscnt 0x0
	v_add_f64_e32 v[0:1], v[0:1], v[10:11]
	ds_bpermute_b32 v12, v13, v8
	ds_bpermute_b32 v13, v13, v9
	s_wait_dscnt 0x0
	v_dual_add_f64 v[10:11], v[8:9], v[12:13] :: v_dual_bitop2_b32 v8, 1, v14 bitop3:0x14
	s_delay_alu instid0(VALU_DEP_1) | instskip(SKIP_2) | instid1(VALU_DEP_2)
	v_cmp_gt_i32_e32 vcc_lo, 32, v8
	v_cndmask_b32_e32 v8, v14, v8, vcc_lo
	v_cmp_eq_u32_e32 vcc_lo, 7, v7
	v_lshlrev_b32_e32 v13, 2, v8
	ds_bpermute_b32 v8, v13, v0
	ds_bpermute_b32 v9, v13, v1
	;; [unrolled: 1-line block ×4, first 2 shown]
	s_and_b32 exec_lo, exec_lo, vcc_lo
	s_cbranch_execz .LBB102_23
; %bb.19:
	s_wait_dscnt 0x2
	v_add_f64_e32 v[8:9], v[0:1], v[8:9]
	s_wait_dscnt 0x0
	v_add_f64_e32 v[0:1], v[10:11], v[12:13]
	s_load_b64 s[0:1], s[0:1], 0x38
	s_mov_b32 s2, exec_lo
	v_cmpx_eq_f64_e32 0, v[4:5]
	s_xor_b32 s2, exec_lo, s2
	s_cbranch_execz .LBB102_21
; %bb.20:
	s_delay_alu instid0(VALU_DEP_3) | instskip(NEXT) | instid1(VALU_DEP_3)
	v_mul_f64_e32 v[8:9], v[2:3], v[8:9]
	v_dual_mul_f64 v[10:11], v[2:3], v[0:1] :: v_dual_lshlrev_b32 v0, 1, v6
                                        ; implicit-def: $vgpr6
                                        ; implicit-def: $vgpr2_vgpr3
                                        ; implicit-def: $vgpr4_vgpr5
	s_delay_alu instid0(VALU_DEP_1) | instskip(SKIP_1) | instid1(VALU_DEP_1)
	v_ashrrev_i32_e32 v1, 31, v0
	s_wait_kmcnt 0x0
	v_lshl_add_u64 v[0:1], v[0:1], 3, s[0:1]
	global_store_b128 v[0:1], v[8:11], off
                                        ; implicit-def: $vgpr8_vgpr9
                                        ; implicit-def: $vgpr0_vgpr1
.LBB102_21:
	s_wait_xcnt 0x0
	s_and_not1_saveexec_b32 s2, s2
	s_cbranch_execz .LBB102_23
; %bb.22:
	v_lshlrev_b32_e32 v6, 1, v6
	s_delay_alu instid0(VALU_DEP_1) | instskip(SKIP_1) | instid1(VALU_DEP_1)
	v_ashrrev_i32_e32 v7, 31, v6
	s_wait_kmcnt 0x0
	v_lshl_add_u64 v[14:15], v[6:7], 3, s[0:1]
	v_mul_f64_e32 v[6:7], v[2:3], v[8:9]
	v_mul_f64_e32 v[8:9], v[2:3], v[0:1]
	global_load_b128 v[10:13], v[14:15], off
	s_wait_loadcnt 0x0
	v_fmac_f64_e32 v[6:7], v[4:5], v[10:11]
	v_fmac_f64_e32 v[8:9], v[4:5], v[12:13]
	global_store_b128 v[14:15], v[6:9], off
.LBB102_23:
	s_endpgm
	.section	.rodata,"a",@progbits
	.p2align	6, 0x0
	.amdhsa_kernel _ZN9rocsparseL19gebsrmvn_2xn_kernelILj128ELj7ELj8EdEEvi20rocsparse_direction_NS_24const_host_device_scalarIT2_EEPKiS6_PKS3_S8_S4_PS3_21rocsparse_index_base_b
		.amdhsa_group_segment_fixed_size 0
		.amdhsa_private_segment_fixed_size 0
		.amdhsa_kernarg_size 72
		.amdhsa_user_sgpr_count 2
		.amdhsa_user_sgpr_dispatch_ptr 0
		.amdhsa_user_sgpr_queue_ptr 0
		.amdhsa_user_sgpr_kernarg_segment_ptr 1
		.amdhsa_user_sgpr_dispatch_id 0
		.amdhsa_user_sgpr_kernarg_preload_length 0
		.amdhsa_user_sgpr_kernarg_preload_offset 0
		.amdhsa_user_sgpr_private_segment_size 0
		.amdhsa_wavefront_size32 1
		.amdhsa_uses_dynamic_stack 0
		.amdhsa_enable_private_segment 0
		.amdhsa_system_sgpr_workgroup_id_x 1
		.amdhsa_system_sgpr_workgroup_id_y 0
		.amdhsa_system_sgpr_workgroup_id_z 0
		.amdhsa_system_sgpr_workgroup_info 0
		.amdhsa_system_vgpr_workitem_id 0
		.amdhsa_next_free_vgpr 62
		.amdhsa_next_free_sgpr 14
		.amdhsa_named_barrier_count 0
		.amdhsa_reserve_vcc 1
		.amdhsa_float_round_mode_32 0
		.amdhsa_float_round_mode_16_64 0
		.amdhsa_float_denorm_mode_32 3
		.amdhsa_float_denorm_mode_16_64 3
		.amdhsa_fp16_overflow 0
		.amdhsa_memory_ordered 1
		.amdhsa_forward_progress 1
		.amdhsa_inst_pref_size 15
		.amdhsa_round_robin_scheduling 0
		.amdhsa_exception_fp_ieee_invalid_op 0
		.amdhsa_exception_fp_denorm_src 0
		.amdhsa_exception_fp_ieee_div_zero 0
		.amdhsa_exception_fp_ieee_overflow 0
		.amdhsa_exception_fp_ieee_underflow 0
		.amdhsa_exception_fp_ieee_inexact 0
		.amdhsa_exception_int_div_zero 0
	.end_amdhsa_kernel
	.section	.text._ZN9rocsparseL19gebsrmvn_2xn_kernelILj128ELj7ELj8EdEEvi20rocsparse_direction_NS_24const_host_device_scalarIT2_EEPKiS6_PKS3_S8_S4_PS3_21rocsparse_index_base_b,"axG",@progbits,_ZN9rocsparseL19gebsrmvn_2xn_kernelILj128ELj7ELj8EdEEvi20rocsparse_direction_NS_24const_host_device_scalarIT2_EEPKiS6_PKS3_S8_S4_PS3_21rocsparse_index_base_b,comdat
.Lfunc_end102:
	.size	_ZN9rocsparseL19gebsrmvn_2xn_kernelILj128ELj7ELj8EdEEvi20rocsparse_direction_NS_24const_host_device_scalarIT2_EEPKiS6_PKS3_S8_S4_PS3_21rocsparse_index_base_b, .Lfunc_end102-_ZN9rocsparseL19gebsrmvn_2xn_kernelILj128ELj7ELj8EdEEvi20rocsparse_direction_NS_24const_host_device_scalarIT2_EEPKiS6_PKS3_S8_S4_PS3_21rocsparse_index_base_b
                                        ; -- End function
	.set _ZN9rocsparseL19gebsrmvn_2xn_kernelILj128ELj7ELj8EdEEvi20rocsparse_direction_NS_24const_host_device_scalarIT2_EEPKiS6_PKS3_S8_S4_PS3_21rocsparse_index_base_b.num_vgpr, 62
	.set _ZN9rocsparseL19gebsrmvn_2xn_kernelILj128ELj7ELj8EdEEvi20rocsparse_direction_NS_24const_host_device_scalarIT2_EEPKiS6_PKS3_S8_S4_PS3_21rocsparse_index_base_b.num_agpr, 0
	.set _ZN9rocsparseL19gebsrmvn_2xn_kernelILj128ELj7ELj8EdEEvi20rocsparse_direction_NS_24const_host_device_scalarIT2_EEPKiS6_PKS3_S8_S4_PS3_21rocsparse_index_base_b.numbered_sgpr, 14
	.set _ZN9rocsparseL19gebsrmvn_2xn_kernelILj128ELj7ELj8EdEEvi20rocsparse_direction_NS_24const_host_device_scalarIT2_EEPKiS6_PKS3_S8_S4_PS3_21rocsparse_index_base_b.num_named_barrier, 0
	.set _ZN9rocsparseL19gebsrmvn_2xn_kernelILj128ELj7ELj8EdEEvi20rocsparse_direction_NS_24const_host_device_scalarIT2_EEPKiS6_PKS3_S8_S4_PS3_21rocsparse_index_base_b.private_seg_size, 0
	.set _ZN9rocsparseL19gebsrmvn_2xn_kernelILj128ELj7ELj8EdEEvi20rocsparse_direction_NS_24const_host_device_scalarIT2_EEPKiS6_PKS3_S8_S4_PS3_21rocsparse_index_base_b.uses_vcc, 1
	.set _ZN9rocsparseL19gebsrmvn_2xn_kernelILj128ELj7ELj8EdEEvi20rocsparse_direction_NS_24const_host_device_scalarIT2_EEPKiS6_PKS3_S8_S4_PS3_21rocsparse_index_base_b.uses_flat_scratch, 0
	.set _ZN9rocsparseL19gebsrmvn_2xn_kernelILj128ELj7ELj8EdEEvi20rocsparse_direction_NS_24const_host_device_scalarIT2_EEPKiS6_PKS3_S8_S4_PS3_21rocsparse_index_base_b.has_dyn_sized_stack, 0
	.set _ZN9rocsparseL19gebsrmvn_2xn_kernelILj128ELj7ELj8EdEEvi20rocsparse_direction_NS_24const_host_device_scalarIT2_EEPKiS6_PKS3_S8_S4_PS3_21rocsparse_index_base_b.has_recursion, 0
	.set _ZN9rocsparseL19gebsrmvn_2xn_kernelILj128ELj7ELj8EdEEvi20rocsparse_direction_NS_24const_host_device_scalarIT2_EEPKiS6_PKS3_S8_S4_PS3_21rocsparse_index_base_b.has_indirect_call, 0
	.section	.AMDGPU.csdata,"",@progbits
; Kernel info:
; codeLenInByte = 1896
; TotalNumSgprs: 16
; NumVgprs: 62
; ScratchSize: 0
; MemoryBound: 0
; FloatMode: 240
; IeeeMode: 1
; LDSByteSize: 0 bytes/workgroup (compile time only)
; SGPRBlocks: 0
; VGPRBlocks: 3
; NumSGPRsForWavesPerEU: 16
; NumVGPRsForWavesPerEU: 62
; NamedBarCnt: 0
; Occupancy: 16
; WaveLimiterHint : 1
; COMPUTE_PGM_RSRC2:SCRATCH_EN: 0
; COMPUTE_PGM_RSRC2:USER_SGPR: 2
; COMPUTE_PGM_RSRC2:TRAP_HANDLER: 0
; COMPUTE_PGM_RSRC2:TGID_X_EN: 1
; COMPUTE_PGM_RSRC2:TGID_Y_EN: 0
; COMPUTE_PGM_RSRC2:TGID_Z_EN: 0
; COMPUTE_PGM_RSRC2:TIDIG_COMP_CNT: 0
	.section	.text._ZN9rocsparseL19gebsrmvn_2xn_kernelILj128ELj7ELj16EdEEvi20rocsparse_direction_NS_24const_host_device_scalarIT2_EEPKiS6_PKS3_S8_S4_PS3_21rocsparse_index_base_b,"axG",@progbits,_ZN9rocsparseL19gebsrmvn_2xn_kernelILj128ELj7ELj16EdEEvi20rocsparse_direction_NS_24const_host_device_scalarIT2_EEPKiS6_PKS3_S8_S4_PS3_21rocsparse_index_base_b,comdat
	.globl	_ZN9rocsparseL19gebsrmvn_2xn_kernelILj128ELj7ELj16EdEEvi20rocsparse_direction_NS_24const_host_device_scalarIT2_EEPKiS6_PKS3_S8_S4_PS3_21rocsparse_index_base_b ; -- Begin function _ZN9rocsparseL19gebsrmvn_2xn_kernelILj128ELj7ELj16EdEEvi20rocsparse_direction_NS_24const_host_device_scalarIT2_EEPKiS6_PKS3_S8_S4_PS3_21rocsparse_index_base_b
	.p2align	8
	.type	_ZN9rocsparseL19gebsrmvn_2xn_kernelILj128ELj7ELj16EdEEvi20rocsparse_direction_NS_24const_host_device_scalarIT2_EEPKiS6_PKS3_S8_S4_PS3_21rocsparse_index_base_b,@function
_ZN9rocsparseL19gebsrmvn_2xn_kernelILj128ELj7ELj16EdEEvi20rocsparse_direction_NS_24const_host_device_scalarIT2_EEPKiS6_PKS3_S8_S4_PS3_21rocsparse_index_base_b: ; @_ZN9rocsparseL19gebsrmvn_2xn_kernelILj128ELj7ELj16EdEEvi20rocsparse_direction_NS_24const_host_device_scalarIT2_EEPKiS6_PKS3_S8_S4_PS3_21rocsparse_index_base_b
; %bb.0:
	s_clause 0x2
	s_load_b64 s[12:13], s[0:1], 0x40
	s_load_b64 s[4:5], s[0:1], 0x8
	;; [unrolled: 1-line block ×3, first 2 shown]
	s_wait_kmcnt 0x0
	s_bitcmp1_b32 s13, 0
	v_mov_b64_e32 v[2:3], s[4:5]
	s_cselect_b32 s6, -1, 0
	s_delay_alu instid0(SALU_CYCLE_1)
	s_and_b32 vcc_lo, exec_lo, s6
	s_xor_b32 s6, s6, -1
	s_cbranch_vccnz .LBB103_2
; %bb.1:
	v_mov_b32_e32 v1, 0
	flat_load_b64 v[2:3], v1, s[4:5]
.LBB103_2:
	v_mov_b64_e32 v[4:5], s[2:3]
	s_and_not1_b32 vcc_lo, exec_lo, s6
	s_cbranch_vccnz .LBB103_4
; %bb.3:
	s_wait_xcnt 0x0
	v_mov_b32_e32 v1, 0
	flat_load_b64 v[4:5], v1, s[2:3]
.LBB103_4:
	s_wait_loadcnt_dscnt 0x0
	v_cmp_neq_f64_e32 vcc_lo, 0, v[2:3]
	s_delay_alu instid0(VALU_DEP_2) | instskip(SKIP_1) | instid1(SALU_CYCLE_1)
	v_cmp_neq_f64_e64 s2, 1.0, v[4:5]
	s_or_b32 s2, vcc_lo, s2
	s_and_saveexec_b32 s3, s2
	s_cbranch_execz .LBB103_23
; %bb.5:
	s_load_b64 s[2:3], s[0:1], 0x0
	s_bfe_u32 s4, ttmp6, 0x4000c
	s_and_b32 s5, ttmp6, 15
	s_add_co_i32 s4, s4, 1
	s_getreg_b32 s6, hwreg(HW_REG_IB_STS2, 6, 4)
	s_mul_i32 s4, ttmp9, s4
	v_lshrrev_b32_e32 v1, 4, v0
	s_add_co_i32 s5, s5, s4
	s_cmp_eq_u32 s6, 0
	s_cselect_b32 s4, ttmp9, s5
	s_delay_alu instid0(VALU_DEP_1) | instid1(SALU_CYCLE_1)
	v_lshl_or_b32 v6, s4, 3, v1
	s_wait_kmcnt 0x0
	s_delay_alu instid0(VALU_DEP_1)
	v_cmp_gt_i32_e32 vcc_lo, s2, v6
	s_and_b32 exec_lo, exec_lo, vcc_lo
	s_cbranch_execz .LBB103_23
; %bb.6:
	s_load_b256 s[4:11], s[0:1], 0x10
	v_ashrrev_i32_e32 v7, 31, v6
	s_cmp_lg_u32 s3, 0
	s_wait_kmcnt 0x0
	s_delay_alu instid0(VALU_DEP_1)
	v_lshl_add_u64 v[8:9], v[6:7], 2, s[4:5]
	v_and_b32_e32 v7, 15, v0
	global_load_b64 v[8:9], v[8:9], off
	s_wait_loadcnt 0x0
	v_subrev_nc_u32_e32 v0, s12, v8
	v_subrev_nc_u32_e32 v14, s12, v9
	s_delay_alu instid0(VALU_DEP_2) | instskip(NEXT) | instid1(VALU_DEP_1)
	v_add_nc_u32_e32 v15, v0, v7
	v_cmp_lt_i32_e64 s2, v15, v14
	s_cbranch_scc0 .LBB103_12
; %bb.7:
	v_mov_b64_e32 v[0:1], 0
	v_mov_b64_e32 v[8:9], 0
	s_and_saveexec_b32 s3, s2
	s_cbranch_execz .LBB103_11
; %bb.8:
	v_mad_u32 v10, v15, 14, 12
	v_mov_b64_e32 v[0:1], 0
	v_mov_b64_e32 v[8:9], 0
	v_dual_mov_b32 v13, 0 :: v_dual_mov_b32 v16, v15
	s_mov_b32 s4, 0
.LBB103_9:                              ; =>This Inner Loop Header: Depth=1
	global_load_b32 v11, v16, s[6:7] scale_offset
	s_wait_xcnt 0x0
	v_add_nc_u32_e32 v16, 16, v16
	s_delay_alu instid0(VALU_DEP_1) | instskip(SKIP_3) | instid1(VALU_DEP_1)
	v_cmp_ge_i32_e32 vcc_lo, v16, v14
	s_or_b32 s4, vcc_lo, s4
	s_wait_loadcnt 0x0
	v_subrev_nc_u32_e32 v11, s12, v11
	v_mul_lo_u32 v17, v11, 7
	s_delay_alu instid0(VALU_DEP_1) | instskip(NEXT) | instid1(VALU_DEP_1)
	v_dual_add_nc_u32 v12, -12, v10 :: v_dual_add_nc_u32 v11, 1, v17
	v_lshl_add_u64 v[22:23], v[12:13], 3, s[8:9]
	global_load_b128 v[18:21], v[22:23], off
	global_load_b64 v[46:47], v17, s[10:11] scale_offset
	v_add_nc_u32_e32 v12, -10, v10
	s_delay_alu instid0(VALU_DEP_1) | instskip(SKIP_4) | instid1(VALU_DEP_1)
	v_lshl_add_u64 v[26:27], v[12:13], 3, s[8:9]
	global_load_b128 v[22:25], v[26:27], off
	global_load_b64 v[48:49], v11, s[10:11] scale_offset
	s_wait_xcnt 0x0
	v_dual_add_nc_u32 v12, -8, v10 :: v_dual_add_nc_u32 v11, 2, v17
	v_lshl_add_u64 v[30:31], v[12:13], 3, s[8:9]
	global_load_b128 v[26:29], v[30:31], off
	global_load_b64 v[50:51], v11, s[10:11] scale_offset
	s_wait_xcnt 0x0
	v_dual_add_nc_u32 v12, -6, v10 :: v_dual_add_nc_u32 v11, 3, v17
	s_delay_alu instid0(VALU_DEP_1) | instskip(SKIP_4) | instid1(VALU_DEP_1)
	v_lshl_add_u64 v[34:35], v[12:13], 3, s[8:9]
	global_load_b128 v[30:33], v[34:35], off
	global_load_b64 v[52:53], v11, s[10:11] scale_offset
	s_wait_xcnt 0x0
	v_dual_add_nc_u32 v12, -4, v10 :: v_dual_add_nc_u32 v11, 4, v17
	v_lshl_add_u64 v[38:39], v[12:13], 3, s[8:9]
	global_load_b128 v[34:37], v[38:39], off
	global_load_b64 v[54:55], v11, s[10:11] scale_offset
	s_wait_xcnt 0x0
	v_dual_add_nc_u32 v12, -2, v10 :: v_dual_add_nc_u32 v11, 5, v17
	s_delay_alu instid0(VALU_DEP_1) | instskip(SKIP_4) | instid1(VALU_DEP_1)
	v_lshl_add_u64 v[42:43], v[12:13], 3, s[8:9]
	global_load_b128 v[38:41], v[42:43], off
	global_load_b64 v[56:57], v11, s[10:11] scale_offset
	s_wait_xcnt 0x0
	v_mov_b32_e32 v11, v13
	v_lshl_add_u64 v[58:59], v[10:11], 3, s[8:9]
	v_add_nc_u32_e32 v11, 6, v17
	global_load_b128 v[42:45], v[58:59], off
	global_load_b64 v[60:61], v11, s[10:11] scale_offset
	v_add_nc_u32_e32 v10, 0xe0, v10
	s_wait_loadcnt 0xc
	v_fmac_f64_e32 v[0:1], v[18:19], v[46:47]
	v_fmac_f64_e32 v[8:9], v[20:21], v[46:47]
	s_wait_loadcnt 0xa
	s_delay_alu instid0(VALU_DEP_2) | instskip(NEXT) | instid1(VALU_DEP_2)
	v_fmac_f64_e32 v[0:1], v[22:23], v[48:49]
	v_fmac_f64_e32 v[8:9], v[24:25], v[48:49]
	s_wait_loadcnt 0x8
	s_delay_alu instid0(VALU_DEP_2) | instskip(NEXT) | instid1(VALU_DEP_2)
	;; [unrolled: 4-line block ×6, first 2 shown]
	v_fmac_f64_e32 v[0:1], v[42:43], v[60:61]
	v_fmac_f64_e32 v[8:9], v[44:45], v[60:61]
	s_and_not1_b32 exec_lo, exec_lo, s4
	s_cbranch_execnz .LBB103_9
; %bb.10:
	s_or_b32 exec_lo, exec_lo, s4
.LBB103_11:
	s_delay_alu instid0(SALU_CYCLE_1)
	s_or_b32 exec_lo, exec_lo, s3
	s_cbranch_execz .LBB103_13
	s_branch .LBB103_18
.LBB103_12:
                                        ; implicit-def: $vgpr0_vgpr1
                                        ; implicit-def: $vgpr8_vgpr9
.LBB103_13:
	v_mov_b64_e32 v[0:1], 0
	v_mov_b64_e32 v[8:9], 0
	s_and_saveexec_b32 s3, s2
	s_cbranch_execz .LBB103_17
; %bb.14:
	v_mad_u32 v12, v15, 14, 13
	v_mov_b64_e32 v[0:1], 0
	v_mov_b64_e32 v[8:9], 0
	v_mov_b32_e32 v11, 0
	s_mov_b32 s2, 0
.LBB103_15:                             ; =>This Inner Loop Header: Depth=1
	global_load_b32 v10, v15, s[6:7] scale_offset
	s_wait_xcnt 0x0
	v_dual_add_nc_u32 v15, 16, v15 :: v_dual_add_nc_u32 v26, -6, v12
	v_dual_add_nc_u32 v34, -4, v12 :: v_dual_add_nc_u32 v46, -2, v12
	s_delay_alu instid0(VALU_DEP_2) | instskip(SKIP_3) | instid1(VALU_DEP_1)
	v_cmp_ge_i32_e32 vcc_lo, v15, v14
	s_or_b32 s2, vcc_lo, s2
	s_wait_loadcnt 0x0
	v_subrev_nc_u32_e32 v10, s12, v10
	v_mul_lo_u32 v13, v10, 7
	v_dual_add_nc_u32 v10, -13, v12 :: v_dual_add_nc_u32 v40, -3, v12
	v_add_nc_u32_e32 v52, -1, v12
	s_delay_alu instid0(VALU_DEP_2)
	v_lshl_add_u64 v[20:21], v[10:11], 3, s[8:9]
	s_clause 0x1
	global_load_b128 v[16:19], v[20:21], off
	global_load_b64 v[22:23], v26, s[8:9] scale_offset
	global_load_b64 v[24:25], v13, s[10:11] scale_offset
	v_dual_add_nc_u32 v10, -5, v12 :: v_dual_add_nc_u32 v28, 1, v13
	global_load_b64 v[20:21], v10, s[8:9] scale_offset
	global_load_b64 v[26:27], v28, s[10:11] scale_offset
	s_wait_xcnt 0x1
	v_dual_add_nc_u32 v10, -11, v12 :: v_dual_add_nc_u32 v35, 2, v13
	s_clause 0x1
	global_load_b64 v[28:29], v10, s[8:9] scale_offset
	global_load_b64 v[30:31], v34, s[8:9] scale_offset
	global_load_b64 v[32:33], v35, s[10:11] scale_offset
	s_wait_xcnt 0x2
	v_dual_add_nc_u32 v10, -10, v12 :: v_dual_add_nc_u32 v41, 3, v13
	s_clause 0x1
	global_load_b64 v[34:35], v10, s[8:9] scale_offset
	;; [unrolled: 6-line block ×5, first 2 shown]
	global_load_b64 v[54:55], v10, s[8:9] scale_offset
	global_load_b64 v[56:57], v13, s[10:11] scale_offset
	s_wait_xcnt 0x2
	v_add_nc_u32_e32 v12, 0xe0, v12
	s_wait_loadcnt 0x11
	v_fmac_f64_e32 v[0:1], v[16:17], v[24:25]
	v_fmac_f64_e32 v[8:9], v[22:23], v[24:25]
	s_wait_loadcnt 0xf
	s_delay_alu instid0(VALU_DEP_2) | instskip(NEXT) | instid1(VALU_DEP_2)
	v_fmac_f64_e32 v[0:1], v[18:19], v[26:27]
	v_fmac_f64_e32 v[8:9], v[20:21], v[26:27]
	s_wait_loadcnt 0xc
	s_delay_alu instid0(VALU_DEP_2) | instskip(NEXT) | instid1(VALU_DEP_2)
	;; [unrolled: 4-line block ×6, first 2 shown]
	v_fmac_f64_e32 v[0:1], v[54:55], v[56:57]
	v_fmac_f64_e32 v[8:9], v[52:53], v[56:57]
	s_and_not1_b32 exec_lo, exec_lo, s2
	s_cbranch_execnz .LBB103_15
; %bb.16:
	s_or_b32 exec_lo, exec_lo, s2
.LBB103_17:
	s_delay_alu instid0(SALU_CYCLE_1)
	s_or_b32 exec_lo, exec_lo, s3
.LBB103_18:
	v_mbcnt_lo_u32_b32 v14, -1, 0
	s_delay_alu instid0(VALU_DEP_1) | instskip(NEXT) | instid1(VALU_DEP_1)
	v_xor_b32_e32 v10, 8, v14
	v_cmp_gt_i32_e32 vcc_lo, 32, v10
	v_cndmask_b32_e32 v10, v14, v10, vcc_lo
	s_delay_alu instid0(VALU_DEP_1)
	v_lshlrev_b32_e32 v13, 2, v10
	ds_bpermute_b32 v10, v13, v0
	ds_bpermute_b32 v11, v13, v1
	s_wait_dscnt 0x0
	v_add_f64_e32 v[0:1], v[0:1], v[10:11]
	v_xor_b32_e32 v10, 4, v14
	s_delay_alu instid0(VALU_DEP_1)
	v_cmp_gt_i32_e32 vcc_lo, 32, v10
	v_cndmask_b32_e32 v10, v14, v10, vcc_lo
	ds_bpermute_b32 v12, v13, v8
	ds_bpermute_b32 v13, v13, v9
	s_wait_dscnt 0x0
	v_dual_add_f64 v[8:9], v[8:9], v[12:13] :: v_dual_lshlrev_b32 v13, 2, v10
	ds_bpermute_b32 v10, v13, v0
	ds_bpermute_b32 v11, v13, v1
	s_wait_dscnt 0x0
	v_add_f64_e32 v[0:1], v[0:1], v[10:11]
	v_xor_b32_e32 v10, 2, v14
	s_delay_alu instid0(VALU_DEP_1)
	v_cmp_gt_i32_e32 vcc_lo, 32, v10
	v_cndmask_b32_e32 v10, v14, v10, vcc_lo
	ds_bpermute_b32 v12, v13, v8
	ds_bpermute_b32 v13, v13, v9
	s_wait_dscnt 0x0
	v_dual_add_f64 v[8:9], v[8:9], v[12:13] :: v_dual_lshlrev_b32 v13, 2, v10
	ds_bpermute_b32 v10, v13, v0
	ds_bpermute_b32 v11, v13, v1
	s_wait_dscnt 0x0
	v_add_f64_e32 v[0:1], v[0:1], v[10:11]
	ds_bpermute_b32 v12, v13, v8
	ds_bpermute_b32 v13, v13, v9
	s_wait_dscnt 0x0
	v_dual_add_f64 v[10:11], v[8:9], v[12:13] :: v_dual_bitop2_b32 v8, 1, v14 bitop3:0x14
	s_delay_alu instid0(VALU_DEP_1) | instskip(SKIP_2) | instid1(VALU_DEP_2)
	v_cmp_gt_i32_e32 vcc_lo, 32, v8
	v_cndmask_b32_e32 v8, v14, v8, vcc_lo
	v_cmp_eq_u32_e32 vcc_lo, 15, v7
	v_lshlrev_b32_e32 v13, 2, v8
	ds_bpermute_b32 v8, v13, v0
	ds_bpermute_b32 v9, v13, v1
	;; [unrolled: 1-line block ×4, first 2 shown]
	s_and_b32 exec_lo, exec_lo, vcc_lo
	s_cbranch_execz .LBB103_23
; %bb.19:
	s_wait_dscnt 0x2
	v_add_f64_e32 v[8:9], v[0:1], v[8:9]
	s_wait_dscnt 0x0
	v_add_f64_e32 v[0:1], v[10:11], v[12:13]
	s_load_b64 s[0:1], s[0:1], 0x38
	s_mov_b32 s2, exec_lo
	v_cmpx_eq_f64_e32 0, v[4:5]
	s_xor_b32 s2, exec_lo, s2
	s_cbranch_execz .LBB103_21
; %bb.20:
	s_delay_alu instid0(VALU_DEP_3) | instskip(NEXT) | instid1(VALU_DEP_3)
	v_mul_f64_e32 v[8:9], v[2:3], v[8:9]
	v_dual_mul_f64 v[10:11], v[2:3], v[0:1] :: v_dual_lshlrev_b32 v0, 1, v6
                                        ; implicit-def: $vgpr6
                                        ; implicit-def: $vgpr2_vgpr3
                                        ; implicit-def: $vgpr4_vgpr5
	s_delay_alu instid0(VALU_DEP_1) | instskip(SKIP_1) | instid1(VALU_DEP_1)
	v_ashrrev_i32_e32 v1, 31, v0
	s_wait_kmcnt 0x0
	v_lshl_add_u64 v[0:1], v[0:1], 3, s[0:1]
	global_store_b128 v[0:1], v[8:11], off
                                        ; implicit-def: $vgpr8_vgpr9
                                        ; implicit-def: $vgpr0_vgpr1
.LBB103_21:
	s_wait_xcnt 0x0
	s_and_not1_saveexec_b32 s2, s2
	s_cbranch_execz .LBB103_23
; %bb.22:
	v_lshlrev_b32_e32 v6, 1, v6
	s_delay_alu instid0(VALU_DEP_1) | instskip(SKIP_1) | instid1(VALU_DEP_1)
	v_ashrrev_i32_e32 v7, 31, v6
	s_wait_kmcnt 0x0
	v_lshl_add_u64 v[14:15], v[6:7], 3, s[0:1]
	v_mul_f64_e32 v[6:7], v[2:3], v[8:9]
	v_mul_f64_e32 v[8:9], v[2:3], v[0:1]
	global_load_b128 v[10:13], v[14:15], off
	s_wait_loadcnt 0x0
	v_fmac_f64_e32 v[6:7], v[4:5], v[10:11]
	v_fmac_f64_e32 v[8:9], v[4:5], v[12:13]
	global_store_b128 v[14:15], v[6:9], off
.LBB103_23:
	s_endpgm
	.section	.rodata,"a",@progbits
	.p2align	6, 0x0
	.amdhsa_kernel _ZN9rocsparseL19gebsrmvn_2xn_kernelILj128ELj7ELj16EdEEvi20rocsparse_direction_NS_24const_host_device_scalarIT2_EEPKiS6_PKS3_S8_S4_PS3_21rocsparse_index_base_b
		.amdhsa_group_segment_fixed_size 0
		.amdhsa_private_segment_fixed_size 0
		.amdhsa_kernarg_size 72
		.amdhsa_user_sgpr_count 2
		.amdhsa_user_sgpr_dispatch_ptr 0
		.amdhsa_user_sgpr_queue_ptr 0
		.amdhsa_user_sgpr_kernarg_segment_ptr 1
		.amdhsa_user_sgpr_dispatch_id 0
		.amdhsa_user_sgpr_kernarg_preload_length 0
		.amdhsa_user_sgpr_kernarg_preload_offset 0
		.amdhsa_user_sgpr_private_segment_size 0
		.amdhsa_wavefront_size32 1
		.amdhsa_uses_dynamic_stack 0
		.amdhsa_enable_private_segment 0
		.amdhsa_system_sgpr_workgroup_id_x 1
		.amdhsa_system_sgpr_workgroup_id_y 0
		.amdhsa_system_sgpr_workgroup_id_z 0
		.amdhsa_system_sgpr_workgroup_info 0
		.amdhsa_system_vgpr_workitem_id 0
		.amdhsa_next_free_vgpr 62
		.amdhsa_next_free_sgpr 14
		.amdhsa_named_barrier_count 0
		.amdhsa_reserve_vcc 1
		.amdhsa_float_round_mode_32 0
		.amdhsa_float_round_mode_16_64 0
		.amdhsa_float_denorm_mode_32 3
		.amdhsa_float_denorm_mode_16_64 3
		.amdhsa_fp16_overflow 0
		.amdhsa_memory_ordered 1
		.amdhsa_forward_progress 1
		.amdhsa_inst_pref_size 16
		.amdhsa_round_robin_scheduling 0
		.amdhsa_exception_fp_ieee_invalid_op 0
		.amdhsa_exception_fp_denorm_src 0
		.amdhsa_exception_fp_ieee_div_zero 0
		.amdhsa_exception_fp_ieee_overflow 0
		.amdhsa_exception_fp_ieee_underflow 0
		.amdhsa_exception_fp_ieee_inexact 0
		.amdhsa_exception_int_div_zero 0
	.end_amdhsa_kernel
	.section	.text._ZN9rocsparseL19gebsrmvn_2xn_kernelILj128ELj7ELj16EdEEvi20rocsparse_direction_NS_24const_host_device_scalarIT2_EEPKiS6_PKS3_S8_S4_PS3_21rocsparse_index_base_b,"axG",@progbits,_ZN9rocsparseL19gebsrmvn_2xn_kernelILj128ELj7ELj16EdEEvi20rocsparse_direction_NS_24const_host_device_scalarIT2_EEPKiS6_PKS3_S8_S4_PS3_21rocsparse_index_base_b,comdat
.Lfunc_end103:
	.size	_ZN9rocsparseL19gebsrmvn_2xn_kernelILj128ELj7ELj16EdEEvi20rocsparse_direction_NS_24const_host_device_scalarIT2_EEPKiS6_PKS3_S8_S4_PS3_21rocsparse_index_base_b, .Lfunc_end103-_ZN9rocsparseL19gebsrmvn_2xn_kernelILj128ELj7ELj16EdEEvi20rocsparse_direction_NS_24const_host_device_scalarIT2_EEPKiS6_PKS3_S8_S4_PS3_21rocsparse_index_base_b
                                        ; -- End function
	.set _ZN9rocsparseL19gebsrmvn_2xn_kernelILj128ELj7ELj16EdEEvi20rocsparse_direction_NS_24const_host_device_scalarIT2_EEPKiS6_PKS3_S8_S4_PS3_21rocsparse_index_base_b.num_vgpr, 62
	.set _ZN9rocsparseL19gebsrmvn_2xn_kernelILj128ELj7ELj16EdEEvi20rocsparse_direction_NS_24const_host_device_scalarIT2_EEPKiS6_PKS3_S8_S4_PS3_21rocsparse_index_base_b.num_agpr, 0
	.set _ZN9rocsparseL19gebsrmvn_2xn_kernelILj128ELj7ELj16EdEEvi20rocsparse_direction_NS_24const_host_device_scalarIT2_EEPKiS6_PKS3_S8_S4_PS3_21rocsparse_index_base_b.numbered_sgpr, 14
	.set _ZN9rocsparseL19gebsrmvn_2xn_kernelILj128ELj7ELj16EdEEvi20rocsparse_direction_NS_24const_host_device_scalarIT2_EEPKiS6_PKS3_S8_S4_PS3_21rocsparse_index_base_b.num_named_barrier, 0
	.set _ZN9rocsparseL19gebsrmvn_2xn_kernelILj128ELj7ELj16EdEEvi20rocsparse_direction_NS_24const_host_device_scalarIT2_EEPKiS6_PKS3_S8_S4_PS3_21rocsparse_index_base_b.private_seg_size, 0
	.set _ZN9rocsparseL19gebsrmvn_2xn_kernelILj128ELj7ELj16EdEEvi20rocsparse_direction_NS_24const_host_device_scalarIT2_EEPKiS6_PKS3_S8_S4_PS3_21rocsparse_index_base_b.uses_vcc, 1
	.set _ZN9rocsparseL19gebsrmvn_2xn_kernelILj128ELj7ELj16EdEEvi20rocsparse_direction_NS_24const_host_device_scalarIT2_EEPKiS6_PKS3_S8_S4_PS3_21rocsparse_index_base_b.uses_flat_scratch, 0
	.set _ZN9rocsparseL19gebsrmvn_2xn_kernelILj128ELj7ELj16EdEEvi20rocsparse_direction_NS_24const_host_device_scalarIT2_EEPKiS6_PKS3_S8_S4_PS3_21rocsparse_index_base_b.has_dyn_sized_stack, 0
	.set _ZN9rocsparseL19gebsrmvn_2xn_kernelILj128ELj7ELj16EdEEvi20rocsparse_direction_NS_24const_host_device_scalarIT2_EEPKiS6_PKS3_S8_S4_PS3_21rocsparse_index_base_b.has_recursion, 0
	.set _ZN9rocsparseL19gebsrmvn_2xn_kernelILj128ELj7ELj16EdEEvi20rocsparse_direction_NS_24const_host_device_scalarIT2_EEPKiS6_PKS3_S8_S4_PS3_21rocsparse_index_base_b.has_indirect_call, 0
	.section	.AMDGPU.csdata,"",@progbits
; Kernel info:
; codeLenInByte = 1968
; TotalNumSgprs: 16
; NumVgprs: 62
; ScratchSize: 0
; MemoryBound: 0
; FloatMode: 240
; IeeeMode: 1
; LDSByteSize: 0 bytes/workgroup (compile time only)
; SGPRBlocks: 0
; VGPRBlocks: 3
; NumSGPRsForWavesPerEU: 16
; NumVGPRsForWavesPerEU: 62
; NamedBarCnt: 0
; Occupancy: 16
; WaveLimiterHint : 1
; COMPUTE_PGM_RSRC2:SCRATCH_EN: 0
; COMPUTE_PGM_RSRC2:USER_SGPR: 2
; COMPUTE_PGM_RSRC2:TRAP_HANDLER: 0
; COMPUTE_PGM_RSRC2:TGID_X_EN: 1
; COMPUTE_PGM_RSRC2:TGID_Y_EN: 0
; COMPUTE_PGM_RSRC2:TGID_Z_EN: 0
; COMPUTE_PGM_RSRC2:TIDIG_COMP_CNT: 0
	.section	.text._ZN9rocsparseL19gebsrmvn_2xn_kernelILj128ELj7ELj32EdEEvi20rocsparse_direction_NS_24const_host_device_scalarIT2_EEPKiS6_PKS3_S8_S4_PS3_21rocsparse_index_base_b,"axG",@progbits,_ZN9rocsparseL19gebsrmvn_2xn_kernelILj128ELj7ELj32EdEEvi20rocsparse_direction_NS_24const_host_device_scalarIT2_EEPKiS6_PKS3_S8_S4_PS3_21rocsparse_index_base_b,comdat
	.globl	_ZN9rocsparseL19gebsrmvn_2xn_kernelILj128ELj7ELj32EdEEvi20rocsparse_direction_NS_24const_host_device_scalarIT2_EEPKiS6_PKS3_S8_S4_PS3_21rocsparse_index_base_b ; -- Begin function _ZN9rocsparseL19gebsrmvn_2xn_kernelILj128ELj7ELj32EdEEvi20rocsparse_direction_NS_24const_host_device_scalarIT2_EEPKiS6_PKS3_S8_S4_PS3_21rocsparse_index_base_b
	.p2align	8
	.type	_ZN9rocsparseL19gebsrmvn_2xn_kernelILj128ELj7ELj32EdEEvi20rocsparse_direction_NS_24const_host_device_scalarIT2_EEPKiS6_PKS3_S8_S4_PS3_21rocsparse_index_base_b,@function
_ZN9rocsparseL19gebsrmvn_2xn_kernelILj128ELj7ELj32EdEEvi20rocsparse_direction_NS_24const_host_device_scalarIT2_EEPKiS6_PKS3_S8_S4_PS3_21rocsparse_index_base_b: ; @_ZN9rocsparseL19gebsrmvn_2xn_kernelILj128ELj7ELj32EdEEvi20rocsparse_direction_NS_24const_host_device_scalarIT2_EEPKiS6_PKS3_S8_S4_PS3_21rocsparse_index_base_b
; %bb.0:
	s_clause 0x2
	s_load_b64 s[12:13], s[0:1], 0x40
	s_load_b64 s[4:5], s[0:1], 0x8
	;; [unrolled: 1-line block ×3, first 2 shown]
	s_wait_kmcnt 0x0
	s_bitcmp1_b32 s13, 0
	v_mov_b64_e32 v[2:3], s[4:5]
	s_cselect_b32 s6, -1, 0
	s_delay_alu instid0(SALU_CYCLE_1)
	s_and_b32 vcc_lo, exec_lo, s6
	s_xor_b32 s6, s6, -1
	s_cbranch_vccnz .LBB104_2
; %bb.1:
	v_mov_b32_e32 v1, 0
	flat_load_b64 v[2:3], v1, s[4:5]
.LBB104_2:
	v_mov_b64_e32 v[4:5], s[2:3]
	s_and_not1_b32 vcc_lo, exec_lo, s6
	s_cbranch_vccnz .LBB104_4
; %bb.3:
	s_wait_xcnt 0x0
	v_mov_b32_e32 v1, 0
	flat_load_b64 v[4:5], v1, s[2:3]
.LBB104_4:
	s_wait_loadcnt_dscnt 0x0
	v_cmp_neq_f64_e32 vcc_lo, 0, v[2:3]
	s_delay_alu instid0(VALU_DEP_2) | instskip(SKIP_1) | instid1(SALU_CYCLE_1)
	v_cmp_neq_f64_e64 s2, 1.0, v[4:5]
	s_or_b32 s2, vcc_lo, s2
	s_and_saveexec_b32 s3, s2
	s_cbranch_execz .LBB104_23
; %bb.5:
	s_load_b64 s[2:3], s[0:1], 0x0
	s_bfe_u32 s4, ttmp6, 0x4000c
	s_and_b32 s5, ttmp6, 15
	s_add_co_i32 s4, s4, 1
	s_getreg_b32 s6, hwreg(HW_REG_IB_STS2, 6, 4)
	s_mul_i32 s4, ttmp9, s4
	v_lshrrev_b32_e32 v1, 5, v0
	s_add_co_i32 s5, s5, s4
	s_cmp_eq_u32 s6, 0
	s_cselect_b32 s4, ttmp9, s5
	s_delay_alu instid0(VALU_DEP_1) | instid1(SALU_CYCLE_1)
	v_lshl_or_b32 v6, s4, 2, v1
	s_wait_kmcnt 0x0
	s_delay_alu instid0(VALU_DEP_1)
	v_cmp_gt_i32_e32 vcc_lo, s2, v6
	s_and_b32 exec_lo, exec_lo, vcc_lo
	s_cbranch_execz .LBB104_23
; %bb.6:
	s_load_b256 s[4:11], s[0:1], 0x10
	v_ashrrev_i32_e32 v7, 31, v6
	s_cmp_lg_u32 s3, 0
	s_wait_kmcnt 0x0
	s_delay_alu instid0(VALU_DEP_1)
	v_lshl_add_u64 v[8:9], v[6:7], 2, s[4:5]
	v_and_b32_e32 v7, 31, v0
	global_load_b64 v[8:9], v[8:9], off
	s_wait_loadcnt 0x0
	v_subrev_nc_u32_e32 v0, s12, v8
	v_subrev_nc_u32_e32 v14, s12, v9
	s_delay_alu instid0(VALU_DEP_2) | instskip(NEXT) | instid1(VALU_DEP_1)
	v_add_nc_u32_e32 v15, v0, v7
	v_cmp_lt_i32_e64 s2, v15, v14
	s_cbranch_scc0 .LBB104_12
; %bb.7:
	v_mov_b64_e32 v[0:1], 0
	v_mov_b64_e32 v[8:9], 0
	s_and_saveexec_b32 s3, s2
	s_cbranch_execz .LBB104_11
; %bb.8:
	v_mad_u32 v10, v15, 14, 12
	v_mov_b64_e32 v[0:1], 0
	v_mov_b64_e32 v[8:9], 0
	v_dual_mov_b32 v13, 0 :: v_dual_mov_b32 v16, v15
	s_mov_b32 s4, 0
.LBB104_9:                              ; =>This Inner Loop Header: Depth=1
	global_load_b32 v11, v16, s[6:7] scale_offset
	s_wait_xcnt 0x0
	v_add_nc_u32_e32 v16, 32, v16
	s_delay_alu instid0(VALU_DEP_1) | instskip(SKIP_3) | instid1(VALU_DEP_1)
	v_cmp_ge_i32_e32 vcc_lo, v16, v14
	s_or_b32 s4, vcc_lo, s4
	s_wait_loadcnt 0x0
	v_subrev_nc_u32_e32 v11, s12, v11
	v_mul_lo_u32 v17, v11, 7
	s_delay_alu instid0(VALU_DEP_1) | instskip(NEXT) | instid1(VALU_DEP_1)
	v_dual_add_nc_u32 v12, -12, v10 :: v_dual_add_nc_u32 v11, 1, v17
	v_lshl_add_u64 v[22:23], v[12:13], 3, s[8:9]
	global_load_b128 v[18:21], v[22:23], off
	global_load_b64 v[46:47], v17, s[10:11] scale_offset
	v_add_nc_u32_e32 v12, -10, v10
	s_delay_alu instid0(VALU_DEP_1) | instskip(SKIP_4) | instid1(VALU_DEP_1)
	v_lshl_add_u64 v[26:27], v[12:13], 3, s[8:9]
	global_load_b128 v[22:25], v[26:27], off
	global_load_b64 v[48:49], v11, s[10:11] scale_offset
	s_wait_xcnt 0x0
	v_dual_add_nc_u32 v12, -8, v10 :: v_dual_add_nc_u32 v11, 2, v17
	v_lshl_add_u64 v[30:31], v[12:13], 3, s[8:9]
	global_load_b128 v[26:29], v[30:31], off
	global_load_b64 v[50:51], v11, s[10:11] scale_offset
	s_wait_xcnt 0x0
	v_dual_add_nc_u32 v12, -6, v10 :: v_dual_add_nc_u32 v11, 3, v17
	s_delay_alu instid0(VALU_DEP_1) | instskip(SKIP_4) | instid1(VALU_DEP_1)
	v_lshl_add_u64 v[34:35], v[12:13], 3, s[8:9]
	global_load_b128 v[30:33], v[34:35], off
	global_load_b64 v[52:53], v11, s[10:11] scale_offset
	s_wait_xcnt 0x0
	v_dual_add_nc_u32 v12, -4, v10 :: v_dual_add_nc_u32 v11, 4, v17
	v_lshl_add_u64 v[38:39], v[12:13], 3, s[8:9]
	global_load_b128 v[34:37], v[38:39], off
	global_load_b64 v[54:55], v11, s[10:11] scale_offset
	s_wait_xcnt 0x0
	v_dual_add_nc_u32 v12, -2, v10 :: v_dual_add_nc_u32 v11, 5, v17
	s_delay_alu instid0(VALU_DEP_1) | instskip(SKIP_4) | instid1(VALU_DEP_1)
	v_lshl_add_u64 v[42:43], v[12:13], 3, s[8:9]
	global_load_b128 v[38:41], v[42:43], off
	global_load_b64 v[56:57], v11, s[10:11] scale_offset
	s_wait_xcnt 0x0
	v_mov_b32_e32 v11, v13
	v_lshl_add_u64 v[58:59], v[10:11], 3, s[8:9]
	v_add_nc_u32_e32 v11, 6, v17
	global_load_b128 v[42:45], v[58:59], off
	global_load_b64 v[60:61], v11, s[10:11] scale_offset
	v_add_nc_u32_e32 v10, 0x1c0, v10
	s_wait_loadcnt 0xc
	v_fmac_f64_e32 v[0:1], v[18:19], v[46:47]
	v_fmac_f64_e32 v[8:9], v[20:21], v[46:47]
	s_wait_loadcnt 0xa
	s_delay_alu instid0(VALU_DEP_2) | instskip(NEXT) | instid1(VALU_DEP_2)
	v_fmac_f64_e32 v[0:1], v[22:23], v[48:49]
	v_fmac_f64_e32 v[8:9], v[24:25], v[48:49]
	s_wait_loadcnt 0x8
	s_delay_alu instid0(VALU_DEP_2) | instskip(NEXT) | instid1(VALU_DEP_2)
	;; [unrolled: 4-line block ×6, first 2 shown]
	v_fmac_f64_e32 v[0:1], v[42:43], v[60:61]
	v_fmac_f64_e32 v[8:9], v[44:45], v[60:61]
	s_and_not1_b32 exec_lo, exec_lo, s4
	s_cbranch_execnz .LBB104_9
; %bb.10:
	s_or_b32 exec_lo, exec_lo, s4
.LBB104_11:
	s_delay_alu instid0(SALU_CYCLE_1)
	s_or_b32 exec_lo, exec_lo, s3
	s_cbranch_execz .LBB104_13
	s_branch .LBB104_18
.LBB104_12:
                                        ; implicit-def: $vgpr0_vgpr1
                                        ; implicit-def: $vgpr8_vgpr9
.LBB104_13:
	v_mov_b64_e32 v[0:1], 0
	v_mov_b64_e32 v[8:9], 0
	s_and_saveexec_b32 s3, s2
	s_cbranch_execz .LBB104_17
; %bb.14:
	v_mad_u32 v12, v15, 14, 13
	v_mov_b64_e32 v[0:1], 0
	v_mov_b64_e32 v[8:9], 0
	v_mov_b32_e32 v11, 0
	s_mov_b32 s2, 0
.LBB104_15:                             ; =>This Inner Loop Header: Depth=1
	global_load_b32 v10, v15, s[6:7] scale_offset
	s_wait_xcnt 0x0
	v_dual_add_nc_u32 v15, 32, v15 :: v_dual_add_nc_u32 v26, -6, v12
	v_dual_add_nc_u32 v34, -4, v12 :: v_dual_add_nc_u32 v46, -2, v12
	s_delay_alu instid0(VALU_DEP_2) | instskip(SKIP_3) | instid1(VALU_DEP_1)
	v_cmp_ge_i32_e32 vcc_lo, v15, v14
	s_or_b32 s2, vcc_lo, s2
	s_wait_loadcnt 0x0
	v_subrev_nc_u32_e32 v10, s12, v10
	v_mul_lo_u32 v13, v10, 7
	v_dual_add_nc_u32 v10, -13, v12 :: v_dual_add_nc_u32 v40, -3, v12
	v_add_nc_u32_e32 v52, -1, v12
	s_delay_alu instid0(VALU_DEP_2)
	v_lshl_add_u64 v[20:21], v[10:11], 3, s[8:9]
	s_clause 0x1
	global_load_b128 v[16:19], v[20:21], off
	global_load_b64 v[22:23], v26, s[8:9] scale_offset
	global_load_b64 v[24:25], v13, s[10:11] scale_offset
	v_dual_add_nc_u32 v10, -5, v12 :: v_dual_add_nc_u32 v28, 1, v13
	global_load_b64 v[20:21], v10, s[8:9] scale_offset
	global_load_b64 v[26:27], v28, s[10:11] scale_offset
	s_wait_xcnt 0x1
	v_dual_add_nc_u32 v10, -11, v12 :: v_dual_add_nc_u32 v35, 2, v13
	s_clause 0x1
	global_load_b64 v[28:29], v10, s[8:9] scale_offset
	global_load_b64 v[30:31], v34, s[8:9] scale_offset
	global_load_b64 v[32:33], v35, s[10:11] scale_offset
	s_wait_xcnt 0x2
	v_dual_add_nc_u32 v10, -10, v12 :: v_dual_add_nc_u32 v41, 3, v13
	s_clause 0x1
	global_load_b64 v[34:35], v10, s[8:9] scale_offset
	;; [unrolled: 6-line block ×5, first 2 shown]
	global_load_b64 v[54:55], v10, s[8:9] scale_offset
	global_load_b64 v[56:57], v13, s[10:11] scale_offset
	s_wait_xcnt 0x2
	v_add_nc_u32_e32 v12, 0x1c0, v12
	s_wait_loadcnt 0x11
	v_fmac_f64_e32 v[0:1], v[16:17], v[24:25]
	v_fmac_f64_e32 v[8:9], v[22:23], v[24:25]
	s_wait_loadcnt 0xf
	s_delay_alu instid0(VALU_DEP_2) | instskip(NEXT) | instid1(VALU_DEP_2)
	v_fmac_f64_e32 v[0:1], v[18:19], v[26:27]
	v_fmac_f64_e32 v[8:9], v[20:21], v[26:27]
	s_wait_loadcnt 0xc
	s_delay_alu instid0(VALU_DEP_2) | instskip(NEXT) | instid1(VALU_DEP_2)
	;; [unrolled: 4-line block ×6, first 2 shown]
	v_fmac_f64_e32 v[0:1], v[54:55], v[56:57]
	v_fmac_f64_e32 v[8:9], v[52:53], v[56:57]
	s_and_not1_b32 exec_lo, exec_lo, s2
	s_cbranch_execnz .LBB104_15
; %bb.16:
	s_or_b32 exec_lo, exec_lo, s2
.LBB104_17:
	s_delay_alu instid0(SALU_CYCLE_1)
	s_or_b32 exec_lo, exec_lo, s3
.LBB104_18:
	v_mbcnt_lo_u32_b32 v14, -1, 0
	s_delay_alu instid0(VALU_DEP_1) | instskip(NEXT) | instid1(VALU_DEP_1)
	v_xor_b32_e32 v10, 16, v14
	v_cmp_gt_i32_e32 vcc_lo, 32, v10
	v_cndmask_b32_e32 v10, v14, v10, vcc_lo
	s_delay_alu instid0(VALU_DEP_1)
	v_lshlrev_b32_e32 v13, 2, v10
	ds_bpermute_b32 v10, v13, v0
	ds_bpermute_b32 v11, v13, v1
	s_wait_dscnt 0x0
	v_add_f64_e32 v[0:1], v[0:1], v[10:11]
	v_xor_b32_e32 v10, 8, v14
	s_delay_alu instid0(VALU_DEP_1)
	v_cmp_gt_i32_e32 vcc_lo, 32, v10
	v_cndmask_b32_e32 v10, v14, v10, vcc_lo
	ds_bpermute_b32 v12, v13, v8
	ds_bpermute_b32 v13, v13, v9
	s_wait_dscnt 0x0
	v_dual_add_f64 v[8:9], v[8:9], v[12:13] :: v_dual_lshlrev_b32 v13, 2, v10
	ds_bpermute_b32 v10, v13, v0
	ds_bpermute_b32 v11, v13, v1
	s_wait_dscnt 0x0
	v_add_f64_e32 v[0:1], v[0:1], v[10:11]
	v_xor_b32_e32 v10, 4, v14
	s_delay_alu instid0(VALU_DEP_1)
	v_cmp_gt_i32_e32 vcc_lo, 32, v10
	v_cndmask_b32_e32 v10, v14, v10, vcc_lo
	ds_bpermute_b32 v12, v13, v8
	ds_bpermute_b32 v13, v13, v9
	s_wait_dscnt 0x0
	v_dual_add_f64 v[8:9], v[8:9], v[12:13] :: v_dual_lshlrev_b32 v13, 2, v10
	;; [unrolled: 12-line block ×3, first 2 shown]
	ds_bpermute_b32 v10, v13, v0
	ds_bpermute_b32 v11, v13, v1
	s_wait_dscnt 0x0
	v_add_f64_e32 v[0:1], v[0:1], v[10:11]
	ds_bpermute_b32 v12, v13, v8
	ds_bpermute_b32 v13, v13, v9
	s_wait_dscnt 0x0
	v_dual_add_f64 v[10:11], v[8:9], v[12:13] :: v_dual_bitop2_b32 v8, 1, v14 bitop3:0x14
	s_delay_alu instid0(VALU_DEP_1) | instskip(SKIP_2) | instid1(VALU_DEP_2)
	v_cmp_gt_i32_e32 vcc_lo, 32, v8
	v_cndmask_b32_e32 v8, v14, v8, vcc_lo
	v_cmp_eq_u32_e32 vcc_lo, 31, v7
	v_lshlrev_b32_e32 v13, 2, v8
	ds_bpermute_b32 v8, v13, v0
	ds_bpermute_b32 v9, v13, v1
	;; [unrolled: 1-line block ×4, first 2 shown]
	s_and_b32 exec_lo, exec_lo, vcc_lo
	s_cbranch_execz .LBB104_23
; %bb.19:
	s_wait_dscnt 0x2
	v_add_f64_e32 v[8:9], v[0:1], v[8:9]
	s_wait_dscnt 0x0
	v_add_f64_e32 v[0:1], v[10:11], v[12:13]
	s_load_b64 s[0:1], s[0:1], 0x38
	s_mov_b32 s2, exec_lo
	v_cmpx_eq_f64_e32 0, v[4:5]
	s_xor_b32 s2, exec_lo, s2
	s_cbranch_execz .LBB104_21
; %bb.20:
	s_delay_alu instid0(VALU_DEP_3) | instskip(NEXT) | instid1(VALU_DEP_3)
	v_mul_f64_e32 v[8:9], v[2:3], v[8:9]
	v_dual_mul_f64 v[10:11], v[2:3], v[0:1] :: v_dual_lshlrev_b32 v0, 1, v6
                                        ; implicit-def: $vgpr6
                                        ; implicit-def: $vgpr2_vgpr3
                                        ; implicit-def: $vgpr4_vgpr5
	s_delay_alu instid0(VALU_DEP_1) | instskip(SKIP_1) | instid1(VALU_DEP_1)
	v_ashrrev_i32_e32 v1, 31, v0
	s_wait_kmcnt 0x0
	v_lshl_add_u64 v[0:1], v[0:1], 3, s[0:1]
	global_store_b128 v[0:1], v[8:11], off
                                        ; implicit-def: $vgpr8_vgpr9
                                        ; implicit-def: $vgpr0_vgpr1
.LBB104_21:
	s_wait_xcnt 0x0
	s_and_not1_saveexec_b32 s2, s2
	s_cbranch_execz .LBB104_23
; %bb.22:
	v_lshlrev_b32_e32 v6, 1, v6
	s_delay_alu instid0(VALU_DEP_1) | instskip(SKIP_1) | instid1(VALU_DEP_1)
	v_ashrrev_i32_e32 v7, 31, v6
	s_wait_kmcnt 0x0
	v_lshl_add_u64 v[14:15], v[6:7], 3, s[0:1]
	v_mul_f64_e32 v[6:7], v[2:3], v[8:9]
	v_mul_f64_e32 v[8:9], v[2:3], v[0:1]
	global_load_b128 v[10:13], v[14:15], off
	s_wait_loadcnt 0x0
	v_fmac_f64_e32 v[6:7], v[4:5], v[10:11]
	v_fmac_f64_e32 v[8:9], v[4:5], v[12:13]
	global_store_b128 v[14:15], v[6:9], off
.LBB104_23:
	s_endpgm
	.section	.rodata,"a",@progbits
	.p2align	6, 0x0
	.amdhsa_kernel _ZN9rocsparseL19gebsrmvn_2xn_kernelILj128ELj7ELj32EdEEvi20rocsparse_direction_NS_24const_host_device_scalarIT2_EEPKiS6_PKS3_S8_S4_PS3_21rocsparse_index_base_b
		.amdhsa_group_segment_fixed_size 0
		.amdhsa_private_segment_fixed_size 0
		.amdhsa_kernarg_size 72
		.amdhsa_user_sgpr_count 2
		.amdhsa_user_sgpr_dispatch_ptr 0
		.amdhsa_user_sgpr_queue_ptr 0
		.amdhsa_user_sgpr_kernarg_segment_ptr 1
		.amdhsa_user_sgpr_dispatch_id 0
		.amdhsa_user_sgpr_kernarg_preload_length 0
		.amdhsa_user_sgpr_kernarg_preload_offset 0
		.amdhsa_user_sgpr_private_segment_size 0
		.amdhsa_wavefront_size32 1
		.amdhsa_uses_dynamic_stack 0
		.amdhsa_enable_private_segment 0
		.amdhsa_system_sgpr_workgroup_id_x 1
		.amdhsa_system_sgpr_workgroup_id_y 0
		.amdhsa_system_sgpr_workgroup_id_z 0
		.amdhsa_system_sgpr_workgroup_info 0
		.amdhsa_system_vgpr_workitem_id 0
		.amdhsa_next_free_vgpr 62
		.amdhsa_next_free_sgpr 14
		.amdhsa_named_barrier_count 0
		.amdhsa_reserve_vcc 1
		.amdhsa_float_round_mode_32 0
		.amdhsa_float_round_mode_16_64 0
		.amdhsa_float_denorm_mode_32 3
		.amdhsa_float_denorm_mode_16_64 3
		.amdhsa_fp16_overflow 0
		.amdhsa_memory_ordered 1
		.amdhsa_forward_progress 1
		.amdhsa_inst_pref_size 16
		.amdhsa_round_robin_scheduling 0
		.amdhsa_exception_fp_ieee_invalid_op 0
		.amdhsa_exception_fp_denorm_src 0
		.amdhsa_exception_fp_ieee_div_zero 0
		.amdhsa_exception_fp_ieee_overflow 0
		.amdhsa_exception_fp_ieee_underflow 0
		.amdhsa_exception_fp_ieee_inexact 0
		.amdhsa_exception_int_div_zero 0
	.end_amdhsa_kernel
	.section	.text._ZN9rocsparseL19gebsrmvn_2xn_kernelILj128ELj7ELj32EdEEvi20rocsparse_direction_NS_24const_host_device_scalarIT2_EEPKiS6_PKS3_S8_S4_PS3_21rocsparse_index_base_b,"axG",@progbits,_ZN9rocsparseL19gebsrmvn_2xn_kernelILj128ELj7ELj32EdEEvi20rocsparse_direction_NS_24const_host_device_scalarIT2_EEPKiS6_PKS3_S8_S4_PS3_21rocsparse_index_base_b,comdat
.Lfunc_end104:
	.size	_ZN9rocsparseL19gebsrmvn_2xn_kernelILj128ELj7ELj32EdEEvi20rocsparse_direction_NS_24const_host_device_scalarIT2_EEPKiS6_PKS3_S8_S4_PS3_21rocsparse_index_base_b, .Lfunc_end104-_ZN9rocsparseL19gebsrmvn_2xn_kernelILj128ELj7ELj32EdEEvi20rocsparse_direction_NS_24const_host_device_scalarIT2_EEPKiS6_PKS3_S8_S4_PS3_21rocsparse_index_base_b
                                        ; -- End function
	.set _ZN9rocsparseL19gebsrmvn_2xn_kernelILj128ELj7ELj32EdEEvi20rocsparse_direction_NS_24const_host_device_scalarIT2_EEPKiS6_PKS3_S8_S4_PS3_21rocsparse_index_base_b.num_vgpr, 62
	.set _ZN9rocsparseL19gebsrmvn_2xn_kernelILj128ELj7ELj32EdEEvi20rocsparse_direction_NS_24const_host_device_scalarIT2_EEPKiS6_PKS3_S8_S4_PS3_21rocsparse_index_base_b.num_agpr, 0
	.set _ZN9rocsparseL19gebsrmvn_2xn_kernelILj128ELj7ELj32EdEEvi20rocsparse_direction_NS_24const_host_device_scalarIT2_EEPKiS6_PKS3_S8_S4_PS3_21rocsparse_index_base_b.numbered_sgpr, 14
	.set _ZN9rocsparseL19gebsrmvn_2xn_kernelILj128ELj7ELj32EdEEvi20rocsparse_direction_NS_24const_host_device_scalarIT2_EEPKiS6_PKS3_S8_S4_PS3_21rocsparse_index_base_b.num_named_barrier, 0
	.set _ZN9rocsparseL19gebsrmvn_2xn_kernelILj128ELj7ELj32EdEEvi20rocsparse_direction_NS_24const_host_device_scalarIT2_EEPKiS6_PKS3_S8_S4_PS3_21rocsparse_index_base_b.private_seg_size, 0
	.set _ZN9rocsparseL19gebsrmvn_2xn_kernelILj128ELj7ELj32EdEEvi20rocsparse_direction_NS_24const_host_device_scalarIT2_EEPKiS6_PKS3_S8_S4_PS3_21rocsparse_index_base_b.uses_vcc, 1
	.set _ZN9rocsparseL19gebsrmvn_2xn_kernelILj128ELj7ELj32EdEEvi20rocsparse_direction_NS_24const_host_device_scalarIT2_EEPKiS6_PKS3_S8_S4_PS3_21rocsparse_index_base_b.uses_flat_scratch, 0
	.set _ZN9rocsparseL19gebsrmvn_2xn_kernelILj128ELj7ELj32EdEEvi20rocsparse_direction_NS_24const_host_device_scalarIT2_EEPKiS6_PKS3_S8_S4_PS3_21rocsparse_index_base_b.has_dyn_sized_stack, 0
	.set _ZN9rocsparseL19gebsrmvn_2xn_kernelILj128ELj7ELj32EdEEvi20rocsparse_direction_NS_24const_host_device_scalarIT2_EEPKiS6_PKS3_S8_S4_PS3_21rocsparse_index_base_b.has_recursion, 0
	.set _ZN9rocsparseL19gebsrmvn_2xn_kernelILj128ELj7ELj32EdEEvi20rocsparse_direction_NS_24const_host_device_scalarIT2_EEPKiS6_PKS3_S8_S4_PS3_21rocsparse_index_base_b.has_indirect_call, 0
	.section	.AMDGPU.csdata,"",@progbits
; Kernel info:
; codeLenInByte = 2040
; TotalNumSgprs: 16
; NumVgprs: 62
; ScratchSize: 0
; MemoryBound: 0
; FloatMode: 240
; IeeeMode: 1
; LDSByteSize: 0 bytes/workgroup (compile time only)
; SGPRBlocks: 0
; VGPRBlocks: 3
; NumSGPRsForWavesPerEU: 16
; NumVGPRsForWavesPerEU: 62
; NamedBarCnt: 0
; Occupancy: 16
; WaveLimiterHint : 1
; COMPUTE_PGM_RSRC2:SCRATCH_EN: 0
; COMPUTE_PGM_RSRC2:USER_SGPR: 2
; COMPUTE_PGM_RSRC2:TRAP_HANDLER: 0
; COMPUTE_PGM_RSRC2:TGID_X_EN: 1
; COMPUTE_PGM_RSRC2:TGID_Y_EN: 0
; COMPUTE_PGM_RSRC2:TGID_Z_EN: 0
; COMPUTE_PGM_RSRC2:TIDIG_COMP_CNT: 0
	.section	.text._ZN9rocsparseL19gebsrmvn_2xn_kernelILj128ELj7ELj64EdEEvi20rocsparse_direction_NS_24const_host_device_scalarIT2_EEPKiS6_PKS3_S8_S4_PS3_21rocsparse_index_base_b,"axG",@progbits,_ZN9rocsparseL19gebsrmvn_2xn_kernelILj128ELj7ELj64EdEEvi20rocsparse_direction_NS_24const_host_device_scalarIT2_EEPKiS6_PKS3_S8_S4_PS3_21rocsparse_index_base_b,comdat
	.globl	_ZN9rocsparseL19gebsrmvn_2xn_kernelILj128ELj7ELj64EdEEvi20rocsparse_direction_NS_24const_host_device_scalarIT2_EEPKiS6_PKS3_S8_S4_PS3_21rocsparse_index_base_b ; -- Begin function _ZN9rocsparseL19gebsrmvn_2xn_kernelILj128ELj7ELj64EdEEvi20rocsparse_direction_NS_24const_host_device_scalarIT2_EEPKiS6_PKS3_S8_S4_PS3_21rocsparse_index_base_b
	.p2align	8
	.type	_ZN9rocsparseL19gebsrmvn_2xn_kernelILj128ELj7ELj64EdEEvi20rocsparse_direction_NS_24const_host_device_scalarIT2_EEPKiS6_PKS3_S8_S4_PS3_21rocsparse_index_base_b,@function
_ZN9rocsparseL19gebsrmvn_2xn_kernelILj128ELj7ELj64EdEEvi20rocsparse_direction_NS_24const_host_device_scalarIT2_EEPKiS6_PKS3_S8_S4_PS3_21rocsparse_index_base_b: ; @_ZN9rocsparseL19gebsrmvn_2xn_kernelILj128ELj7ELj64EdEEvi20rocsparse_direction_NS_24const_host_device_scalarIT2_EEPKiS6_PKS3_S8_S4_PS3_21rocsparse_index_base_b
; %bb.0:
	s_clause 0x2
	s_load_b64 s[12:13], s[0:1], 0x40
	s_load_b64 s[4:5], s[0:1], 0x8
	;; [unrolled: 1-line block ×3, first 2 shown]
	s_wait_kmcnt 0x0
	s_bitcmp1_b32 s13, 0
	v_mov_b64_e32 v[2:3], s[4:5]
	s_cselect_b32 s6, -1, 0
	s_delay_alu instid0(SALU_CYCLE_1)
	s_and_b32 vcc_lo, exec_lo, s6
	s_xor_b32 s6, s6, -1
	s_cbranch_vccnz .LBB105_2
; %bb.1:
	v_mov_b32_e32 v1, 0
	flat_load_b64 v[2:3], v1, s[4:5]
.LBB105_2:
	v_mov_b64_e32 v[4:5], s[2:3]
	s_and_not1_b32 vcc_lo, exec_lo, s6
	s_cbranch_vccnz .LBB105_4
; %bb.3:
	s_wait_xcnt 0x0
	v_mov_b32_e32 v1, 0
	flat_load_b64 v[4:5], v1, s[2:3]
.LBB105_4:
	s_wait_loadcnt_dscnt 0x0
	v_cmp_neq_f64_e32 vcc_lo, 0, v[2:3]
	s_delay_alu instid0(VALU_DEP_2) | instskip(SKIP_1) | instid1(SALU_CYCLE_1)
	v_cmp_neq_f64_e64 s2, 1.0, v[4:5]
	s_or_b32 s2, vcc_lo, s2
	s_and_saveexec_b32 s3, s2
	s_cbranch_execz .LBB105_23
; %bb.5:
	s_load_b64 s[2:3], s[0:1], 0x0
	s_bfe_u32 s4, ttmp6, 0x4000c
	s_and_b32 s5, ttmp6, 15
	s_add_co_i32 s4, s4, 1
	s_getreg_b32 s6, hwreg(HW_REG_IB_STS2, 6, 4)
	s_mul_i32 s4, ttmp9, s4
	v_lshrrev_b32_e32 v1, 6, v0
	s_add_co_i32 s5, s5, s4
	s_cmp_eq_u32 s6, 0
	s_cselect_b32 s4, ttmp9, s5
	s_delay_alu instid0(VALU_DEP_1) | instid1(SALU_CYCLE_1)
	v_lshl_or_b32 v6, s4, 1, v1
	s_wait_kmcnt 0x0
	s_delay_alu instid0(VALU_DEP_1)
	v_cmp_gt_i32_e32 vcc_lo, s2, v6
	s_and_b32 exec_lo, exec_lo, vcc_lo
	s_cbranch_execz .LBB105_23
; %bb.6:
	s_load_b256 s[4:11], s[0:1], 0x10
	v_ashrrev_i32_e32 v7, 31, v6
	s_cmp_lg_u32 s3, 0
	s_wait_kmcnt 0x0
	s_delay_alu instid0(VALU_DEP_1)
	v_lshl_add_u64 v[8:9], v[6:7], 2, s[4:5]
	v_and_b32_e32 v7, 63, v0
	global_load_b64 v[8:9], v[8:9], off
	s_wait_loadcnt 0x0
	v_subrev_nc_u32_e32 v0, s12, v8
	v_subrev_nc_u32_e32 v14, s12, v9
	s_delay_alu instid0(VALU_DEP_2) | instskip(NEXT) | instid1(VALU_DEP_1)
	v_add_nc_u32_e32 v15, v0, v7
	v_cmp_lt_i32_e64 s2, v15, v14
	s_cbranch_scc0 .LBB105_12
; %bb.7:
	v_mov_b64_e32 v[0:1], 0
	v_mov_b64_e32 v[8:9], 0
	s_and_saveexec_b32 s3, s2
	s_cbranch_execz .LBB105_11
; %bb.8:
	v_mad_u32 v10, v15, 14, 12
	v_mov_b64_e32 v[0:1], 0
	v_mov_b64_e32 v[8:9], 0
	v_dual_mov_b32 v13, 0 :: v_dual_mov_b32 v16, v15
	s_mov_b32 s4, 0
.LBB105_9:                              ; =>This Inner Loop Header: Depth=1
	global_load_b32 v11, v16, s[6:7] scale_offset
	s_wait_xcnt 0x0
	v_add_nc_u32_e32 v16, 64, v16
	s_delay_alu instid0(VALU_DEP_1) | instskip(SKIP_3) | instid1(VALU_DEP_1)
	v_cmp_ge_i32_e32 vcc_lo, v16, v14
	s_or_b32 s4, vcc_lo, s4
	s_wait_loadcnt 0x0
	v_subrev_nc_u32_e32 v11, s12, v11
	v_mul_lo_u32 v17, v11, 7
	s_delay_alu instid0(VALU_DEP_1) | instskip(NEXT) | instid1(VALU_DEP_1)
	v_dual_add_nc_u32 v12, -12, v10 :: v_dual_add_nc_u32 v11, 1, v17
	v_lshl_add_u64 v[22:23], v[12:13], 3, s[8:9]
	global_load_b128 v[18:21], v[22:23], off
	global_load_b64 v[46:47], v17, s[10:11] scale_offset
	v_add_nc_u32_e32 v12, -10, v10
	s_delay_alu instid0(VALU_DEP_1) | instskip(SKIP_4) | instid1(VALU_DEP_1)
	v_lshl_add_u64 v[26:27], v[12:13], 3, s[8:9]
	global_load_b128 v[22:25], v[26:27], off
	global_load_b64 v[48:49], v11, s[10:11] scale_offset
	s_wait_xcnt 0x0
	v_dual_add_nc_u32 v12, -8, v10 :: v_dual_add_nc_u32 v11, 2, v17
	v_lshl_add_u64 v[30:31], v[12:13], 3, s[8:9]
	global_load_b128 v[26:29], v[30:31], off
	global_load_b64 v[50:51], v11, s[10:11] scale_offset
	s_wait_xcnt 0x0
	v_dual_add_nc_u32 v12, -6, v10 :: v_dual_add_nc_u32 v11, 3, v17
	s_delay_alu instid0(VALU_DEP_1) | instskip(SKIP_4) | instid1(VALU_DEP_1)
	v_lshl_add_u64 v[34:35], v[12:13], 3, s[8:9]
	global_load_b128 v[30:33], v[34:35], off
	global_load_b64 v[52:53], v11, s[10:11] scale_offset
	s_wait_xcnt 0x0
	v_dual_add_nc_u32 v12, -4, v10 :: v_dual_add_nc_u32 v11, 4, v17
	v_lshl_add_u64 v[38:39], v[12:13], 3, s[8:9]
	global_load_b128 v[34:37], v[38:39], off
	global_load_b64 v[54:55], v11, s[10:11] scale_offset
	s_wait_xcnt 0x0
	v_dual_add_nc_u32 v12, -2, v10 :: v_dual_add_nc_u32 v11, 5, v17
	s_delay_alu instid0(VALU_DEP_1) | instskip(SKIP_4) | instid1(VALU_DEP_1)
	v_lshl_add_u64 v[42:43], v[12:13], 3, s[8:9]
	global_load_b128 v[38:41], v[42:43], off
	global_load_b64 v[56:57], v11, s[10:11] scale_offset
	s_wait_xcnt 0x0
	v_mov_b32_e32 v11, v13
	v_lshl_add_u64 v[58:59], v[10:11], 3, s[8:9]
	v_add_nc_u32_e32 v11, 6, v17
	global_load_b128 v[42:45], v[58:59], off
	global_load_b64 v[60:61], v11, s[10:11] scale_offset
	v_add_nc_u32_e32 v10, 0x380, v10
	s_wait_loadcnt 0xc
	v_fmac_f64_e32 v[0:1], v[18:19], v[46:47]
	v_fmac_f64_e32 v[8:9], v[20:21], v[46:47]
	s_wait_loadcnt 0xa
	s_delay_alu instid0(VALU_DEP_2) | instskip(NEXT) | instid1(VALU_DEP_2)
	v_fmac_f64_e32 v[0:1], v[22:23], v[48:49]
	v_fmac_f64_e32 v[8:9], v[24:25], v[48:49]
	s_wait_loadcnt 0x8
	s_delay_alu instid0(VALU_DEP_2) | instskip(NEXT) | instid1(VALU_DEP_2)
	;; [unrolled: 4-line block ×6, first 2 shown]
	v_fmac_f64_e32 v[0:1], v[42:43], v[60:61]
	v_fmac_f64_e32 v[8:9], v[44:45], v[60:61]
	s_and_not1_b32 exec_lo, exec_lo, s4
	s_cbranch_execnz .LBB105_9
; %bb.10:
	s_or_b32 exec_lo, exec_lo, s4
.LBB105_11:
	s_delay_alu instid0(SALU_CYCLE_1)
	s_or_b32 exec_lo, exec_lo, s3
	s_cbranch_execz .LBB105_13
	s_branch .LBB105_18
.LBB105_12:
                                        ; implicit-def: $vgpr0_vgpr1
                                        ; implicit-def: $vgpr8_vgpr9
.LBB105_13:
	v_mov_b64_e32 v[0:1], 0
	v_mov_b64_e32 v[8:9], 0
	s_and_saveexec_b32 s3, s2
	s_cbranch_execz .LBB105_17
; %bb.14:
	v_mad_u32 v12, v15, 14, 13
	v_mov_b64_e32 v[0:1], 0
	v_mov_b64_e32 v[8:9], 0
	v_mov_b32_e32 v11, 0
	s_mov_b32 s2, 0
.LBB105_15:                             ; =>This Inner Loop Header: Depth=1
	global_load_b32 v10, v15, s[6:7] scale_offset
	s_wait_xcnt 0x0
	v_dual_add_nc_u32 v15, 64, v15 :: v_dual_add_nc_u32 v26, -6, v12
	v_dual_add_nc_u32 v34, -4, v12 :: v_dual_add_nc_u32 v46, -2, v12
	s_delay_alu instid0(VALU_DEP_2) | instskip(SKIP_3) | instid1(VALU_DEP_1)
	v_cmp_ge_i32_e32 vcc_lo, v15, v14
	s_or_b32 s2, vcc_lo, s2
	s_wait_loadcnt 0x0
	v_subrev_nc_u32_e32 v10, s12, v10
	v_mul_lo_u32 v13, v10, 7
	v_dual_add_nc_u32 v10, -13, v12 :: v_dual_add_nc_u32 v40, -3, v12
	v_add_nc_u32_e32 v52, -1, v12
	s_delay_alu instid0(VALU_DEP_2)
	v_lshl_add_u64 v[20:21], v[10:11], 3, s[8:9]
	s_clause 0x1
	global_load_b128 v[16:19], v[20:21], off
	global_load_b64 v[22:23], v26, s[8:9] scale_offset
	global_load_b64 v[24:25], v13, s[10:11] scale_offset
	v_dual_add_nc_u32 v10, -5, v12 :: v_dual_add_nc_u32 v28, 1, v13
	global_load_b64 v[20:21], v10, s[8:9] scale_offset
	global_load_b64 v[26:27], v28, s[10:11] scale_offset
	s_wait_xcnt 0x1
	v_dual_add_nc_u32 v10, -11, v12 :: v_dual_add_nc_u32 v35, 2, v13
	s_clause 0x1
	global_load_b64 v[28:29], v10, s[8:9] scale_offset
	global_load_b64 v[30:31], v34, s[8:9] scale_offset
	global_load_b64 v[32:33], v35, s[10:11] scale_offset
	s_wait_xcnt 0x2
	v_dual_add_nc_u32 v10, -10, v12 :: v_dual_add_nc_u32 v41, 3, v13
	s_clause 0x1
	global_load_b64 v[34:35], v10, s[8:9] scale_offset
	;; [unrolled: 6-line block ×5, first 2 shown]
	global_load_b64 v[54:55], v10, s[8:9] scale_offset
	global_load_b64 v[56:57], v13, s[10:11] scale_offset
	s_wait_xcnt 0x2
	v_add_nc_u32_e32 v12, 0x380, v12
	s_wait_loadcnt 0x11
	v_fmac_f64_e32 v[0:1], v[16:17], v[24:25]
	v_fmac_f64_e32 v[8:9], v[22:23], v[24:25]
	s_wait_loadcnt 0xf
	s_delay_alu instid0(VALU_DEP_2) | instskip(NEXT) | instid1(VALU_DEP_2)
	v_fmac_f64_e32 v[0:1], v[18:19], v[26:27]
	v_fmac_f64_e32 v[8:9], v[20:21], v[26:27]
	s_wait_loadcnt 0xc
	s_delay_alu instid0(VALU_DEP_2) | instskip(NEXT) | instid1(VALU_DEP_2)
	;; [unrolled: 4-line block ×6, first 2 shown]
	v_fmac_f64_e32 v[0:1], v[54:55], v[56:57]
	v_fmac_f64_e32 v[8:9], v[52:53], v[56:57]
	s_and_not1_b32 exec_lo, exec_lo, s2
	s_cbranch_execnz .LBB105_15
; %bb.16:
	s_or_b32 exec_lo, exec_lo, s2
.LBB105_17:
	s_delay_alu instid0(SALU_CYCLE_1)
	s_or_b32 exec_lo, exec_lo, s3
.LBB105_18:
	v_mbcnt_lo_u32_b32 v14, -1, 0
	s_delay_alu instid0(VALU_DEP_1) | instskip(NEXT) | instid1(VALU_DEP_1)
	v_or_b32_e32 v10, 32, v14
	v_cmp_gt_i32_e32 vcc_lo, 32, v10
	v_cndmask_b32_e32 v10, v14, v10, vcc_lo
	s_delay_alu instid0(VALU_DEP_1)
	v_lshlrev_b32_e32 v13, 2, v10
	ds_bpermute_b32 v10, v13, v0
	ds_bpermute_b32 v11, v13, v1
	s_wait_dscnt 0x0
	v_add_f64_e32 v[0:1], v[0:1], v[10:11]
	v_xor_b32_e32 v10, 16, v14
	s_delay_alu instid0(VALU_DEP_1)
	v_cmp_gt_i32_e32 vcc_lo, 32, v10
	v_cndmask_b32_e32 v10, v14, v10, vcc_lo
	ds_bpermute_b32 v12, v13, v8
	ds_bpermute_b32 v13, v13, v9
	s_wait_dscnt 0x0
	v_dual_add_f64 v[8:9], v[8:9], v[12:13] :: v_dual_lshlrev_b32 v13, 2, v10
	ds_bpermute_b32 v10, v13, v0
	ds_bpermute_b32 v11, v13, v1
	s_wait_dscnt 0x0
	v_add_f64_e32 v[0:1], v[0:1], v[10:11]
	v_xor_b32_e32 v10, 8, v14
	s_delay_alu instid0(VALU_DEP_1)
	v_cmp_gt_i32_e32 vcc_lo, 32, v10
	v_cndmask_b32_e32 v10, v14, v10, vcc_lo
	ds_bpermute_b32 v12, v13, v8
	ds_bpermute_b32 v13, v13, v9
	s_wait_dscnt 0x0
	v_dual_add_f64 v[8:9], v[8:9], v[12:13] :: v_dual_lshlrev_b32 v13, 2, v10
	;; [unrolled: 12-line block ×4, first 2 shown]
	ds_bpermute_b32 v10, v13, v0
	ds_bpermute_b32 v11, v13, v1
	s_wait_dscnt 0x0
	v_add_f64_e32 v[0:1], v[0:1], v[10:11]
	ds_bpermute_b32 v12, v13, v8
	ds_bpermute_b32 v13, v13, v9
	s_wait_dscnt 0x0
	v_dual_add_f64 v[10:11], v[8:9], v[12:13] :: v_dual_bitop2_b32 v8, 1, v14 bitop3:0x14
	s_delay_alu instid0(VALU_DEP_1) | instskip(SKIP_2) | instid1(VALU_DEP_2)
	v_cmp_gt_i32_e32 vcc_lo, 32, v8
	v_cndmask_b32_e32 v8, v14, v8, vcc_lo
	v_cmp_eq_u32_e32 vcc_lo, 63, v7
	v_lshlrev_b32_e32 v13, 2, v8
	ds_bpermute_b32 v8, v13, v0
	ds_bpermute_b32 v9, v13, v1
	;; [unrolled: 1-line block ×4, first 2 shown]
	s_and_b32 exec_lo, exec_lo, vcc_lo
	s_cbranch_execz .LBB105_23
; %bb.19:
	s_wait_dscnt 0x2
	v_add_f64_e32 v[8:9], v[0:1], v[8:9]
	s_wait_dscnt 0x0
	v_add_f64_e32 v[0:1], v[10:11], v[12:13]
	s_load_b64 s[0:1], s[0:1], 0x38
	s_mov_b32 s2, exec_lo
	v_cmpx_eq_f64_e32 0, v[4:5]
	s_xor_b32 s2, exec_lo, s2
	s_cbranch_execz .LBB105_21
; %bb.20:
	s_delay_alu instid0(VALU_DEP_3) | instskip(NEXT) | instid1(VALU_DEP_3)
	v_mul_f64_e32 v[8:9], v[2:3], v[8:9]
	v_dual_mul_f64 v[10:11], v[2:3], v[0:1] :: v_dual_lshlrev_b32 v0, 1, v6
                                        ; implicit-def: $vgpr6
                                        ; implicit-def: $vgpr2_vgpr3
                                        ; implicit-def: $vgpr4_vgpr5
	s_delay_alu instid0(VALU_DEP_1) | instskip(SKIP_1) | instid1(VALU_DEP_1)
	v_ashrrev_i32_e32 v1, 31, v0
	s_wait_kmcnt 0x0
	v_lshl_add_u64 v[0:1], v[0:1], 3, s[0:1]
	global_store_b128 v[0:1], v[8:11], off
                                        ; implicit-def: $vgpr8_vgpr9
                                        ; implicit-def: $vgpr0_vgpr1
.LBB105_21:
	s_wait_xcnt 0x0
	s_and_not1_saveexec_b32 s2, s2
	s_cbranch_execz .LBB105_23
; %bb.22:
	v_lshlrev_b32_e32 v6, 1, v6
	s_delay_alu instid0(VALU_DEP_1) | instskip(SKIP_1) | instid1(VALU_DEP_1)
	v_ashrrev_i32_e32 v7, 31, v6
	s_wait_kmcnt 0x0
	v_lshl_add_u64 v[14:15], v[6:7], 3, s[0:1]
	v_mul_f64_e32 v[6:7], v[2:3], v[8:9]
	v_mul_f64_e32 v[8:9], v[2:3], v[0:1]
	global_load_b128 v[10:13], v[14:15], off
	s_wait_loadcnt 0x0
	v_fmac_f64_e32 v[6:7], v[4:5], v[10:11]
	v_fmac_f64_e32 v[8:9], v[4:5], v[12:13]
	global_store_b128 v[14:15], v[6:9], off
.LBB105_23:
	s_endpgm
	.section	.rodata,"a",@progbits
	.p2align	6, 0x0
	.amdhsa_kernel _ZN9rocsparseL19gebsrmvn_2xn_kernelILj128ELj7ELj64EdEEvi20rocsparse_direction_NS_24const_host_device_scalarIT2_EEPKiS6_PKS3_S8_S4_PS3_21rocsparse_index_base_b
		.amdhsa_group_segment_fixed_size 0
		.amdhsa_private_segment_fixed_size 0
		.amdhsa_kernarg_size 72
		.amdhsa_user_sgpr_count 2
		.amdhsa_user_sgpr_dispatch_ptr 0
		.amdhsa_user_sgpr_queue_ptr 0
		.amdhsa_user_sgpr_kernarg_segment_ptr 1
		.amdhsa_user_sgpr_dispatch_id 0
		.amdhsa_user_sgpr_kernarg_preload_length 0
		.amdhsa_user_sgpr_kernarg_preload_offset 0
		.amdhsa_user_sgpr_private_segment_size 0
		.amdhsa_wavefront_size32 1
		.amdhsa_uses_dynamic_stack 0
		.amdhsa_enable_private_segment 0
		.amdhsa_system_sgpr_workgroup_id_x 1
		.amdhsa_system_sgpr_workgroup_id_y 0
		.amdhsa_system_sgpr_workgroup_id_z 0
		.amdhsa_system_sgpr_workgroup_info 0
		.amdhsa_system_vgpr_workitem_id 0
		.amdhsa_next_free_vgpr 62
		.amdhsa_next_free_sgpr 14
		.amdhsa_named_barrier_count 0
		.amdhsa_reserve_vcc 1
		.amdhsa_float_round_mode_32 0
		.amdhsa_float_round_mode_16_64 0
		.amdhsa_float_denorm_mode_32 3
		.amdhsa_float_denorm_mode_16_64 3
		.amdhsa_fp16_overflow 0
		.amdhsa_memory_ordered 1
		.amdhsa_forward_progress 1
		.amdhsa_inst_pref_size 17
		.amdhsa_round_robin_scheduling 0
		.amdhsa_exception_fp_ieee_invalid_op 0
		.amdhsa_exception_fp_denorm_src 0
		.amdhsa_exception_fp_ieee_div_zero 0
		.amdhsa_exception_fp_ieee_overflow 0
		.amdhsa_exception_fp_ieee_underflow 0
		.amdhsa_exception_fp_ieee_inexact 0
		.amdhsa_exception_int_div_zero 0
	.end_amdhsa_kernel
	.section	.text._ZN9rocsparseL19gebsrmvn_2xn_kernelILj128ELj7ELj64EdEEvi20rocsparse_direction_NS_24const_host_device_scalarIT2_EEPKiS6_PKS3_S8_S4_PS3_21rocsparse_index_base_b,"axG",@progbits,_ZN9rocsparseL19gebsrmvn_2xn_kernelILj128ELj7ELj64EdEEvi20rocsparse_direction_NS_24const_host_device_scalarIT2_EEPKiS6_PKS3_S8_S4_PS3_21rocsparse_index_base_b,comdat
.Lfunc_end105:
	.size	_ZN9rocsparseL19gebsrmvn_2xn_kernelILj128ELj7ELj64EdEEvi20rocsparse_direction_NS_24const_host_device_scalarIT2_EEPKiS6_PKS3_S8_S4_PS3_21rocsparse_index_base_b, .Lfunc_end105-_ZN9rocsparseL19gebsrmvn_2xn_kernelILj128ELj7ELj64EdEEvi20rocsparse_direction_NS_24const_host_device_scalarIT2_EEPKiS6_PKS3_S8_S4_PS3_21rocsparse_index_base_b
                                        ; -- End function
	.set _ZN9rocsparseL19gebsrmvn_2xn_kernelILj128ELj7ELj64EdEEvi20rocsparse_direction_NS_24const_host_device_scalarIT2_EEPKiS6_PKS3_S8_S4_PS3_21rocsparse_index_base_b.num_vgpr, 62
	.set _ZN9rocsparseL19gebsrmvn_2xn_kernelILj128ELj7ELj64EdEEvi20rocsparse_direction_NS_24const_host_device_scalarIT2_EEPKiS6_PKS3_S8_S4_PS3_21rocsparse_index_base_b.num_agpr, 0
	.set _ZN9rocsparseL19gebsrmvn_2xn_kernelILj128ELj7ELj64EdEEvi20rocsparse_direction_NS_24const_host_device_scalarIT2_EEPKiS6_PKS3_S8_S4_PS3_21rocsparse_index_base_b.numbered_sgpr, 14
	.set _ZN9rocsparseL19gebsrmvn_2xn_kernelILj128ELj7ELj64EdEEvi20rocsparse_direction_NS_24const_host_device_scalarIT2_EEPKiS6_PKS3_S8_S4_PS3_21rocsparse_index_base_b.num_named_barrier, 0
	.set _ZN9rocsparseL19gebsrmvn_2xn_kernelILj128ELj7ELj64EdEEvi20rocsparse_direction_NS_24const_host_device_scalarIT2_EEPKiS6_PKS3_S8_S4_PS3_21rocsparse_index_base_b.private_seg_size, 0
	.set _ZN9rocsparseL19gebsrmvn_2xn_kernelILj128ELj7ELj64EdEEvi20rocsparse_direction_NS_24const_host_device_scalarIT2_EEPKiS6_PKS3_S8_S4_PS3_21rocsparse_index_base_b.uses_vcc, 1
	.set _ZN9rocsparseL19gebsrmvn_2xn_kernelILj128ELj7ELj64EdEEvi20rocsparse_direction_NS_24const_host_device_scalarIT2_EEPKiS6_PKS3_S8_S4_PS3_21rocsparse_index_base_b.uses_flat_scratch, 0
	.set _ZN9rocsparseL19gebsrmvn_2xn_kernelILj128ELj7ELj64EdEEvi20rocsparse_direction_NS_24const_host_device_scalarIT2_EEPKiS6_PKS3_S8_S4_PS3_21rocsparse_index_base_b.has_dyn_sized_stack, 0
	.set _ZN9rocsparseL19gebsrmvn_2xn_kernelILj128ELj7ELj64EdEEvi20rocsparse_direction_NS_24const_host_device_scalarIT2_EEPKiS6_PKS3_S8_S4_PS3_21rocsparse_index_base_b.has_recursion, 0
	.set _ZN9rocsparseL19gebsrmvn_2xn_kernelILj128ELj7ELj64EdEEvi20rocsparse_direction_NS_24const_host_device_scalarIT2_EEPKiS6_PKS3_S8_S4_PS3_21rocsparse_index_base_b.has_indirect_call, 0
	.section	.AMDGPU.csdata,"",@progbits
; Kernel info:
; codeLenInByte = 2112
; TotalNumSgprs: 16
; NumVgprs: 62
; ScratchSize: 0
; MemoryBound: 0
; FloatMode: 240
; IeeeMode: 1
; LDSByteSize: 0 bytes/workgroup (compile time only)
; SGPRBlocks: 0
; VGPRBlocks: 3
; NumSGPRsForWavesPerEU: 16
; NumVGPRsForWavesPerEU: 62
; NamedBarCnt: 0
; Occupancy: 16
; WaveLimiterHint : 1
; COMPUTE_PGM_RSRC2:SCRATCH_EN: 0
; COMPUTE_PGM_RSRC2:USER_SGPR: 2
; COMPUTE_PGM_RSRC2:TRAP_HANDLER: 0
; COMPUTE_PGM_RSRC2:TGID_X_EN: 1
; COMPUTE_PGM_RSRC2:TGID_Y_EN: 0
; COMPUTE_PGM_RSRC2:TGID_Z_EN: 0
; COMPUTE_PGM_RSRC2:TIDIG_COMP_CNT: 0
	.section	.text._ZN9rocsparseL19gebsrmvn_2xn_kernelILj128ELj8ELj4EdEEvi20rocsparse_direction_NS_24const_host_device_scalarIT2_EEPKiS6_PKS3_S8_S4_PS3_21rocsparse_index_base_b,"axG",@progbits,_ZN9rocsparseL19gebsrmvn_2xn_kernelILj128ELj8ELj4EdEEvi20rocsparse_direction_NS_24const_host_device_scalarIT2_EEPKiS6_PKS3_S8_S4_PS3_21rocsparse_index_base_b,comdat
	.globl	_ZN9rocsparseL19gebsrmvn_2xn_kernelILj128ELj8ELj4EdEEvi20rocsparse_direction_NS_24const_host_device_scalarIT2_EEPKiS6_PKS3_S8_S4_PS3_21rocsparse_index_base_b ; -- Begin function _ZN9rocsparseL19gebsrmvn_2xn_kernelILj128ELj8ELj4EdEEvi20rocsparse_direction_NS_24const_host_device_scalarIT2_EEPKiS6_PKS3_S8_S4_PS3_21rocsparse_index_base_b
	.p2align	8
	.type	_ZN9rocsparseL19gebsrmvn_2xn_kernelILj128ELj8ELj4EdEEvi20rocsparse_direction_NS_24const_host_device_scalarIT2_EEPKiS6_PKS3_S8_S4_PS3_21rocsparse_index_base_b,@function
_ZN9rocsparseL19gebsrmvn_2xn_kernelILj128ELj8ELj4EdEEvi20rocsparse_direction_NS_24const_host_device_scalarIT2_EEPKiS6_PKS3_S8_S4_PS3_21rocsparse_index_base_b: ; @_ZN9rocsparseL19gebsrmvn_2xn_kernelILj128ELj8ELj4EdEEvi20rocsparse_direction_NS_24const_host_device_scalarIT2_EEPKiS6_PKS3_S8_S4_PS3_21rocsparse_index_base_b
; %bb.0:
	s_clause 0x2
	s_load_b64 s[12:13], s[0:1], 0x40
	s_load_b64 s[4:5], s[0:1], 0x8
	;; [unrolled: 1-line block ×3, first 2 shown]
	s_wait_kmcnt 0x0
	s_bitcmp1_b32 s13, 0
	v_mov_b64_e32 v[2:3], s[4:5]
	s_cselect_b32 s6, -1, 0
	s_delay_alu instid0(SALU_CYCLE_1)
	s_and_b32 vcc_lo, exec_lo, s6
	s_xor_b32 s6, s6, -1
	s_cbranch_vccnz .LBB106_2
; %bb.1:
	v_mov_b32_e32 v1, 0
	flat_load_b64 v[2:3], v1, s[4:5]
.LBB106_2:
	v_mov_b64_e32 v[4:5], s[2:3]
	s_and_not1_b32 vcc_lo, exec_lo, s6
	s_cbranch_vccnz .LBB106_4
; %bb.3:
	s_wait_xcnt 0x0
	v_mov_b32_e32 v1, 0
	flat_load_b64 v[4:5], v1, s[2:3]
.LBB106_4:
	s_wait_loadcnt_dscnt 0x0
	v_cmp_neq_f64_e32 vcc_lo, 0, v[2:3]
	s_delay_alu instid0(VALU_DEP_2) | instskip(SKIP_1) | instid1(SALU_CYCLE_1)
	v_cmp_neq_f64_e64 s2, 1.0, v[4:5]
	s_or_b32 s2, vcc_lo, s2
	s_and_saveexec_b32 s3, s2
	s_cbranch_execz .LBB106_23
; %bb.5:
	s_load_b64 s[2:3], s[0:1], 0x0
	s_bfe_u32 s4, ttmp6, 0x4000c
	s_and_b32 s5, ttmp6, 15
	s_add_co_i32 s4, s4, 1
	s_getreg_b32 s6, hwreg(HW_REG_IB_STS2, 6, 4)
	s_mul_i32 s4, ttmp9, s4
	v_lshrrev_b32_e32 v1, 2, v0
	s_add_co_i32 s5, s5, s4
	s_cmp_eq_u32 s6, 0
	s_cselect_b32 s4, ttmp9, s5
	s_delay_alu instid0(VALU_DEP_1) | instid1(SALU_CYCLE_1)
	v_lshl_or_b32 v6, s4, 5, v1
	s_wait_kmcnt 0x0
	s_delay_alu instid0(VALU_DEP_1)
	v_cmp_gt_i32_e32 vcc_lo, s2, v6
	s_and_b32 exec_lo, exec_lo, vcc_lo
	s_cbranch_execz .LBB106_23
; %bb.6:
	s_load_b256 s[4:11], s[0:1], 0x10
	v_ashrrev_i32_e32 v7, 31, v6
	s_cmp_lg_u32 s3, 0
	s_wait_kmcnt 0x0
	s_delay_alu instid0(VALU_DEP_1)
	v_lshl_add_u64 v[8:9], v[6:7], 2, s[4:5]
	v_and_b32_e32 v7, 3, v0
	global_load_b64 v[8:9], v[8:9], off
	s_wait_loadcnt 0x0
	v_subrev_nc_u32_e32 v0, s12, v8
	v_subrev_nc_u32_e32 v12, s12, v9
	s_delay_alu instid0(VALU_DEP_2) | instskip(NEXT) | instid1(VALU_DEP_1)
	v_add_nc_u32_e32 v13, v0, v7
	v_cmp_lt_i32_e64 s2, v13, v12
	s_cbranch_scc0 .LBB106_12
; %bb.7:
	v_mov_b64_e32 v[0:1], 0
	v_mov_b64_e32 v[8:9], 0
	s_and_saveexec_b32 s3, s2
	s_cbranch_execz .LBB106_11
; %bb.8:
	v_mov_b64_e32 v[0:1], 0
	v_mov_b64_e32 v[8:9], 0
	v_dual_mov_b32 v11, 0 :: v_dual_lshlrev_b32 v10, 4, v13
	v_mov_b32_e32 v14, v13
	s_mov_b32 s4, 0
.LBB106_9:                              ; =>This Inner Loop Header: Depth=1
	global_load_b32 v15, v14, s[6:7] scale_offset
	v_lshl_add_u64 v[64:65], v[10:11], 3, s[8:9]
	s_wait_xcnt 0x0
	v_add_nc_u32_e32 v14, 4, v14
	v_add_nc_u32_e32 v10, 64, v10
	s_delay_alu instid0(VALU_DEP_2) | instskip(SKIP_3) | instid1(VALU_DEP_1)
	v_cmp_ge_i32_e32 vcc_lo, v14, v12
	s_or_b32 s4, vcc_lo, s4
	s_wait_loadcnt 0x0
	v_subrev_nc_u32_e32 v15, s12, v15
	v_dual_mov_b32 v17, v11 :: v_dual_lshlrev_b32 v16, 3, v15
	s_delay_alu instid0(VALU_DEP_1)
	v_lshl_add_u64 v[66:67], v[16:17], 3, s[10:11]
	s_clause 0x1
	global_load_b128 v[16:19], v[64:65], off offset:16
	global_load_b128 v[20:23], v[64:65], off
	s_clause 0x1
	global_load_b128 v[24:27], v[66:67], off
	global_load_b128 v[28:31], v[66:67], off offset:16
	s_clause 0x3
	global_load_b128 v[32:35], v[64:65], off offset:32
	global_load_b128 v[36:39], v[64:65], off offset:48
	;; [unrolled: 1-line block ×4, first 2 shown]
	s_clause 0x1
	global_load_b128 v[48:51], v[66:67], off offset:32
	global_load_b128 v[52:55], v[66:67], off offset:48
	s_clause 0x1
	global_load_b128 v[56:59], v[64:65], off offset:96
	global_load_b128 v[60:63], v[64:65], off offset:112
	s_wait_loadcnt 0x9
	v_fmac_f64_e32 v[0:1], v[20:21], v[24:25]
	v_fmac_f64_e32 v[8:9], v[22:23], v[24:25]
	s_delay_alu instid0(VALU_DEP_2) | instskip(NEXT) | instid1(VALU_DEP_2)
	v_fmac_f64_e32 v[0:1], v[16:17], v[26:27]
	v_fmac_f64_e32 v[8:9], v[18:19], v[26:27]
	s_wait_loadcnt 0x7
	s_delay_alu instid0(VALU_DEP_2) | instskip(NEXT) | instid1(VALU_DEP_2)
	v_fmac_f64_e32 v[0:1], v[32:33], v[28:29]
	v_fmac_f64_e32 v[8:9], v[34:35], v[28:29]
	s_wait_loadcnt 0x6
	;; [unrolled: 4-line block ×3, first 2 shown]
	s_delay_alu instid0(VALU_DEP_2) | instskip(NEXT) | instid1(VALU_DEP_2)
	v_fmac_f64_e32 v[0:1], v[44:45], v[48:49]
	v_fmac_f64_e32 v[8:9], v[46:47], v[48:49]
	s_delay_alu instid0(VALU_DEP_2) | instskip(NEXT) | instid1(VALU_DEP_2)
	v_fmac_f64_e32 v[0:1], v[40:41], v[50:51]
	v_fmac_f64_e32 v[8:9], v[42:43], v[50:51]
	s_wait_loadcnt 0x1
	s_delay_alu instid0(VALU_DEP_2) | instskip(NEXT) | instid1(VALU_DEP_2)
	v_fmac_f64_e32 v[0:1], v[56:57], v[52:53]
	v_fmac_f64_e32 v[8:9], v[58:59], v[52:53]
	s_wait_loadcnt 0x0
	s_delay_alu instid0(VALU_DEP_2) | instskip(NEXT) | instid1(VALU_DEP_2)
	v_fmac_f64_e32 v[0:1], v[60:61], v[54:55]
	v_fmac_f64_e32 v[8:9], v[62:63], v[54:55]
	s_and_not1_b32 exec_lo, exec_lo, s4
	s_cbranch_execnz .LBB106_9
; %bb.10:
	s_or_b32 exec_lo, exec_lo, s4
.LBB106_11:
	s_delay_alu instid0(SALU_CYCLE_1)
	s_or_b32 exec_lo, exec_lo, s3
	s_cbranch_execz .LBB106_13
	s_branch .LBB106_18
.LBB106_12:
                                        ; implicit-def: $vgpr0_vgpr1
                                        ; implicit-def: $vgpr8_vgpr9
.LBB106_13:
	v_mov_b64_e32 v[0:1], 0
	v_mov_b64_e32 v[8:9], 0
	s_and_saveexec_b32 s3, s2
	s_cbranch_execz .LBB106_17
; %bb.14:
	v_mov_b64_e32 v[0:1], 0
	v_mov_b64_e32 v[8:9], 0
	v_dual_mov_b32 v11, 0 :: v_dual_lshlrev_b32 v10, 4, v13
	s_mov_b32 s2, 0
.LBB106_15:                             ; =>This Inner Loop Header: Depth=1
	global_load_b32 v14, v13, s[6:7] scale_offset
	v_lshl_add_u64 v[62:63], v[10:11], 3, s[8:9]
	s_wait_xcnt 0x0
	v_dual_add_nc_u32 v13, 4, v13 :: v_dual_add_nc_u32 v10, 64, v10
	s_delay_alu instid0(VALU_DEP_1) | instskip(SKIP_3) | instid1(VALU_DEP_1)
	v_cmp_ge_i32_e32 vcc_lo, v13, v12
	s_or_b32 s2, vcc_lo, s2
	s_wait_loadcnt 0x0
	v_subrev_nc_u32_e32 v14, s12, v14
	v_dual_mov_b32 v19, v11 :: v_dual_lshlrev_b32 v18, 3, v14
	global_load_b128 v[14:17], v[62:63], off offset:16
	v_lshl_add_u64 v[64:65], v[18:19], 3, s[10:11]
	s_clause 0x2
	global_load_b128 v[18:21], v[62:63], off
	global_load_b128 v[22:25], v[62:63], off offset:80
	global_load_b128 v[26:29], v[62:63], off offset:64
	s_clause 0x1
	global_load_b128 v[30:33], v[64:65], off
	global_load_b128 v[34:37], v[64:65], off offset:16
	s_clause 0x3
	global_load_b128 v[38:41], v[62:63], off offset:48
	global_load_b128 v[42:45], v[62:63], off offset:32
	global_load_b128 v[46:49], v[62:63], off offset:112
	global_load_b128 v[50:53], v[62:63], off offset:96
	s_clause 0x1
	global_load_b128 v[54:57], v[64:65], off offset:32
	global_load_b128 v[58:61], v[64:65], off offset:48
	s_wait_loadcnt 0x7
	v_fmac_f64_e32 v[0:1], v[18:19], v[30:31]
	v_fmac_f64_e32 v[8:9], v[26:27], v[30:31]
	s_delay_alu instid0(VALU_DEP_2) | instskip(NEXT) | instid1(VALU_DEP_2)
	v_fmac_f64_e32 v[0:1], v[20:21], v[32:33]
	v_fmac_f64_e32 v[8:9], v[28:29], v[32:33]
	s_wait_loadcnt 0x6
	s_delay_alu instid0(VALU_DEP_2) | instskip(NEXT) | instid1(VALU_DEP_2)
	v_fmac_f64_e32 v[0:1], v[14:15], v[34:35]
	v_fmac_f64_e32 v[8:9], v[22:23], v[34:35]
	s_delay_alu instid0(VALU_DEP_2) | instskip(NEXT) | instid1(VALU_DEP_2)
	v_fmac_f64_e32 v[0:1], v[16:17], v[36:37]
	v_fmac_f64_e32 v[8:9], v[24:25], v[36:37]
	s_wait_loadcnt 0x1
	s_delay_alu instid0(VALU_DEP_2) | instskip(NEXT) | instid1(VALU_DEP_2)
	;; [unrolled: 7-line block ×3, first 2 shown]
	v_fmac_f64_e32 v[0:1], v[38:39], v[58:59]
	v_fmac_f64_e32 v[8:9], v[46:47], v[58:59]
	s_delay_alu instid0(VALU_DEP_2) | instskip(NEXT) | instid1(VALU_DEP_2)
	v_fmac_f64_e32 v[0:1], v[40:41], v[60:61]
	v_fmac_f64_e32 v[8:9], v[48:49], v[60:61]
	s_and_not1_b32 exec_lo, exec_lo, s2
	s_cbranch_execnz .LBB106_15
; %bb.16:
	s_or_b32 exec_lo, exec_lo, s2
.LBB106_17:
	s_delay_alu instid0(SALU_CYCLE_1)
	s_or_b32 exec_lo, exec_lo, s3
.LBB106_18:
	v_mbcnt_lo_u32_b32 v14, -1, 0
	s_delay_alu instid0(VALU_DEP_1) | instskip(NEXT) | instid1(VALU_DEP_1)
	v_xor_b32_e32 v10, 2, v14
	v_cmp_gt_i32_e32 vcc_lo, 32, v10
	v_cndmask_b32_e32 v10, v14, v10, vcc_lo
	s_delay_alu instid0(VALU_DEP_1)
	v_lshlrev_b32_e32 v13, 2, v10
	ds_bpermute_b32 v10, v13, v0
	ds_bpermute_b32 v11, v13, v1
	;; [unrolled: 1-line block ×4, first 2 shown]
	s_wait_dscnt 0x2
	v_add_f64_e32 v[0:1], v[0:1], v[10:11]
	s_wait_dscnt 0x0
	v_dual_add_f64 v[10:11], v[8:9], v[12:13] :: v_dual_bitop2_b32 v8, 1, v14 bitop3:0x14
	s_delay_alu instid0(VALU_DEP_1) | instskip(SKIP_2) | instid1(VALU_DEP_2)
	v_cmp_gt_i32_e32 vcc_lo, 32, v8
	v_cndmask_b32_e32 v8, v14, v8, vcc_lo
	v_cmp_eq_u32_e32 vcc_lo, 3, v7
	v_lshlrev_b32_e32 v13, 2, v8
	ds_bpermute_b32 v8, v13, v0
	ds_bpermute_b32 v9, v13, v1
	;; [unrolled: 1-line block ×4, first 2 shown]
	s_and_b32 exec_lo, exec_lo, vcc_lo
	s_cbranch_execz .LBB106_23
; %bb.19:
	s_wait_dscnt 0x2
	v_add_f64_e32 v[8:9], v[0:1], v[8:9]
	s_wait_dscnt 0x0
	v_add_f64_e32 v[0:1], v[10:11], v[12:13]
	s_load_b64 s[0:1], s[0:1], 0x38
	s_mov_b32 s2, exec_lo
	v_cmpx_eq_f64_e32 0, v[4:5]
	s_xor_b32 s2, exec_lo, s2
	s_cbranch_execz .LBB106_21
; %bb.20:
	s_delay_alu instid0(VALU_DEP_3) | instskip(NEXT) | instid1(VALU_DEP_3)
	v_mul_f64_e32 v[8:9], v[2:3], v[8:9]
	v_dual_mul_f64 v[10:11], v[2:3], v[0:1] :: v_dual_lshlrev_b32 v0, 1, v6
                                        ; implicit-def: $vgpr6
                                        ; implicit-def: $vgpr2_vgpr3
                                        ; implicit-def: $vgpr4_vgpr5
	s_delay_alu instid0(VALU_DEP_1) | instskip(SKIP_1) | instid1(VALU_DEP_1)
	v_ashrrev_i32_e32 v1, 31, v0
	s_wait_kmcnt 0x0
	v_lshl_add_u64 v[0:1], v[0:1], 3, s[0:1]
	global_store_b128 v[0:1], v[8:11], off
                                        ; implicit-def: $vgpr8_vgpr9
                                        ; implicit-def: $vgpr0_vgpr1
.LBB106_21:
	s_wait_xcnt 0x0
	s_and_not1_saveexec_b32 s2, s2
	s_cbranch_execz .LBB106_23
; %bb.22:
	v_lshlrev_b32_e32 v6, 1, v6
	s_delay_alu instid0(VALU_DEP_1) | instskip(SKIP_1) | instid1(VALU_DEP_1)
	v_ashrrev_i32_e32 v7, 31, v6
	s_wait_kmcnt 0x0
	v_lshl_add_u64 v[14:15], v[6:7], 3, s[0:1]
	v_mul_f64_e32 v[6:7], v[2:3], v[8:9]
	v_mul_f64_e32 v[8:9], v[2:3], v[0:1]
	global_load_b128 v[10:13], v[14:15], off
	s_wait_loadcnt 0x0
	v_fmac_f64_e32 v[6:7], v[4:5], v[10:11]
	v_fmac_f64_e32 v[8:9], v[4:5], v[12:13]
	global_store_b128 v[14:15], v[6:9], off
.LBB106_23:
	s_sendmsg sendmsg(MSG_DEALLOC_VGPRS)
	s_endpgm
	.section	.rodata,"a",@progbits
	.p2align	6, 0x0
	.amdhsa_kernel _ZN9rocsparseL19gebsrmvn_2xn_kernelILj128ELj8ELj4EdEEvi20rocsparse_direction_NS_24const_host_device_scalarIT2_EEPKiS6_PKS3_S8_S4_PS3_21rocsparse_index_base_b
		.amdhsa_group_segment_fixed_size 0
		.amdhsa_private_segment_fixed_size 0
		.amdhsa_kernarg_size 72
		.amdhsa_user_sgpr_count 2
		.amdhsa_user_sgpr_dispatch_ptr 0
		.amdhsa_user_sgpr_queue_ptr 0
		.amdhsa_user_sgpr_kernarg_segment_ptr 1
		.amdhsa_user_sgpr_dispatch_id 0
		.amdhsa_user_sgpr_kernarg_preload_length 0
		.amdhsa_user_sgpr_kernarg_preload_offset 0
		.amdhsa_user_sgpr_private_segment_size 0
		.amdhsa_wavefront_size32 1
		.amdhsa_uses_dynamic_stack 0
		.amdhsa_enable_private_segment 0
		.amdhsa_system_sgpr_workgroup_id_x 1
		.amdhsa_system_sgpr_workgroup_id_y 0
		.amdhsa_system_sgpr_workgroup_id_z 0
		.amdhsa_system_sgpr_workgroup_info 0
		.amdhsa_system_vgpr_workitem_id 0
		.amdhsa_next_free_vgpr 68
		.amdhsa_next_free_sgpr 14
		.amdhsa_named_barrier_count 0
		.amdhsa_reserve_vcc 1
		.amdhsa_float_round_mode_32 0
		.amdhsa_float_round_mode_16_64 0
		.amdhsa_float_denorm_mode_32 3
		.amdhsa_float_denorm_mode_16_64 3
		.amdhsa_fp16_overflow 0
		.amdhsa_memory_ordered 1
		.amdhsa_forward_progress 1
		.amdhsa_inst_pref_size 12
		.amdhsa_round_robin_scheduling 0
		.amdhsa_exception_fp_ieee_invalid_op 0
		.amdhsa_exception_fp_denorm_src 0
		.amdhsa_exception_fp_ieee_div_zero 0
		.amdhsa_exception_fp_ieee_overflow 0
		.amdhsa_exception_fp_ieee_underflow 0
		.amdhsa_exception_fp_ieee_inexact 0
		.amdhsa_exception_int_div_zero 0
	.end_amdhsa_kernel
	.section	.text._ZN9rocsparseL19gebsrmvn_2xn_kernelILj128ELj8ELj4EdEEvi20rocsparse_direction_NS_24const_host_device_scalarIT2_EEPKiS6_PKS3_S8_S4_PS3_21rocsparse_index_base_b,"axG",@progbits,_ZN9rocsparseL19gebsrmvn_2xn_kernelILj128ELj8ELj4EdEEvi20rocsparse_direction_NS_24const_host_device_scalarIT2_EEPKiS6_PKS3_S8_S4_PS3_21rocsparse_index_base_b,comdat
.Lfunc_end106:
	.size	_ZN9rocsparseL19gebsrmvn_2xn_kernelILj128ELj8ELj4EdEEvi20rocsparse_direction_NS_24const_host_device_scalarIT2_EEPKiS6_PKS3_S8_S4_PS3_21rocsparse_index_base_b, .Lfunc_end106-_ZN9rocsparseL19gebsrmvn_2xn_kernelILj128ELj8ELj4EdEEvi20rocsparse_direction_NS_24const_host_device_scalarIT2_EEPKiS6_PKS3_S8_S4_PS3_21rocsparse_index_base_b
                                        ; -- End function
	.set _ZN9rocsparseL19gebsrmvn_2xn_kernelILj128ELj8ELj4EdEEvi20rocsparse_direction_NS_24const_host_device_scalarIT2_EEPKiS6_PKS3_S8_S4_PS3_21rocsparse_index_base_b.num_vgpr, 68
	.set _ZN9rocsparseL19gebsrmvn_2xn_kernelILj128ELj8ELj4EdEEvi20rocsparse_direction_NS_24const_host_device_scalarIT2_EEPKiS6_PKS3_S8_S4_PS3_21rocsparse_index_base_b.num_agpr, 0
	.set _ZN9rocsparseL19gebsrmvn_2xn_kernelILj128ELj8ELj4EdEEvi20rocsparse_direction_NS_24const_host_device_scalarIT2_EEPKiS6_PKS3_S8_S4_PS3_21rocsparse_index_base_b.numbered_sgpr, 14
	.set _ZN9rocsparseL19gebsrmvn_2xn_kernelILj128ELj8ELj4EdEEvi20rocsparse_direction_NS_24const_host_device_scalarIT2_EEPKiS6_PKS3_S8_S4_PS3_21rocsparse_index_base_b.num_named_barrier, 0
	.set _ZN9rocsparseL19gebsrmvn_2xn_kernelILj128ELj8ELj4EdEEvi20rocsparse_direction_NS_24const_host_device_scalarIT2_EEPKiS6_PKS3_S8_S4_PS3_21rocsparse_index_base_b.private_seg_size, 0
	.set _ZN9rocsparseL19gebsrmvn_2xn_kernelILj128ELj8ELj4EdEEvi20rocsparse_direction_NS_24const_host_device_scalarIT2_EEPKiS6_PKS3_S8_S4_PS3_21rocsparse_index_base_b.uses_vcc, 1
	.set _ZN9rocsparseL19gebsrmvn_2xn_kernelILj128ELj8ELj4EdEEvi20rocsparse_direction_NS_24const_host_device_scalarIT2_EEPKiS6_PKS3_S8_S4_PS3_21rocsparse_index_base_b.uses_flat_scratch, 0
	.set _ZN9rocsparseL19gebsrmvn_2xn_kernelILj128ELj8ELj4EdEEvi20rocsparse_direction_NS_24const_host_device_scalarIT2_EEPKiS6_PKS3_S8_S4_PS3_21rocsparse_index_base_b.has_dyn_sized_stack, 0
	.set _ZN9rocsparseL19gebsrmvn_2xn_kernelILj128ELj8ELj4EdEEvi20rocsparse_direction_NS_24const_host_device_scalarIT2_EEPKiS6_PKS3_S8_S4_PS3_21rocsparse_index_base_b.has_recursion, 0
	.set _ZN9rocsparseL19gebsrmvn_2xn_kernelILj128ELj8ELj4EdEEvi20rocsparse_direction_NS_24const_host_device_scalarIT2_EEPKiS6_PKS3_S8_S4_PS3_21rocsparse_index_base_b.has_indirect_call, 0
	.section	.AMDGPU.csdata,"",@progbits
; Kernel info:
; codeLenInByte = 1444
; TotalNumSgprs: 16
; NumVgprs: 68
; ScratchSize: 0
; MemoryBound: 1
; FloatMode: 240
; IeeeMode: 1
; LDSByteSize: 0 bytes/workgroup (compile time only)
; SGPRBlocks: 0
; VGPRBlocks: 4
; NumSGPRsForWavesPerEU: 16
; NumVGPRsForWavesPerEU: 68
; NamedBarCnt: 0
; Occupancy: 12
; WaveLimiterHint : 1
; COMPUTE_PGM_RSRC2:SCRATCH_EN: 0
; COMPUTE_PGM_RSRC2:USER_SGPR: 2
; COMPUTE_PGM_RSRC2:TRAP_HANDLER: 0
; COMPUTE_PGM_RSRC2:TGID_X_EN: 1
; COMPUTE_PGM_RSRC2:TGID_Y_EN: 0
; COMPUTE_PGM_RSRC2:TGID_Z_EN: 0
; COMPUTE_PGM_RSRC2:TIDIG_COMP_CNT: 0
	.section	.text._ZN9rocsparseL19gebsrmvn_2xn_kernelILj128ELj8ELj8EdEEvi20rocsparse_direction_NS_24const_host_device_scalarIT2_EEPKiS6_PKS3_S8_S4_PS3_21rocsparse_index_base_b,"axG",@progbits,_ZN9rocsparseL19gebsrmvn_2xn_kernelILj128ELj8ELj8EdEEvi20rocsparse_direction_NS_24const_host_device_scalarIT2_EEPKiS6_PKS3_S8_S4_PS3_21rocsparse_index_base_b,comdat
	.globl	_ZN9rocsparseL19gebsrmvn_2xn_kernelILj128ELj8ELj8EdEEvi20rocsparse_direction_NS_24const_host_device_scalarIT2_EEPKiS6_PKS3_S8_S4_PS3_21rocsparse_index_base_b ; -- Begin function _ZN9rocsparseL19gebsrmvn_2xn_kernelILj128ELj8ELj8EdEEvi20rocsparse_direction_NS_24const_host_device_scalarIT2_EEPKiS6_PKS3_S8_S4_PS3_21rocsparse_index_base_b
	.p2align	8
	.type	_ZN9rocsparseL19gebsrmvn_2xn_kernelILj128ELj8ELj8EdEEvi20rocsparse_direction_NS_24const_host_device_scalarIT2_EEPKiS6_PKS3_S8_S4_PS3_21rocsparse_index_base_b,@function
_ZN9rocsparseL19gebsrmvn_2xn_kernelILj128ELj8ELj8EdEEvi20rocsparse_direction_NS_24const_host_device_scalarIT2_EEPKiS6_PKS3_S8_S4_PS3_21rocsparse_index_base_b: ; @_ZN9rocsparseL19gebsrmvn_2xn_kernelILj128ELj8ELj8EdEEvi20rocsparse_direction_NS_24const_host_device_scalarIT2_EEPKiS6_PKS3_S8_S4_PS3_21rocsparse_index_base_b
; %bb.0:
	s_clause 0x2
	s_load_b64 s[12:13], s[0:1], 0x40
	s_load_b64 s[4:5], s[0:1], 0x8
	;; [unrolled: 1-line block ×3, first 2 shown]
	s_wait_kmcnt 0x0
	s_bitcmp1_b32 s13, 0
	v_mov_b64_e32 v[2:3], s[4:5]
	s_cselect_b32 s6, -1, 0
	s_delay_alu instid0(SALU_CYCLE_1)
	s_and_b32 vcc_lo, exec_lo, s6
	s_xor_b32 s6, s6, -1
	s_cbranch_vccnz .LBB107_2
; %bb.1:
	v_mov_b32_e32 v1, 0
	flat_load_b64 v[2:3], v1, s[4:5]
.LBB107_2:
	v_mov_b64_e32 v[4:5], s[2:3]
	s_and_not1_b32 vcc_lo, exec_lo, s6
	s_cbranch_vccnz .LBB107_4
; %bb.3:
	s_wait_xcnt 0x0
	v_mov_b32_e32 v1, 0
	flat_load_b64 v[4:5], v1, s[2:3]
.LBB107_4:
	s_wait_loadcnt_dscnt 0x0
	v_cmp_neq_f64_e32 vcc_lo, 0, v[2:3]
	s_delay_alu instid0(VALU_DEP_2) | instskip(SKIP_1) | instid1(SALU_CYCLE_1)
	v_cmp_neq_f64_e64 s2, 1.0, v[4:5]
	s_or_b32 s2, vcc_lo, s2
	s_and_saveexec_b32 s3, s2
	s_cbranch_execz .LBB107_23
; %bb.5:
	s_load_b64 s[2:3], s[0:1], 0x0
	s_bfe_u32 s4, ttmp6, 0x4000c
	s_and_b32 s5, ttmp6, 15
	s_add_co_i32 s4, s4, 1
	s_getreg_b32 s6, hwreg(HW_REG_IB_STS2, 6, 4)
	s_mul_i32 s4, ttmp9, s4
	v_lshrrev_b32_e32 v1, 3, v0
	s_add_co_i32 s5, s5, s4
	s_cmp_eq_u32 s6, 0
	s_cselect_b32 s4, ttmp9, s5
	s_delay_alu instid0(VALU_DEP_1) | instid1(SALU_CYCLE_1)
	v_lshl_or_b32 v6, s4, 4, v1
	s_wait_kmcnt 0x0
	s_delay_alu instid0(VALU_DEP_1)
	v_cmp_gt_i32_e32 vcc_lo, s2, v6
	s_and_b32 exec_lo, exec_lo, vcc_lo
	s_cbranch_execz .LBB107_23
; %bb.6:
	s_load_b256 s[4:11], s[0:1], 0x10
	v_ashrrev_i32_e32 v7, 31, v6
	s_cmp_lg_u32 s3, 0
	s_wait_kmcnt 0x0
	s_delay_alu instid0(VALU_DEP_1)
	v_lshl_add_u64 v[8:9], v[6:7], 2, s[4:5]
	v_and_b32_e32 v7, 7, v0
	global_load_b64 v[8:9], v[8:9], off
	s_wait_loadcnt 0x0
	v_subrev_nc_u32_e32 v0, s12, v8
	v_subrev_nc_u32_e32 v12, s12, v9
	s_delay_alu instid0(VALU_DEP_2) | instskip(NEXT) | instid1(VALU_DEP_1)
	v_add_nc_u32_e32 v13, v0, v7
	v_cmp_lt_i32_e64 s2, v13, v12
	s_cbranch_scc0 .LBB107_12
; %bb.7:
	v_mov_b64_e32 v[0:1], 0
	v_mov_b64_e32 v[8:9], 0
	s_and_saveexec_b32 s3, s2
	s_cbranch_execz .LBB107_11
; %bb.8:
	v_mov_b64_e32 v[0:1], 0
	v_mov_b64_e32 v[8:9], 0
	v_dual_mov_b32 v11, 0 :: v_dual_lshlrev_b32 v10, 4, v13
	v_mov_b32_e32 v14, v13
	s_mov_b32 s4, 0
.LBB107_9:                              ; =>This Inner Loop Header: Depth=1
	global_load_b32 v15, v14, s[6:7] scale_offset
	v_lshl_add_u64 v[64:65], v[10:11], 3, s[8:9]
	s_wait_xcnt 0x0
	v_add_nc_u32_e32 v14, 8, v14
	v_add_nc_u32_e32 v10, 0x80, v10
	s_delay_alu instid0(VALU_DEP_2) | instskip(SKIP_3) | instid1(VALU_DEP_1)
	v_cmp_ge_i32_e32 vcc_lo, v14, v12
	s_or_b32 s4, vcc_lo, s4
	s_wait_loadcnt 0x0
	v_subrev_nc_u32_e32 v15, s12, v15
	v_dual_mov_b32 v17, v11 :: v_dual_lshlrev_b32 v16, 3, v15
	s_delay_alu instid0(VALU_DEP_1)
	v_lshl_add_u64 v[66:67], v[16:17], 3, s[10:11]
	s_clause 0x1
	global_load_b128 v[16:19], v[64:65], off offset:16
	global_load_b128 v[20:23], v[64:65], off
	s_clause 0x1
	global_load_b128 v[24:27], v[66:67], off
	global_load_b128 v[28:31], v[66:67], off offset:16
	s_clause 0x3
	global_load_b128 v[32:35], v[64:65], off offset:32
	global_load_b128 v[36:39], v[64:65], off offset:48
	;; [unrolled: 1-line block ×4, first 2 shown]
	s_clause 0x1
	global_load_b128 v[48:51], v[66:67], off offset:32
	global_load_b128 v[52:55], v[66:67], off offset:48
	s_clause 0x1
	global_load_b128 v[56:59], v[64:65], off offset:96
	global_load_b128 v[60:63], v[64:65], off offset:112
	s_wait_loadcnt 0x9
	v_fmac_f64_e32 v[0:1], v[20:21], v[24:25]
	v_fmac_f64_e32 v[8:9], v[22:23], v[24:25]
	s_delay_alu instid0(VALU_DEP_2) | instskip(NEXT) | instid1(VALU_DEP_2)
	v_fmac_f64_e32 v[0:1], v[16:17], v[26:27]
	v_fmac_f64_e32 v[8:9], v[18:19], v[26:27]
	s_wait_loadcnt 0x7
	s_delay_alu instid0(VALU_DEP_2) | instskip(NEXT) | instid1(VALU_DEP_2)
	v_fmac_f64_e32 v[0:1], v[32:33], v[28:29]
	v_fmac_f64_e32 v[8:9], v[34:35], v[28:29]
	s_wait_loadcnt 0x6
	;; [unrolled: 4-line block ×3, first 2 shown]
	s_delay_alu instid0(VALU_DEP_2) | instskip(NEXT) | instid1(VALU_DEP_2)
	v_fmac_f64_e32 v[0:1], v[44:45], v[48:49]
	v_fmac_f64_e32 v[8:9], v[46:47], v[48:49]
	s_delay_alu instid0(VALU_DEP_2) | instskip(NEXT) | instid1(VALU_DEP_2)
	v_fmac_f64_e32 v[0:1], v[40:41], v[50:51]
	v_fmac_f64_e32 v[8:9], v[42:43], v[50:51]
	s_wait_loadcnt 0x1
	s_delay_alu instid0(VALU_DEP_2) | instskip(NEXT) | instid1(VALU_DEP_2)
	v_fmac_f64_e32 v[0:1], v[56:57], v[52:53]
	v_fmac_f64_e32 v[8:9], v[58:59], v[52:53]
	s_wait_loadcnt 0x0
	s_delay_alu instid0(VALU_DEP_2) | instskip(NEXT) | instid1(VALU_DEP_2)
	v_fmac_f64_e32 v[0:1], v[60:61], v[54:55]
	v_fmac_f64_e32 v[8:9], v[62:63], v[54:55]
	s_and_not1_b32 exec_lo, exec_lo, s4
	s_cbranch_execnz .LBB107_9
; %bb.10:
	s_or_b32 exec_lo, exec_lo, s4
.LBB107_11:
	s_delay_alu instid0(SALU_CYCLE_1)
	s_or_b32 exec_lo, exec_lo, s3
	s_cbranch_execz .LBB107_13
	s_branch .LBB107_18
.LBB107_12:
                                        ; implicit-def: $vgpr0_vgpr1
                                        ; implicit-def: $vgpr8_vgpr9
.LBB107_13:
	v_mov_b64_e32 v[0:1], 0
	v_mov_b64_e32 v[8:9], 0
	s_and_saveexec_b32 s3, s2
	s_cbranch_execz .LBB107_17
; %bb.14:
	v_mov_b64_e32 v[0:1], 0
	v_mov_b64_e32 v[8:9], 0
	v_dual_mov_b32 v11, 0 :: v_dual_lshlrev_b32 v10, 4, v13
	s_mov_b32 s2, 0
.LBB107_15:                             ; =>This Inner Loop Header: Depth=1
	global_load_b32 v14, v13, s[6:7] scale_offset
	v_lshl_add_u64 v[62:63], v[10:11], 3, s[8:9]
	s_wait_xcnt 0x0
	v_add_nc_u32_e32 v13, 8, v13
	v_add_nc_u32_e32 v10, 0x80, v10
	s_delay_alu instid0(VALU_DEP_2) | instskip(SKIP_3) | instid1(VALU_DEP_1)
	v_cmp_ge_i32_e32 vcc_lo, v13, v12
	s_or_b32 s2, vcc_lo, s2
	s_wait_loadcnt 0x0
	v_subrev_nc_u32_e32 v14, s12, v14
	v_dual_mov_b32 v19, v11 :: v_dual_lshlrev_b32 v18, 3, v14
	global_load_b128 v[14:17], v[62:63], off offset:16
	v_lshl_add_u64 v[64:65], v[18:19], 3, s[10:11]
	s_clause 0x2
	global_load_b128 v[18:21], v[62:63], off
	global_load_b128 v[22:25], v[62:63], off offset:80
	global_load_b128 v[26:29], v[62:63], off offset:64
	s_clause 0x1
	global_load_b128 v[30:33], v[64:65], off
	global_load_b128 v[34:37], v[64:65], off offset:16
	s_clause 0x3
	global_load_b128 v[38:41], v[62:63], off offset:48
	global_load_b128 v[42:45], v[62:63], off offset:32
	;; [unrolled: 1-line block ×4, first 2 shown]
	s_clause 0x1
	global_load_b128 v[54:57], v[64:65], off offset:32
	global_load_b128 v[58:61], v[64:65], off offset:48
	s_wait_loadcnt 0x7
	v_fmac_f64_e32 v[0:1], v[18:19], v[30:31]
	v_fmac_f64_e32 v[8:9], v[26:27], v[30:31]
	s_delay_alu instid0(VALU_DEP_2) | instskip(NEXT) | instid1(VALU_DEP_2)
	v_fmac_f64_e32 v[0:1], v[20:21], v[32:33]
	v_fmac_f64_e32 v[8:9], v[28:29], v[32:33]
	s_wait_loadcnt 0x6
	s_delay_alu instid0(VALU_DEP_2) | instskip(NEXT) | instid1(VALU_DEP_2)
	v_fmac_f64_e32 v[0:1], v[14:15], v[34:35]
	v_fmac_f64_e32 v[8:9], v[22:23], v[34:35]
	s_delay_alu instid0(VALU_DEP_2) | instskip(NEXT) | instid1(VALU_DEP_2)
	v_fmac_f64_e32 v[0:1], v[16:17], v[36:37]
	v_fmac_f64_e32 v[8:9], v[24:25], v[36:37]
	s_wait_loadcnt 0x1
	s_delay_alu instid0(VALU_DEP_2) | instskip(NEXT) | instid1(VALU_DEP_2)
	;; [unrolled: 7-line block ×3, first 2 shown]
	v_fmac_f64_e32 v[0:1], v[38:39], v[58:59]
	v_fmac_f64_e32 v[8:9], v[46:47], v[58:59]
	s_delay_alu instid0(VALU_DEP_2) | instskip(NEXT) | instid1(VALU_DEP_2)
	v_fmac_f64_e32 v[0:1], v[40:41], v[60:61]
	v_fmac_f64_e32 v[8:9], v[48:49], v[60:61]
	s_and_not1_b32 exec_lo, exec_lo, s2
	s_cbranch_execnz .LBB107_15
; %bb.16:
	s_or_b32 exec_lo, exec_lo, s2
.LBB107_17:
	s_delay_alu instid0(SALU_CYCLE_1)
	s_or_b32 exec_lo, exec_lo, s3
.LBB107_18:
	v_mbcnt_lo_u32_b32 v14, -1, 0
	s_delay_alu instid0(VALU_DEP_1) | instskip(NEXT) | instid1(VALU_DEP_1)
	v_xor_b32_e32 v10, 4, v14
	v_cmp_gt_i32_e32 vcc_lo, 32, v10
	v_cndmask_b32_e32 v10, v14, v10, vcc_lo
	s_delay_alu instid0(VALU_DEP_1)
	v_lshlrev_b32_e32 v13, 2, v10
	ds_bpermute_b32 v10, v13, v0
	ds_bpermute_b32 v11, v13, v1
	s_wait_dscnt 0x0
	v_add_f64_e32 v[0:1], v[0:1], v[10:11]
	v_xor_b32_e32 v10, 2, v14
	s_delay_alu instid0(VALU_DEP_1)
	v_cmp_gt_i32_e32 vcc_lo, 32, v10
	v_cndmask_b32_e32 v10, v14, v10, vcc_lo
	ds_bpermute_b32 v12, v13, v8
	ds_bpermute_b32 v13, v13, v9
	s_wait_dscnt 0x0
	v_dual_add_f64 v[8:9], v[8:9], v[12:13] :: v_dual_lshlrev_b32 v13, 2, v10
	ds_bpermute_b32 v10, v13, v0
	ds_bpermute_b32 v11, v13, v1
	s_wait_dscnt 0x0
	v_add_f64_e32 v[0:1], v[0:1], v[10:11]
	ds_bpermute_b32 v12, v13, v8
	ds_bpermute_b32 v13, v13, v9
	s_wait_dscnt 0x0
	v_dual_add_f64 v[10:11], v[8:9], v[12:13] :: v_dual_bitop2_b32 v8, 1, v14 bitop3:0x14
	s_delay_alu instid0(VALU_DEP_1) | instskip(SKIP_2) | instid1(VALU_DEP_2)
	v_cmp_gt_i32_e32 vcc_lo, 32, v8
	v_cndmask_b32_e32 v8, v14, v8, vcc_lo
	v_cmp_eq_u32_e32 vcc_lo, 7, v7
	v_lshlrev_b32_e32 v13, 2, v8
	ds_bpermute_b32 v8, v13, v0
	ds_bpermute_b32 v9, v13, v1
	;; [unrolled: 1-line block ×4, first 2 shown]
	s_and_b32 exec_lo, exec_lo, vcc_lo
	s_cbranch_execz .LBB107_23
; %bb.19:
	s_wait_dscnt 0x2
	v_add_f64_e32 v[8:9], v[0:1], v[8:9]
	s_wait_dscnt 0x0
	v_add_f64_e32 v[0:1], v[10:11], v[12:13]
	s_load_b64 s[0:1], s[0:1], 0x38
	s_mov_b32 s2, exec_lo
	v_cmpx_eq_f64_e32 0, v[4:5]
	s_xor_b32 s2, exec_lo, s2
	s_cbranch_execz .LBB107_21
; %bb.20:
	s_delay_alu instid0(VALU_DEP_3) | instskip(NEXT) | instid1(VALU_DEP_3)
	v_mul_f64_e32 v[8:9], v[2:3], v[8:9]
	v_dual_mul_f64 v[10:11], v[2:3], v[0:1] :: v_dual_lshlrev_b32 v0, 1, v6
                                        ; implicit-def: $vgpr6
                                        ; implicit-def: $vgpr2_vgpr3
                                        ; implicit-def: $vgpr4_vgpr5
	s_delay_alu instid0(VALU_DEP_1) | instskip(SKIP_1) | instid1(VALU_DEP_1)
	v_ashrrev_i32_e32 v1, 31, v0
	s_wait_kmcnt 0x0
	v_lshl_add_u64 v[0:1], v[0:1], 3, s[0:1]
	global_store_b128 v[0:1], v[8:11], off
                                        ; implicit-def: $vgpr8_vgpr9
                                        ; implicit-def: $vgpr0_vgpr1
.LBB107_21:
	s_wait_xcnt 0x0
	s_and_not1_saveexec_b32 s2, s2
	s_cbranch_execz .LBB107_23
; %bb.22:
	v_lshlrev_b32_e32 v6, 1, v6
	s_delay_alu instid0(VALU_DEP_1) | instskip(SKIP_1) | instid1(VALU_DEP_1)
	v_ashrrev_i32_e32 v7, 31, v6
	s_wait_kmcnt 0x0
	v_lshl_add_u64 v[14:15], v[6:7], 3, s[0:1]
	v_mul_f64_e32 v[6:7], v[2:3], v[8:9]
	v_mul_f64_e32 v[8:9], v[2:3], v[0:1]
	global_load_b128 v[10:13], v[14:15], off
	s_wait_loadcnt 0x0
	v_fmac_f64_e32 v[6:7], v[4:5], v[10:11]
	v_fmac_f64_e32 v[8:9], v[4:5], v[12:13]
	global_store_b128 v[14:15], v[6:9], off
.LBB107_23:
	s_sendmsg sendmsg(MSG_DEALLOC_VGPRS)
	s_endpgm
	.section	.rodata,"a",@progbits
	.p2align	6, 0x0
	.amdhsa_kernel _ZN9rocsparseL19gebsrmvn_2xn_kernelILj128ELj8ELj8EdEEvi20rocsparse_direction_NS_24const_host_device_scalarIT2_EEPKiS6_PKS3_S8_S4_PS3_21rocsparse_index_base_b
		.amdhsa_group_segment_fixed_size 0
		.amdhsa_private_segment_fixed_size 0
		.amdhsa_kernarg_size 72
		.amdhsa_user_sgpr_count 2
		.amdhsa_user_sgpr_dispatch_ptr 0
		.amdhsa_user_sgpr_queue_ptr 0
		.amdhsa_user_sgpr_kernarg_segment_ptr 1
		.amdhsa_user_sgpr_dispatch_id 0
		.amdhsa_user_sgpr_kernarg_preload_length 0
		.amdhsa_user_sgpr_kernarg_preload_offset 0
		.amdhsa_user_sgpr_private_segment_size 0
		.amdhsa_wavefront_size32 1
		.amdhsa_uses_dynamic_stack 0
		.amdhsa_enable_private_segment 0
		.amdhsa_system_sgpr_workgroup_id_x 1
		.amdhsa_system_sgpr_workgroup_id_y 0
		.amdhsa_system_sgpr_workgroup_id_z 0
		.amdhsa_system_sgpr_workgroup_info 0
		.amdhsa_system_vgpr_workitem_id 0
		.amdhsa_next_free_vgpr 68
		.amdhsa_next_free_sgpr 14
		.amdhsa_named_barrier_count 0
		.amdhsa_reserve_vcc 1
		.amdhsa_float_round_mode_32 0
		.amdhsa_float_round_mode_16_64 0
		.amdhsa_float_denorm_mode_32 3
		.amdhsa_float_denorm_mode_16_64 3
		.amdhsa_fp16_overflow 0
		.amdhsa_memory_ordered 1
		.amdhsa_forward_progress 1
		.amdhsa_inst_pref_size 12
		.amdhsa_round_robin_scheduling 0
		.amdhsa_exception_fp_ieee_invalid_op 0
		.amdhsa_exception_fp_denorm_src 0
		.amdhsa_exception_fp_ieee_div_zero 0
		.amdhsa_exception_fp_ieee_overflow 0
		.amdhsa_exception_fp_ieee_underflow 0
		.amdhsa_exception_fp_ieee_inexact 0
		.amdhsa_exception_int_div_zero 0
	.end_amdhsa_kernel
	.section	.text._ZN9rocsparseL19gebsrmvn_2xn_kernelILj128ELj8ELj8EdEEvi20rocsparse_direction_NS_24const_host_device_scalarIT2_EEPKiS6_PKS3_S8_S4_PS3_21rocsparse_index_base_b,"axG",@progbits,_ZN9rocsparseL19gebsrmvn_2xn_kernelILj128ELj8ELj8EdEEvi20rocsparse_direction_NS_24const_host_device_scalarIT2_EEPKiS6_PKS3_S8_S4_PS3_21rocsparse_index_base_b,comdat
.Lfunc_end107:
	.size	_ZN9rocsparseL19gebsrmvn_2xn_kernelILj128ELj8ELj8EdEEvi20rocsparse_direction_NS_24const_host_device_scalarIT2_EEPKiS6_PKS3_S8_S4_PS3_21rocsparse_index_base_b, .Lfunc_end107-_ZN9rocsparseL19gebsrmvn_2xn_kernelILj128ELj8ELj8EdEEvi20rocsparse_direction_NS_24const_host_device_scalarIT2_EEPKiS6_PKS3_S8_S4_PS3_21rocsparse_index_base_b
                                        ; -- End function
	.set _ZN9rocsparseL19gebsrmvn_2xn_kernelILj128ELj8ELj8EdEEvi20rocsparse_direction_NS_24const_host_device_scalarIT2_EEPKiS6_PKS3_S8_S4_PS3_21rocsparse_index_base_b.num_vgpr, 68
	.set _ZN9rocsparseL19gebsrmvn_2xn_kernelILj128ELj8ELj8EdEEvi20rocsparse_direction_NS_24const_host_device_scalarIT2_EEPKiS6_PKS3_S8_S4_PS3_21rocsparse_index_base_b.num_agpr, 0
	.set _ZN9rocsparseL19gebsrmvn_2xn_kernelILj128ELj8ELj8EdEEvi20rocsparse_direction_NS_24const_host_device_scalarIT2_EEPKiS6_PKS3_S8_S4_PS3_21rocsparse_index_base_b.numbered_sgpr, 14
	.set _ZN9rocsparseL19gebsrmvn_2xn_kernelILj128ELj8ELj8EdEEvi20rocsparse_direction_NS_24const_host_device_scalarIT2_EEPKiS6_PKS3_S8_S4_PS3_21rocsparse_index_base_b.num_named_barrier, 0
	.set _ZN9rocsparseL19gebsrmvn_2xn_kernelILj128ELj8ELj8EdEEvi20rocsparse_direction_NS_24const_host_device_scalarIT2_EEPKiS6_PKS3_S8_S4_PS3_21rocsparse_index_base_b.private_seg_size, 0
	.set _ZN9rocsparseL19gebsrmvn_2xn_kernelILj128ELj8ELj8EdEEvi20rocsparse_direction_NS_24const_host_device_scalarIT2_EEPKiS6_PKS3_S8_S4_PS3_21rocsparse_index_base_b.uses_vcc, 1
	.set _ZN9rocsparseL19gebsrmvn_2xn_kernelILj128ELj8ELj8EdEEvi20rocsparse_direction_NS_24const_host_device_scalarIT2_EEPKiS6_PKS3_S8_S4_PS3_21rocsparse_index_base_b.uses_flat_scratch, 0
	.set _ZN9rocsparseL19gebsrmvn_2xn_kernelILj128ELj8ELj8EdEEvi20rocsparse_direction_NS_24const_host_device_scalarIT2_EEPKiS6_PKS3_S8_S4_PS3_21rocsparse_index_base_b.has_dyn_sized_stack, 0
	.set _ZN9rocsparseL19gebsrmvn_2xn_kernelILj128ELj8ELj8EdEEvi20rocsparse_direction_NS_24const_host_device_scalarIT2_EEPKiS6_PKS3_S8_S4_PS3_21rocsparse_index_base_b.has_recursion, 0
	.set _ZN9rocsparseL19gebsrmvn_2xn_kernelILj128ELj8ELj8EdEEvi20rocsparse_direction_NS_24const_host_device_scalarIT2_EEPKiS6_PKS3_S8_S4_PS3_21rocsparse_index_base_b.has_indirect_call, 0
	.section	.AMDGPU.csdata,"",@progbits
; Kernel info:
; codeLenInByte = 1520
; TotalNumSgprs: 16
; NumVgprs: 68
; ScratchSize: 0
; MemoryBound: 1
; FloatMode: 240
; IeeeMode: 1
; LDSByteSize: 0 bytes/workgroup (compile time only)
; SGPRBlocks: 0
; VGPRBlocks: 4
; NumSGPRsForWavesPerEU: 16
; NumVGPRsForWavesPerEU: 68
; NamedBarCnt: 0
; Occupancy: 12
; WaveLimiterHint : 1
; COMPUTE_PGM_RSRC2:SCRATCH_EN: 0
; COMPUTE_PGM_RSRC2:USER_SGPR: 2
; COMPUTE_PGM_RSRC2:TRAP_HANDLER: 0
; COMPUTE_PGM_RSRC2:TGID_X_EN: 1
; COMPUTE_PGM_RSRC2:TGID_Y_EN: 0
; COMPUTE_PGM_RSRC2:TGID_Z_EN: 0
; COMPUTE_PGM_RSRC2:TIDIG_COMP_CNT: 0
	.section	.text._ZN9rocsparseL19gebsrmvn_2xn_kernelILj128ELj8ELj16EdEEvi20rocsparse_direction_NS_24const_host_device_scalarIT2_EEPKiS6_PKS3_S8_S4_PS3_21rocsparse_index_base_b,"axG",@progbits,_ZN9rocsparseL19gebsrmvn_2xn_kernelILj128ELj8ELj16EdEEvi20rocsparse_direction_NS_24const_host_device_scalarIT2_EEPKiS6_PKS3_S8_S4_PS3_21rocsparse_index_base_b,comdat
	.globl	_ZN9rocsparseL19gebsrmvn_2xn_kernelILj128ELj8ELj16EdEEvi20rocsparse_direction_NS_24const_host_device_scalarIT2_EEPKiS6_PKS3_S8_S4_PS3_21rocsparse_index_base_b ; -- Begin function _ZN9rocsparseL19gebsrmvn_2xn_kernelILj128ELj8ELj16EdEEvi20rocsparse_direction_NS_24const_host_device_scalarIT2_EEPKiS6_PKS3_S8_S4_PS3_21rocsparse_index_base_b
	.p2align	8
	.type	_ZN9rocsparseL19gebsrmvn_2xn_kernelILj128ELj8ELj16EdEEvi20rocsparse_direction_NS_24const_host_device_scalarIT2_EEPKiS6_PKS3_S8_S4_PS3_21rocsparse_index_base_b,@function
_ZN9rocsparseL19gebsrmvn_2xn_kernelILj128ELj8ELj16EdEEvi20rocsparse_direction_NS_24const_host_device_scalarIT2_EEPKiS6_PKS3_S8_S4_PS3_21rocsparse_index_base_b: ; @_ZN9rocsparseL19gebsrmvn_2xn_kernelILj128ELj8ELj16EdEEvi20rocsparse_direction_NS_24const_host_device_scalarIT2_EEPKiS6_PKS3_S8_S4_PS3_21rocsparse_index_base_b
; %bb.0:
	s_clause 0x2
	s_load_b64 s[12:13], s[0:1], 0x40
	s_load_b64 s[4:5], s[0:1], 0x8
	;; [unrolled: 1-line block ×3, first 2 shown]
	s_wait_kmcnt 0x0
	s_bitcmp1_b32 s13, 0
	v_mov_b64_e32 v[2:3], s[4:5]
	s_cselect_b32 s6, -1, 0
	s_delay_alu instid0(SALU_CYCLE_1)
	s_and_b32 vcc_lo, exec_lo, s6
	s_xor_b32 s6, s6, -1
	s_cbranch_vccnz .LBB108_2
; %bb.1:
	v_mov_b32_e32 v1, 0
	flat_load_b64 v[2:3], v1, s[4:5]
.LBB108_2:
	v_mov_b64_e32 v[4:5], s[2:3]
	s_and_not1_b32 vcc_lo, exec_lo, s6
	s_cbranch_vccnz .LBB108_4
; %bb.3:
	s_wait_xcnt 0x0
	v_mov_b32_e32 v1, 0
	flat_load_b64 v[4:5], v1, s[2:3]
.LBB108_4:
	s_wait_loadcnt_dscnt 0x0
	v_cmp_neq_f64_e32 vcc_lo, 0, v[2:3]
	s_delay_alu instid0(VALU_DEP_2) | instskip(SKIP_1) | instid1(SALU_CYCLE_1)
	v_cmp_neq_f64_e64 s2, 1.0, v[4:5]
	s_or_b32 s2, vcc_lo, s2
	s_and_saveexec_b32 s3, s2
	s_cbranch_execz .LBB108_23
; %bb.5:
	s_load_b64 s[2:3], s[0:1], 0x0
	s_bfe_u32 s4, ttmp6, 0x4000c
	s_and_b32 s5, ttmp6, 15
	s_add_co_i32 s4, s4, 1
	s_getreg_b32 s6, hwreg(HW_REG_IB_STS2, 6, 4)
	s_mul_i32 s4, ttmp9, s4
	v_lshrrev_b32_e32 v1, 4, v0
	s_add_co_i32 s5, s5, s4
	s_cmp_eq_u32 s6, 0
	s_cselect_b32 s4, ttmp9, s5
	s_delay_alu instid0(VALU_DEP_1) | instid1(SALU_CYCLE_1)
	v_lshl_or_b32 v6, s4, 3, v1
	s_wait_kmcnt 0x0
	s_delay_alu instid0(VALU_DEP_1)
	v_cmp_gt_i32_e32 vcc_lo, s2, v6
	s_and_b32 exec_lo, exec_lo, vcc_lo
	s_cbranch_execz .LBB108_23
; %bb.6:
	s_load_b256 s[4:11], s[0:1], 0x10
	v_ashrrev_i32_e32 v7, 31, v6
	s_cmp_lg_u32 s3, 0
	s_wait_kmcnt 0x0
	s_delay_alu instid0(VALU_DEP_1)
	v_lshl_add_u64 v[8:9], v[6:7], 2, s[4:5]
	v_and_b32_e32 v7, 15, v0
	global_load_b64 v[8:9], v[8:9], off
	s_wait_loadcnt 0x0
	v_subrev_nc_u32_e32 v0, s12, v8
	v_subrev_nc_u32_e32 v12, s12, v9
	s_delay_alu instid0(VALU_DEP_2) | instskip(NEXT) | instid1(VALU_DEP_1)
	v_add_nc_u32_e32 v13, v0, v7
	v_cmp_lt_i32_e64 s2, v13, v12
	s_cbranch_scc0 .LBB108_12
; %bb.7:
	v_mov_b64_e32 v[0:1], 0
	v_mov_b64_e32 v[8:9], 0
	s_and_saveexec_b32 s3, s2
	s_cbranch_execz .LBB108_11
; %bb.8:
	v_mov_b64_e32 v[0:1], 0
	v_mov_b64_e32 v[8:9], 0
	v_dual_mov_b32 v11, 0 :: v_dual_lshlrev_b32 v10, 4, v13
	v_mov_b32_e32 v14, v13
	s_mov_b32 s4, 0
.LBB108_9:                              ; =>This Inner Loop Header: Depth=1
	global_load_b32 v15, v14, s[6:7] scale_offset
	v_lshl_add_u64 v[64:65], v[10:11], 3, s[8:9]
	s_wait_xcnt 0x0
	v_add_nc_u32_e32 v14, 16, v14
	v_add_nc_u32_e32 v10, 0x100, v10
	s_delay_alu instid0(VALU_DEP_2) | instskip(SKIP_3) | instid1(VALU_DEP_1)
	v_cmp_ge_i32_e32 vcc_lo, v14, v12
	s_or_b32 s4, vcc_lo, s4
	s_wait_loadcnt 0x0
	v_subrev_nc_u32_e32 v15, s12, v15
	v_dual_mov_b32 v17, v11 :: v_dual_lshlrev_b32 v16, 3, v15
	s_delay_alu instid0(VALU_DEP_1)
	v_lshl_add_u64 v[66:67], v[16:17], 3, s[10:11]
	s_clause 0x1
	global_load_b128 v[16:19], v[64:65], off offset:16
	global_load_b128 v[20:23], v[64:65], off
	s_clause 0x1
	global_load_b128 v[24:27], v[66:67], off
	global_load_b128 v[28:31], v[66:67], off offset:16
	s_clause 0x3
	global_load_b128 v[32:35], v[64:65], off offset:32
	global_load_b128 v[36:39], v[64:65], off offset:48
	;; [unrolled: 1-line block ×4, first 2 shown]
	s_clause 0x1
	global_load_b128 v[48:51], v[66:67], off offset:32
	global_load_b128 v[52:55], v[66:67], off offset:48
	s_clause 0x1
	global_load_b128 v[56:59], v[64:65], off offset:96
	global_load_b128 v[60:63], v[64:65], off offset:112
	s_wait_loadcnt 0x9
	v_fmac_f64_e32 v[0:1], v[20:21], v[24:25]
	v_fmac_f64_e32 v[8:9], v[22:23], v[24:25]
	s_delay_alu instid0(VALU_DEP_2) | instskip(NEXT) | instid1(VALU_DEP_2)
	v_fmac_f64_e32 v[0:1], v[16:17], v[26:27]
	v_fmac_f64_e32 v[8:9], v[18:19], v[26:27]
	s_wait_loadcnt 0x7
	s_delay_alu instid0(VALU_DEP_2) | instskip(NEXT) | instid1(VALU_DEP_2)
	v_fmac_f64_e32 v[0:1], v[32:33], v[28:29]
	v_fmac_f64_e32 v[8:9], v[34:35], v[28:29]
	s_wait_loadcnt 0x6
	s_delay_alu instid0(VALU_DEP_2) | instskip(NEXT) | instid1(VALU_DEP_2)
	v_fmac_f64_e32 v[0:1], v[36:37], v[30:31]
	v_fmac_f64_e32 v[8:9], v[38:39], v[30:31]
	s_wait_loadcnt 0x3
	s_delay_alu instid0(VALU_DEP_2) | instskip(NEXT) | instid1(VALU_DEP_2)
	v_fmac_f64_e32 v[0:1], v[44:45], v[48:49]
	v_fmac_f64_e32 v[8:9], v[46:47], v[48:49]
	s_delay_alu instid0(VALU_DEP_2) | instskip(NEXT) | instid1(VALU_DEP_2)
	v_fmac_f64_e32 v[0:1], v[40:41], v[50:51]
	v_fmac_f64_e32 v[8:9], v[42:43], v[50:51]
	s_wait_loadcnt 0x1
	s_delay_alu instid0(VALU_DEP_2) | instskip(NEXT) | instid1(VALU_DEP_2)
	v_fmac_f64_e32 v[0:1], v[56:57], v[52:53]
	v_fmac_f64_e32 v[8:9], v[58:59], v[52:53]
	s_wait_loadcnt 0x0
	s_delay_alu instid0(VALU_DEP_2) | instskip(NEXT) | instid1(VALU_DEP_2)
	v_fmac_f64_e32 v[0:1], v[60:61], v[54:55]
	v_fmac_f64_e32 v[8:9], v[62:63], v[54:55]
	s_and_not1_b32 exec_lo, exec_lo, s4
	s_cbranch_execnz .LBB108_9
; %bb.10:
	s_or_b32 exec_lo, exec_lo, s4
.LBB108_11:
	s_delay_alu instid0(SALU_CYCLE_1)
	s_or_b32 exec_lo, exec_lo, s3
	s_cbranch_execz .LBB108_13
	s_branch .LBB108_18
.LBB108_12:
                                        ; implicit-def: $vgpr0_vgpr1
                                        ; implicit-def: $vgpr8_vgpr9
.LBB108_13:
	v_mov_b64_e32 v[0:1], 0
	v_mov_b64_e32 v[8:9], 0
	s_and_saveexec_b32 s3, s2
	s_cbranch_execz .LBB108_17
; %bb.14:
	v_mov_b64_e32 v[0:1], 0
	v_mov_b64_e32 v[8:9], 0
	v_dual_mov_b32 v11, 0 :: v_dual_lshlrev_b32 v10, 4, v13
	s_mov_b32 s2, 0
.LBB108_15:                             ; =>This Inner Loop Header: Depth=1
	global_load_b32 v14, v13, s[6:7] scale_offset
	v_lshl_add_u64 v[62:63], v[10:11], 3, s[8:9]
	s_wait_xcnt 0x0
	v_add_nc_u32_e32 v13, 16, v13
	v_add_nc_u32_e32 v10, 0x100, v10
	s_delay_alu instid0(VALU_DEP_2) | instskip(SKIP_3) | instid1(VALU_DEP_1)
	v_cmp_ge_i32_e32 vcc_lo, v13, v12
	s_or_b32 s2, vcc_lo, s2
	s_wait_loadcnt 0x0
	v_subrev_nc_u32_e32 v14, s12, v14
	v_dual_mov_b32 v19, v11 :: v_dual_lshlrev_b32 v18, 3, v14
	global_load_b128 v[14:17], v[62:63], off offset:16
	v_lshl_add_u64 v[64:65], v[18:19], 3, s[10:11]
	s_clause 0x2
	global_load_b128 v[18:21], v[62:63], off
	global_load_b128 v[22:25], v[62:63], off offset:80
	global_load_b128 v[26:29], v[62:63], off offset:64
	s_clause 0x1
	global_load_b128 v[30:33], v[64:65], off
	global_load_b128 v[34:37], v[64:65], off offset:16
	s_clause 0x3
	global_load_b128 v[38:41], v[62:63], off offset:48
	global_load_b128 v[42:45], v[62:63], off offset:32
	;; [unrolled: 1-line block ×4, first 2 shown]
	s_clause 0x1
	global_load_b128 v[54:57], v[64:65], off offset:32
	global_load_b128 v[58:61], v[64:65], off offset:48
	s_wait_loadcnt 0x7
	v_fmac_f64_e32 v[0:1], v[18:19], v[30:31]
	v_fmac_f64_e32 v[8:9], v[26:27], v[30:31]
	s_delay_alu instid0(VALU_DEP_2) | instskip(NEXT) | instid1(VALU_DEP_2)
	v_fmac_f64_e32 v[0:1], v[20:21], v[32:33]
	v_fmac_f64_e32 v[8:9], v[28:29], v[32:33]
	s_wait_loadcnt 0x6
	s_delay_alu instid0(VALU_DEP_2) | instskip(NEXT) | instid1(VALU_DEP_2)
	v_fmac_f64_e32 v[0:1], v[14:15], v[34:35]
	v_fmac_f64_e32 v[8:9], v[22:23], v[34:35]
	s_delay_alu instid0(VALU_DEP_2) | instskip(NEXT) | instid1(VALU_DEP_2)
	v_fmac_f64_e32 v[0:1], v[16:17], v[36:37]
	v_fmac_f64_e32 v[8:9], v[24:25], v[36:37]
	s_wait_loadcnt 0x1
	s_delay_alu instid0(VALU_DEP_2) | instskip(NEXT) | instid1(VALU_DEP_2)
	v_fmac_f64_e32 v[0:1], v[42:43], v[54:55]
	v_fmac_f64_e32 v[8:9], v[50:51], v[54:55]
	s_delay_alu instid0(VALU_DEP_2) | instskip(NEXT) | instid1(VALU_DEP_2)
	v_fmac_f64_e32 v[0:1], v[44:45], v[56:57]
	v_fmac_f64_e32 v[8:9], v[52:53], v[56:57]
	s_wait_loadcnt 0x0
	s_delay_alu instid0(VALU_DEP_2) | instskip(NEXT) | instid1(VALU_DEP_2)
	v_fmac_f64_e32 v[0:1], v[38:39], v[58:59]
	v_fmac_f64_e32 v[8:9], v[46:47], v[58:59]
	s_delay_alu instid0(VALU_DEP_2) | instskip(NEXT) | instid1(VALU_DEP_2)
	v_fmac_f64_e32 v[0:1], v[40:41], v[60:61]
	v_fmac_f64_e32 v[8:9], v[48:49], v[60:61]
	s_and_not1_b32 exec_lo, exec_lo, s2
	s_cbranch_execnz .LBB108_15
; %bb.16:
	s_or_b32 exec_lo, exec_lo, s2
.LBB108_17:
	s_delay_alu instid0(SALU_CYCLE_1)
	s_or_b32 exec_lo, exec_lo, s3
.LBB108_18:
	v_mbcnt_lo_u32_b32 v14, -1, 0
	s_delay_alu instid0(VALU_DEP_1) | instskip(NEXT) | instid1(VALU_DEP_1)
	v_xor_b32_e32 v10, 8, v14
	v_cmp_gt_i32_e32 vcc_lo, 32, v10
	v_cndmask_b32_e32 v10, v14, v10, vcc_lo
	s_delay_alu instid0(VALU_DEP_1)
	v_lshlrev_b32_e32 v13, 2, v10
	ds_bpermute_b32 v10, v13, v0
	ds_bpermute_b32 v11, v13, v1
	s_wait_dscnt 0x0
	v_add_f64_e32 v[0:1], v[0:1], v[10:11]
	v_xor_b32_e32 v10, 4, v14
	s_delay_alu instid0(VALU_DEP_1)
	v_cmp_gt_i32_e32 vcc_lo, 32, v10
	v_cndmask_b32_e32 v10, v14, v10, vcc_lo
	ds_bpermute_b32 v12, v13, v8
	ds_bpermute_b32 v13, v13, v9
	s_wait_dscnt 0x0
	v_dual_add_f64 v[8:9], v[8:9], v[12:13] :: v_dual_lshlrev_b32 v13, 2, v10
	ds_bpermute_b32 v10, v13, v0
	ds_bpermute_b32 v11, v13, v1
	s_wait_dscnt 0x0
	v_add_f64_e32 v[0:1], v[0:1], v[10:11]
	v_xor_b32_e32 v10, 2, v14
	s_delay_alu instid0(VALU_DEP_1)
	v_cmp_gt_i32_e32 vcc_lo, 32, v10
	v_cndmask_b32_e32 v10, v14, v10, vcc_lo
	ds_bpermute_b32 v12, v13, v8
	ds_bpermute_b32 v13, v13, v9
	s_wait_dscnt 0x0
	v_dual_add_f64 v[8:9], v[8:9], v[12:13] :: v_dual_lshlrev_b32 v13, 2, v10
	ds_bpermute_b32 v10, v13, v0
	ds_bpermute_b32 v11, v13, v1
	s_wait_dscnt 0x0
	v_add_f64_e32 v[0:1], v[0:1], v[10:11]
	ds_bpermute_b32 v12, v13, v8
	ds_bpermute_b32 v13, v13, v9
	s_wait_dscnt 0x0
	v_dual_add_f64 v[10:11], v[8:9], v[12:13] :: v_dual_bitop2_b32 v8, 1, v14 bitop3:0x14
	s_delay_alu instid0(VALU_DEP_1) | instskip(SKIP_2) | instid1(VALU_DEP_2)
	v_cmp_gt_i32_e32 vcc_lo, 32, v8
	v_cndmask_b32_e32 v8, v14, v8, vcc_lo
	v_cmp_eq_u32_e32 vcc_lo, 15, v7
	v_lshlrev_b32_e32 v13, 2, v8
	ds_bpermute_b32 v8, v13, v0
	ds_bpermute_b32 v9, v13, v1
	;; [unrolled: 1-line block ×4, first 2 shown]
	s_and_b32 exec_lo, exec_lo, vcc_lo
	s_cbranch_execz .LBB108_23
; %bb.19:
	s_wait_dscnt 0x2
	v_add_f64_e32 v[8:9], v[0:1], v[8:9]
	s_wait_dscnt 0x0
	v_add_f64_e32 v[0:1], v[10:11], v[12:13]
	s_load_b64 s[0:1], s[0:1], 0x38
	s_mov_b32 s2, exec_lo
	v_cmpx_eq_f64_e32 0, v[4:5]
	s_xor_b32 s2, exec_lo, s2
	s_cbranch_execz .LBB108_21
; %bb.20:
	s_delay_alu instid0(VALU_DEP_3) | instskip(NEXT) | instid1(VALU_DEP_3)
	v_mul_f64_e32 v[8:9], v[2:3], v[8:9]
	v_dual_mul_f64 v[10:11], v[2:3], v[0:1] :: v_dual_lshlrev_b32 v0, 1, v6
                                        ; implicit-def: $vgpr6
                                        ; implicit-def: $vgpr2_vgpr3
                                        ; implicit-def: $vgpr4_vgpr5
	s_delay_alu instid0(VALU_DEP_1) | instskip(SKIP_1) | instid1(VALU_DEP_1)
	v_ashrrev_i32_e32 v1, 31, v0
	s_wait_kmcnt 0x0
	v_lshl_add_u64 v[0:1], v[0:1], 3, s[0:1]
	global_store_b128 v[0:1], v[8:11], off
                                        ; implicit-def: $vgpr8_vgpr9
                                        ; implicit-def: $vgpr0_vgpr1
.LBB108_21:
	s_wait_xcnt 0x0
	s_and_not1_saveexec_b32 s2, s2
	s_cbranch_execz .LBB108_23
; %bb.22:
	v_lshlrev_b32_e32 v6, 1, v6
	s_delay_alu instid0(VALU_DEP_1) | instskip(SKIP_1) | instid1(VALU_DEP_1)
	v_ashrrev_i32_e32 v7, 31, v6
	s_wait_kmcnt 0x0
	v_lshl_add_u64 v[14:15], v[6:7], 3, s[0:1]
	v_mul_f64_e32 v[6:7], v[2:3], v[8:9]
	v_mul_f64_e32 v[8:9], v[2:3], v[0:1]
	global_load_b128 v[10:13], v[14:15], off
	s_wait_loadcnt 0x0
	v_fmac_f64_e32 v[6:7], v[4:5], v[10:11]
	v_fmac_f64_e32 v[8:9], v[4:5], v[12:13]
	global_store_b128 v[14:15], v[6:9], off
.LBB108_23:
	s_sendmsg sendmsg(MSG_DEALLOC_VGPRS)
	s_endpgm
	.section	.rodata,"a",@progbits
	.p2align	6, 0x0
	.amdhsa_kernel _ZN9rocsparseL19gebsrmvn_2xn_kernelILj128ELj8ELj16EdEEvi20rocsparse_direction_NS_24const_host_device_scalarIT2_EEPKiS6_PKS3_S8_S4_PS3_21rocsparse_index_base_b
		.amdhsa_group_segment_fixed_size 0
		.amdhsa_private_segment_fixed_size 0
		.amdhsa_kernarg_size 72
		.amdhsa_user_sgpr_count 2
		.amdhsa_user_sgpr_dispatch_ptr 0
		.amdhsa_user_sgpr_queue_ptr 0
		.amdhsa_user_sgpr_kernarg_segment_ptr 1
		.amdhsa_user_sgpr_dispatch_id 0
		.amdhsa_user_sgpr_kernarg_preload_length 0
		.amdhsa_user_sgpr_kernarg_preload_offset 0
		.amdhsa_user_sgpr_private_segment_size 0
		.amdhsa_wavefront_size32 1
		.amdhsa_uses_dynamic_stack 0
		.amdhsa_enable_private_segment 0
		.amdhsa_system_sgpr_workgroup_id_x 1
		.amdhsa_system_sgpr_workgroup_id_y 0
		.amdhsa_system_sgpr_workgroup_id_z 0
		.amdhsa_system_sgpr_workgroup_info 0
		.amdhsa_system_vgpr_workitem_id 0
		.amdhsa_next_free_vgpr 68
		.amdhsa_next_free_sgpr 14
		.amdhsa_named_barrier_count 0
		.amdhsa_reserve_vcc 1
		.amdhsa_float_round_mode_32 0
		.amdhsa_float_round_mode_16_64 0
		.amdhsa_float_denorm_mode_32 3
		.amdhsa_float_denorm_mode_16_64 3
		.amdhsa_fp16_overflow 0
		.amdhsa_memory_ordered 1
		.amdhsa_forward_progress 1
		.amdhsa_inst_pref_size 13
		.amdhsa_round_robin_scheduling 0
		.amdhsa_exception_fp_ieee_invalid_op 0
		.amdhsa_exception_fp_denorm_src 0
		.amdhsa_exception_fp_ieee_div_zero 0
		.amdhsa_exception_fp_ieee_overflow 0
		.amdhsa_exception_fp_ieee_underflow 0
		.amdhsa_exception_fp_ieee_inexact 0
		.amdhsa_exception_int_div_zero 0
	.end_amdhsa_kernel
	.section	.text._ZN9rocsparseL19gebsrmvn_2xn_kernelILj128ELj8ELj16EdEEvi20rocsparse_direction_NS_24const_host_device_scalarIT2_EEPKiS6_PKS3_S8_S4_PS3_21rocsparse_index_base_b,"axG",@progbits,_ZN9rocsparseL19gebsrmvn_2xn_kernelILj128ELj8ELj16EdEEvi20rocsparse_direction_NS_24const_host_device_scalarIT2_EEPKiS6_PKS3_S8_S4_PS3_21rocsparse_index_base_b,comdat
.Lfunc_end108:
	.size	_ZN9rocsparseL19gebsrmvn_2xn_kernelILj128ELj8ELj16EdEEvi20rocsparse_direction_NS_24const_host_device_scalarIT2_EEPKiS6_PKS3_S8_S4_PS3_21rocsparse_index_base_b, .Lfunc_end108-_ZN9rocsparseL19gebsrmvn_2xn_kernelILj128ELj8ELj16EdEEvi20rocsparse_direction_NS_24const_host_device_scalarIT2_EEPKiS6_PKS3_S8_S4_PS3_21rocsparse_index_base_b
                                        ; -- End function
	.set _ZN9rocsparseL19gebsrmvn_2xn_kernelILj128ELj8ELj16EdEEvi20rocsparse_direction_NS_24const_host_device_scalarIT2_EEPKiS6_PKS3_S8_S4_PS3_21rocsparse_index_base_b.num_vgpr, 68
	.set _ZN9rocsparseL19gebsrmvn_2xn_kernelILj128ELj8ELj16EdEEvi20rocsparse_direction_NS_24const_host_device_scalarIT2_EEPKiS6_PKS3_S8_S4_PS3_21rocsparse_index_base_b.num_agpr, 0
	.set _ZN9rocsparseL19gebsrmvn_2xn_kernelILj128ELj8ELj16EdEEvi20rocsparse_direction_NS_24const_host_device_scalarIT2_EEPKiS6_PKS3_S8_S4_PS3_21rocsparse_index_base_b.numbered_sgpr, 14
	.set _ZN9rocsparseL19gebsrmvn_2xn_kernelILj128ELj8ELj16EdEEvi20rocsparse_direction_NS_24const_host_device_scalarIT2_EEPKiS6_PKS3_S8_S4_PS3_21rocsparse_index_base_b.num_named_barrier, 0
	.set _ZN9rocsparseL19gebsrmvn_2xn_kernelILj128ELj8ELj16EdEEvi20rocsparse_direction_NS_24const_host_device_scalarIT2_EEPKiS6_PKS3_S8_S4_PS3_21rocsparse_index_base_b.private_seg_size, 0
	.set _ZN9rocsparseL19gebsrmvn_2xn_kernelILj128ELj8ELj16EdEEvi20rocsparse_direction_NS_24const_host_device_scalarIT2_EEPKiS6_PKS3_S8_S4_PS3_21rocsparse_index_base_b.uses_vcc, 1
	.set _ZN9rocsparseL19gebsrmvn_2xn_kernelILj128ELj8ELj16EdEEvi20rocsparse_direction_NS_24const_host_device_scalarIT2_EEPKiS6_PKS3_S8_S4_PS3_21rocsparse_index_base_b.uses_flat_scratch, 0
	.set _ZN9rocsparseL19gebsrmvn_2xn_kernelILj128ELj8ELj16EdEEvi20rocsparse_direction_NS_24const_host_device_scalarIT2_EEPKiS6_PKS3_S8_S4_PS3_21rocsparse_index_base_b.has_dyn_sized_stack, 0
	.set _ZN9rocsparseL19gebsrmvn_2xn_kernelILj128ELj8ELj16EdEEvi20rocsparse_direction_NS_24const_host_device_scalarIT2_EEPKiS6_PKS3_S8_S4_PS3_21rocsparse_index_base_b.has_recursion, 0
	.set _ZN9rocsparseL19gebsrmvn_2xn_kernelILj128ELj8ELj16EdEEvi20rocsparse_direction_NS_24const_host_device_scalarIT2_EEPKiS6_PKS3_S8_S4_PS3_21rocsparse_index_base_b.has_indirect_call, 0
	.section	.AMDGPU.csdata,"",@progbits
; Kernel info:
; codeLenInByte = 1592
; TotalNumSgprs: 16
; NumVgprs: 68
; ScratchSize: 0
; MemoryBound: 1
; FloatMode: 240
; IeeeMode: 1
; LDSByteSize: 0 bytes/workgroup (compile time only)
; SGPRBlocks: 0
; VGPRBlocks: 4
; NumSGPRsForWavesPerEU: 16
; NumVGPRsForWavesPerEU: 68
; NamedBarCnt: 0
; Occupancy: 12
; WaveLimiterHint : 1
; COMPUTE_PGM_RSRC2:SCRATCH_EN: 0
; COMPUTE_PGM_RSRC2:USER_SGPR: 2
; COMPUTE_PGM_RSRC2:TRAP_HANDLER: 0
; COMPUTE_PGM_RSRC2:TGID_X_EN: 1
; COMPUTE_PGM_RSRC2:TGID_Y_EN: 0
; COMPUTE_PGM_RSRC2:TGID_Z_EN: 0
; COMPUTE_PGM_RSRC2:TIDIG_COMP_CNT: 0
	.section	.text._ZN9rocsparseL19gebsrmvn_2xn_kernelILj128ELj8ELj32EdEEvi20rocsparse_direction_NS_24const_host_device_scalarIT2_EEPKiS6_PKS3_S8_S4_PS3_21rocsparse_index_base_b,"axG",@progbits,_ZN9rocsparseL19gebsrmvn_2xn_kernelILj128ELj8ELj32EdEEvi20rocsparse_direction_NS_24const_host_device_scalarIT2_EEPKiS6_PKS3_S8_S4_PS3_21rocsparse_index_base_b,comdat
	.globl	_ZN9rocsparseL19gebsrmvn_2xn_kernelILj128ELj8ELj32EdEEvi20rocsparse_direction_NS_24const_host_device_scalarIT2_EEPKiS6_PKS3_S8_S4_PS3_21rocsparse_index_base_b ; -- Begin function _ZN9rocsparseL19gebsrmvn_2xn_kernelILj128ELj8ELj32EdEEvi20rocsparse_direction_NS_24const_host_device_scalarIT2_EEPKiS6_PKS3_S8_S4_PS3_21rocsparse_index_base_b
	.p2align	8
	.type	_ZN9rocsparseL19gebsrmvn_2xn_kernelILj128ELj8ELj32EdEEvi20rocsparse_direction_NS_24const_host_device_scalarIT2_EEPKiS6_PKS3_S8_S4_PS3_21rocsparse_index_base_b,@function
_ZN9rocsparseL19gebsrmvn_2xn_kernelILj128ELj8ELj32EdEEvi20rocsparse_direction_NS_24const_host_device_scalarIT2_EEPKiS6_PKS3_S8_S4_PS3_21rocsparse_index_base_b: ; @_ZN9rocsparseL19gebsrmvn_2xn_kernelILj128ELj8ELj32EdEEvi20rocsparse_direction_NS_24const_host_device_scalarIT2_EEPKiS6_PKS3_S8_S4_PS3_21rocsparse_index_base_b
; %bb.0:
	s_clause 0x2
	s_load_b64 s[12:13], s[0:1], 0x40
	s_load_b64 s[4:5], s[0:1], 0x8
	;; [unrolled: 1-line block ×3, first 2 shown]
	s_wait_kmcnt 0x0
	s_bitcmp1_b32 s13, 0
	v_mov_b64_e32 v[2:3], s[4:5]
	s_cselect_b32 s6, -1, 0
	s_delay_alu instid0(SALU_CYCLE_1)
	s_and_b32 vcc_lo, exec_lo, s6
	s_xor_b32 s6, s6, -1
	s_cbranch_vccnz .LBB109_2
; %bb.1:
	v_mov_b32_e32 v1, 0
	flat_load_b64 v[2:3], v1, s[4:5]
.LBB109_2:
	v_mov_b64_e32 v[4:5], s[2:3]
	s_and_not1_b32 vcc_lo, exec_lo, s6
	s_cbranch_vccnz .LBB109_4
; %bb.3:
	s_wait_xcnt 0x0
	v_mov_b32_e32 v1, 0
	flat_load_b64 v[4:5], v1, s[2:3]
.LBB109_4:
	s_wait_loadcnt_dscnt 0x0
	v_cmp_neq_f64_e32 vcc_lo, 0, v[2:3]
	s_delay_alu instid0(VALU_DEP_2) | instskip(SKIP_1) | instid1(SALU_CYCLE_1)
	v_cmp_neq_f64_e64 s2, 1.0, v[4:5]
	s_or_b32 s2, vcc_lo, s2
	s_and_saveexec_b32 s3, s2
	s_cbranch_execz .LBB109_23
; %bb.5:
	s_load_b64 s[2:3], s[0:1], 0x0
	s_bfe_u32 s4, ttmp6, 0x4000c
	s_and_b32 s5, ttmp6, 15
	s_add_co_i32 s4, s4, 1
	s_getreg_b32 s6, hwreg(HW_REG_IB_STS2, 6, 4)
	s_mul_i32 s4, ttmp9, s4
	v_lshrrev_b32_e32 v1, 5, v0
	s_add_co_i32 s5, s5, s4
	s_cmp_eq_u32 s6, 0
	s_cselect_b32 s4, ttmp9, s5
	s_delay_alu instid0(VALU_DEP_1) | instid1(SALU_CYCLE_1)
	v_lshl_or_b32 v6, s4, 2, v1
	s_wait_kmcnt 0x0
	s_delay_alu instid0(VALU_DEP_1)
	v_cmp_gt_i32_e32 vcc_lo, s2, v6
	s_and_b32 exec_lo, exec_lo, vcc_lo
	s_cbranch_execz .LBB109_23
; %bb.6:
	s_load_b256 s[4:11], s[0:1], 0x10
	v_ashrrev_i32_e32 v7, 31, v6
	s_cmp_lg_u32 s3, 0
	s_wait_kmcnt 0x0
	s_delay_alu instid0(VALU_DEP_1)
	v_lshl_add_u64 v[8:9], v[6:7], 2, s[4:5]
	v_and_b32_e32 v7, 31, v0
	global_load_b64 v[8:9], v[8:9], off
	s_wait_loadcnt 0x0
	v_subrev_nc_u32_e32 v0, s12, v8
	v_subrev_nc_u32_e32 v12, s12, v9
	s_delay_alu instid0(VALU_DEP_2) | instskip(NEXT) | instid1(VALU_DEP_1)
	v_add_nc_u32_e32 v13, v0, v7
	v_cmp_lt_i32_e64 s2, v13, v12
	s_cbranch_scc0 .LBB109_12
; %bb.7:
	v_mov_b64_e32 v[0:1], 0
	v_mov_b64_e32 v[8:9], 0
	s_and_saveexec_b32 s3, s2
	s_cbranch_execz .LBB109_11
; %bb.8:
	v_mov_b64_e32 v[0:1], 0
	v_mov_b64_e32 v[8:9], 0
	v_dual_mov_b32 v11, 0 :: v_dual_lshlrev_b32 v10, 4, v13
	v_mov_b32_e32 v14, v13
	s_mov_b32 s4, 0
.LBB109_9:                              ; =>This Inner Loop Header: Depth=1
	global_load_b32 v15, v14, s[6:7] scale_offset
	v_lshl_add_u64 v[64:65], v[10:11], 3, s[8:9]
	s_wait_xcnt 0x0
	v_add_nc_u32_e32 v14, 32, v14
	v_add_nc_u32_e32 v10, 0x200, v10
	s_delay_alu instid0(VALU_DEP_2) | instskip(SKIP_3) | instid1(VALU_DEP_1)
	v_cmp_ge_i32_e32 vcc_lo, v14, v12
	s_or_b32 s4, vcc_lo, s4
	s_wait_loadcnt 0x0
	v_subrev_nc_u32_e32 v15, s12, v15
	v_dual_mov_b32 v17, v11 :: v_dual_lshlrev_b32 v16, 3, v15
	s_delay_alu instid0(VALU_DEP_1)
	v_lshl_add_u64 v[66:67], v[16:17], 3, s[10:11]
	s_clause 0x1
	global_load_b128 v[16:19], v[64:65], off offset:16
	global_load_b128 v[20:23], v[64:65], off
	s_clause 0x1
	global_load_b128 v[24:27], v[66:67], off
	global_load_b128 v[28:31], v[66:67], off offset:16
	s_clause 0x3
	global_load_b128 v[32:35], v[64:65], off offset:32
	global_load_b128 v[36:39], v[64:65], off offset:48
	;; [unrolled: 1-line block ×4, first 2 shown]
	s_clause 0x1
	global_load_b128 v[48:51], v[66:67], off offset:32
	global_load_b128 v[52:55], v[66:67], off offset:48
	s_clause 0x1
	global_load_b128 v[56:59], v[64:65], off offset:96
	global_load_b128 v[60:63], v[64:65], off offset:112
	s_wait_loadcnt 0x9
	v_fmac_f64_e32 v[0:1], v[20:21], v[24:25]
	v_fmac_f64_e32 v[8:9], v[22:23], v[24:25]
	s_delay_alu instid0(VALU_DEP_2) | instskip(NEXT) | instid1(VALU_DEP_2)
	v_fmac_f64_e32 v[0:1], v[16:17], v[26:27]
	v_fmac_f64_e32 v[8:9], v[18:19], v[26:27]
	s_wait_loadcnt 0x7
	s_delay_alu instid0(VALU_DEP_2) | instskip(NEXT) | instid1(VALU_DEP_2)
	v_fmac_f64_e32 v[0:1], v[32:33], v[28:29]
	v_fmac_f64_e32 v[8:9], v[34:35], v[28:29]
	s_wait_loadcnt 0x6
	;; [unrolled: 4-line block ×3, first 2 shown]
	s_delay_alu instid0(VALU_DEP_2) | instskip(NEXT) | instid1(VALU_DEP_2)
	v_fmac_f64_e32 v[0:1], v[44:45], v[48:49]
	v_fmac_f64_e32 v[8:9], v[46:47], v[48:49]
	s_delay_alu instid0(VALU_DEP_2) | instskip(NEXT) | instid1(VALU_DEP_2)
	v_fmac_f64_e32 v[0:1], v[40:41], v[50:51]
	v_fmac_f64_e32 v[8:9], v[42:43], v[50:51]
	s_wait_loadcnt 0x1
	s_delay_alu instid0(VALU_DEP_2) | instskip(NEXT) | instid1(VALU_DEP_2)
	v_fmac_f64_e32 v[0:1], v[56:57], v[52:53]
	v_fmac_f64_e32 v[8:9], v[58:59], v[52:53]
	s_wait_loadcnt 0x0
	s_delay_alu instid0(VALU_DEP_2) | instskip(NEXT) | instid1(VALU_DEP_2)
	v_fmac_f64_e32 v[0:1], v[60:61], v[54:55]
	v_fmac_f64_e32 v[8:9], v[62:63], v[54:55]
	s_and_not1_b32 exec_lo, exec_lo, s4
	s_cbranch_execnz .LBB109_9
; %bb.10:
	s_or_b32 exec_lo, exec_lo, s4
.LBB109_11:
	s_delay_alu instid0(SALU_CYCLE_1)
	s_or_b32 exec_lo, exec_lo, s3
	s_cbranch_execz .LBB109_13
	s_branch .LBB109_18
.LBB109_12:
                                        ; implicit-def: $vgpr0_vgpr1
                                        ; implicit-def: $vgpr8_vgpr9
.LBB109_13:
	v_mov_b64_e32 v[0:1], 0
	v_mov_b64_e32 v[8:9], 0
	s_and_saveexec_b32 s3, s2
	s_cbranch_execz .LBB109_17
; %bb.14:
	v_mov_b64_e32 v[0:1], 0
	v_mov_b64_e32 v[8:9], 0
	v_dual_mov_b32 v11, 0 :: v_dual_lshlrev_b32 v10, 4, v13
	s_mov_b32 s2, 0
.LBB109_15:                             ; =>This Inner Loop Header: Depth=1
	global_load_b32 v14, v13, s[6:7] scale_offset
	v_lshl_add_u64 v[62:63], v[10:11], 3, s[8:9]
	s_wait_xcnt 0x0
	v_add_nc_u32_e32 v13, 32, v13
	v_add_nc_u32_e32 v10, 0x200, v10
	s_delay_alu instid0(VALU_DEP_2) | instskip(SKIP_3) | instid1(VALU_DEP_1)
	v_cmp_ge_i32_e32 vcc_lo, v13, v12
	s_or_b32 s2, vcc_lo, s2
	s_wait_loadcnt 0x0
	v_subrev_nc_u32_e32 v14, s12, v14
	v_dual_mov_b32 v19, v11 :: v_dual_lshlrev_b32 v18, 3, v14
	global_load_b128 v[14:17], v[62:63], off offset:16
	v_lshl_add_u64 v[64:65], v[18:19], 3, s[10:11]
	s_clause 0x2
	global_load_b128 v[18:21], v[62:63], off
	global_load_b128 v[22:25], v[62:63], off offset:80
	global_load_b128 v[26:29], v[62:63], off offset:64
	s_clause 0x1
	global_load_b128 v[30:33], v[64:65], off
	global_load_b128 v[34:37], v[64:65], off offset:16
	s_clause 0x3
	global_load_b128 v[38:41], v[62:63], off offset:48
	global_load_b128 v[42:45], v[62:63], off offset:32
	;; [unrolled: 1-line block ×4, first 2 shown]
	s_clause 0x1
	global_load_b128 v[54:57], v[64:65], off offset:32
	global_load_b128 v[58:61], v[64:65], off offset:48
	s_wait_loadcnt 0x7
	v_fmac_f64_e32 v[0:1], v[18:19], v[30:31]
	v_fmac_f64_e32 v[8:9], v[26:27], v[30:31]
	s_delay_alu instid0(VALU_DEP_2) | instskip(NEXT) | instid1(VALU_DEP_2)
	v_fmac_f64_e32 v[0:1], v[20:21], v[32:33]
	v_fmac_f64_e32 v[8:9], v[28:29], v[32:33]
	s_wait_loadcnt 0x6
	s_delay_alu instid0(VALU_DEP_2) | instskip(NEXT) | instid1(VALU_DEP_2)
	v_fmac_f64_e32 v[0:1], v[14:15], v[34:35]
	v_fmac_f64_e32 v[8:9], v[22:23], v[34:35]
	s_delay_alu instid0(VALU_DEP_2) | instskip(NEXT) | instid1(VALU_DEP_2)
	v_fmac_f64_e32 v[0:1], v[16:17], v[36:37]
	v_fmac_f64_e32 v[8:9], v[24:25], v[36:37]
	s_wait_loadcnt 0x1
	s_delay_alu instid0(VALU_DEP_2) | instskip(NEXT) | instid1(VALU_DEP_2)
	;; [unrolled: 7-line block ×3, first 2 shown]
	v_fmac_f64_e32 v[0:1], v[38:39], v[58:59]
	v_fmac_f64_e32 v[8:9], v[46:47], v[58:59]
	s_delay_alu instid0(VALU_DEP_2) | instskip(NEXT) | instid1(VALU_DEP_2)
	v_fmac_f64_e32 v[0:1], v[40:41], v[60:61]
	v_fmac_f64_e32 v[8:9], v[48:49], v[60:61]
	s_and_not1_b32 exec_lo, exec_lo, s2
	s_cbranch_execnz .LBB109_15
; %bb.16:
	s_or_b32 exec_lo, exec_lo, s2
.LBB109_17:
	s_delay_alu instid0(SALU_CYCLE_1)
	s_or_b32 exec_lo, exec_lo, s3
.LBB109_18:
	v_mbcnt_lo_u32_b32 v14, -1, 0
	s_delay_alu instid0(VALU_DEP_1) | instskip(NEXT) | instid1(VALU_DEP_1)
	v_xor_b32_e32 v10, 16, v14
	v_cmp_gt_i32_e32 vcc_lo, 32, v10
	v_cndmask_b32_e32 v10, v14, v10, vcc_lo
	s_delay_alu instid0(VALU_DEP_1)
	v_lshlrev_b32_e32 v13, 2, v10
	ds_bpermute_b32 v10, v13, v0
	ds_bpermute_b32 v11, v13, v1
	s_wait_dscnt 0x0
	v_add_f64_e32 v[0:1], v[0:1], v[10:11]
	v_xor_b32_e32 v10, 8, v14
	s_delay_alu instid0(VALU_DEP_1)
	v_cmp_gt_i32_e32 vcc_lo, 32, v10
	v_cndmask_b32_e32 v10, v14, v10, vcc_lo
	ds_bpermute_b32 v12, v13, v8
	ds_bpermute_b32 v13, v13, v9
	s_wait_dscnt 0x0
	v_dual_add_f64 v[8:9], v[8:9], v[12:13] :: v_dual_lshlrev_b32 v13, 2, v10
	ds_bpermute_b32 v10, v13, v0
	ds_bpermute_b32 v11, v13, v1
	s_wait_dscnt 0x0
	v_add_f64_e32 v[0:1], v[0:1], v[10:11]
	v_xor_b32_e32 v10, 4, v14
	s_delay_alu instid0(VALU_DEP_1)
	v_cmp_gt_i32_e32 vcc_lo, 32, v10
	v_cndmask_b32_e32 v10, v14, v10, vcc_lo
	ds_bpermute_b32 v12, v13, v8
	ds_bpermute_b32 v13, v13, v9
	s_wait_dscnt 0x0
	v_dual_add_f64 v[8:9], v[8:9], v[12:13] :: v_dual_lshlrev_b32 v13, 2, v10
	ds_bpermute_b32 v10, v13, v0
	ds_bpermute_b32 v11, v13, v1
	s_wait_dscnt 0x0
	v_add_f64_e32 v[0:1], v[0:1], v[10:11]
	v_xor_b32_e32 v10, 2, v14
	s_delay_alu instid0(VALU_DEP_1)
	v_cmp_gt_i32_e32 vcc_lo, 32, v10
	v_cndmask_b32_e32 v10, v14, v10, vcc_lo
	ds_bpermute_b32 v12, v13, v8
	ds_bpermute_b32 v13, v13, v9
	s_wait_dscnt 0x0
	v_dual_add_f64 v[8:9], v[8:9], v[12:13] :: v_dual_lshlrev_b32 v13, 2, v10
	ds_bpermute_b32 v10, v13, v0
	ds_bpermute_b32 v11, v13, v1
	s_wait_dscnt 0x0
	v_add_f64_e32 v[0:1], v[0:1], v[10:11]
	ds_bpermute_b32 v12, v13, v8
	ds_bpermute_b32 v13, v13, v9
	s_wait_dscnt 0x0
	v_dual_add_f64 v[10:11], v[8:9], v[12:13] :: v_dual_bitop2_b32 v8, 1, v14 bitop3:0x14
	s_delay_alu instid0(VALU_DEP_1) | instskip(SKIP_2) | instid1(VALU_DEP_2)
	v_cmp_gt_i32_e32 vcc_lo, 32, v8
	v_cndmask_b32_e32 v8, v14, v8, vcc_lo
	v_cmp_eq_u32_e32 vcc_lo, 31, v7
	v_lshlrev_b32_e32 v13, 2, v8
	ds_bpermute_b32 v8, v13, v0
	ds_bpermute_b32 v9, v13, v1
	;; [unrolled: 1-line block ×4, first 2 shown]
	s_and_b32 exec_lo, exec_lo, vcc_lo
	s_cbranch_execz .LBB109_23
; %bb.19:
	s_wait_dscnt 0x2
	v_add_f64_e32 v[8:9], v[0:1], v[8:9]
	s_wait_dscnt 0x0
	v_add_f64_e32 v[0:1], v[10:11], v[12:13]
	s_load_b64 s[0:1], s[0:1], 0x38
	s_mov_b32 s2, exec_lo
	v_cmpx_eq_f64_e32 0, v[4:5]
	s_xor_b32 s2, exec_lo, s2
	s_cbranch_execz .LBB109_21
; %bb.20:
	s_delay_alu instid0(VALU_DEP_3) | instskip(NEXT) | instid1(VALU_DEP_3)
	v_mul_f64_e32 v[8:9], v[2:3], v[8:9]
	v_dual_mul_f64 v[10:11], v[2:3], v[0:1] :: v_dual_lshlrev_b32 v0, 1, v6
                                        ; implicit-def: $vgpr6
                                        ; implicit-def: $vgpr2_vgpr3
                                        ; implicit-def: $vgpr4_vgpr5
	s_delay_alu instid0(VALU_DEP_1) | instskip(SKIP_1) | instid1(VALU_DEP_1)
	v_ashrrev_i32_e32 v1, 31, v0
	s_wait_kmcnt 0x0
	v_lshl_add_u64 v[0:1], v[0:1], 3, s[0:1]
	global_store_b128 v[0:1], v[8:11], off
                                        ; implicit-def: $vgpr8_vgpr9
                                        ; implicit-def: $vgpr0_vgpr1
.LBB109_21:
	s_wait_xcnt 0x0
	s_and_not1_saveexec_b32 s2, s2
	s_cbranch_execz .LBB109_23
; %bb.22:
	v_lshlrev_b32_e32 v6, 1, v6
	s_delay_alu instid0(VALU_DEP_1) | instskip(SKIP_1) | instid1(VALU_DEP_1)
	v_ashrrev_i32_e32 v7, 31, v6
	s_wait_kmcnt 0x0
	v_lshl_add_u64 v[14:15], v[6:7], 3, s[0:1]
	v_mul_f64_e32 v[6:7], v[2:3], v[8:9]
	v_mul_f64_e32 v[8:9], v[2:3], v[0:1]
	global_load_b128 v[10:13], v[14:15], off
	s_wait_loadcnt 0x0
	v_fmac_f64_e32 v[6:7], v[4:5], v[10:11]
	v_fmac_f64_e32 v[8:9], v[4:5], v[12:13]
	global_store_b128 v[14:15], v[6:9], off
.LBB109_23:
	s_sendmsg sendmsg(MSG_DEALLOC_VGPRS)
	s_endpgm
	.section	.rodata,"a",@progbits
	.p2align	6, 0x0
	.amdhsa_kernel _ZN9rocsparseL19gebsrmvn_2xn_kernelILj128ELj8ELj32EdEEvi20rocsparse_direction_NS_24const_host_device_scalarIT2_EEPKiS6_PKS3_S8_S4_PS3_21rocsparse_index_base_b
		.amdhsa_group_segment_fixed_size 0
		.amdhsa_private_segment_fixed_size 0
		.amdhsa_kernarg_size 72
		.amdhsa_user_sgpr_count 2
		.amdhsa_user_sgpr_dispatch_ptr 0
		.amdhsa_user_sgpr_queue_ptr 0
		.amdhsa_user_sgpr_kernarg_segment_ptr 1
		.amdhsa_user_sgpr_dispatch_id 0
		.amdhsa_user_sgpr_kernarg_preload_length 0
		.amdhsa_user_sgpr_kernarg_preload_offset 0
		.amdhsa_user_sgpr_private_segment_size 0
		.amdhsa_wavefront_size32 1
		.amdhsa_uses_dynamic_stack 0
		.amdhsa_enable_private_segment 0
		.amdhsa_system_sgpr_workgroup_id_x 1
		.amdhsa_system_sgpr_workgroup_id_y 0
		.amdhsa_system_sgpr_workgroup_id_z 0
		.amdhsa_system_sgpr_workgroup_info 0
		.amdhsa_system_vgpr_workitem_id 0
		.amdhsa_next_free_vgpr 68
		.amdhsa_next_free_sgpr 14
		.amdhsa_named_barrier_count 0
		.amdhsa_reserve_vcc 1
		.amdhsa_float_round_mode_32 0
		.amdhsa_float_round_mode_16_64 0
		.amdhsa_float_denorm_mode_32 3
		.amdhsa_float_denorm_mode_16_64 3
		.amdhsa_fp16_overflow 0
		.amdhsa_memory_ordered 1
		.amdhsa_forward_progress 1
		.amdhsa_inst_pref_size 13
		.amdhsa_round_robin_scheduling 0
		.amdhsa_exception_fp_ieee_invalid_op 0
		.amdhsa_exception_fp_denorm_src 0
		.amdhsa_exception_fp_ieee_div_zero 0
		.amdhsa_exception_fp_ieee_overflow 0
		.amdhsa_exception_fp_ieee_underflow 0
		.amdhsa_exception_fp_ieee_inexact 0
		.amdhsa_exception_int_div_zero 0
	.end_amdhsa_kernel
	.section	.text._ZN9rocsparseL19gebsrmvn_2xn_kernelILj128ELj8ELj32EdEEvi20rocsparse_direction_NS_24const_host_device_scalarIT2_EEPKiS6_PKS3_S8_S4_PS3_21rocsparse_index_base_b,"axG",@progbits,_ZN9rocsparseL19gebsrmvn_2xn_kernelILj128ELj8ELj32EdEEvi20rocsparse_direction_NS_24const_host_device_scalarIT2_EEPKiS6_PKS3_S8_S4_PS3_21rocsparse_index_base_b,comdat
.Lfunc_end109:
	.size	_ZN9rocsparseL19gebsrmvn_2xn_kernelILj128ELj8ELj32EdEEvi20rocsparse_direction_NS_24const_host_device_scalarIT2_EEPKiS6_PKS3_S8_S4_PS3_21rocsparse_index_base_b, .Lfunc_end109-_ZN9rocsparseL19gebsrmvn_2xn_kernelILj128ELj8ELj32EdEEvi20rocsparse_direction_NS_24const_host_device_scalarIT2_EEPKiS6_PKS3_S8_S4_PS3_21rocsparse_index_base_b
                                        ; -- End function
	.set _ZN9rocsparseL19gebsrmvn_2xn_kernelILj128ELj8ELj32EdEEvi20rocsparse_direction_NS_24const_host_device_scalarIT2_EEPKiS6_PKS3_S8_S4_PS3_21rocsparse_index_base_b.num_vgpr, 68
	.set _ZN9rocsparseL19gebsrmvn_2xn_kernelILj128ELj8ELj32EdEEvi20rocsparse_direction_NS_24const_host_device_scalarIT2_EEPKiS6_PKS3_S8_S4_PS3_21rocsparse_index_base_b.num_agpr, 0
	.set _ZN9rocsparseL19gebsrmvn_2xn_kernelILj128ELj8ELj32EdEEvi20rocsparse_direction_NS_24const_host_device_scalarIT2_EEPKiS6_PKS3_S8_S4_PS3_21rocsparse_index_base_b.numbered_sgpr, 14
	.set _ZN9rocsparseL19gebsrmvn_2xn_kernelILj128ELj8ELj32EdEEvi20rocsparse_direction_NS_24const_host_device_scalarIT2_EEPKiS6_PKS3_S8_S4_PS3_21rocsparse_index_base_b.num_named_barrier, 0
	.set _ZN9rocsparseL19gebsrmvn_2xn_kernelILj128ELj8ELj32EdEEvi20rocsparse_direction_NS_24const_host_device_scalarIT2_EEPKiS6_PKS3_S8_S4_PS3_21rocsparse_index_base_b.private_seg_size, 0
	.set _ZN9rocsparseL19gebsrmvn_2xn_kernelILj128ELj8ELj32EdEEvi20rocsparse_direction_NS_24const_host_device_scalarIT2_EEPKiS6_PKS3_S8_S4_PS3_21rocsparse_index_base_b.uses_vcc, 1
	.set _ZN9rocsparseL19gebsrmvn_2xn_kernelILj128ELj8ELj32EdEEvi20rocsparse_direction_NS_24const_host_device_scalarIT2_EEPKiS6_PKS3_S8_S4_PS3_21rocsparse_index_base_b.uses_flat_scratch, 0
	.set _ZN9rocsparseL19gebsrmvn_2xn_kernelILj128ELj8ELj32EdEEvi20rocsparse_direction_NS_24const_host_device_scalarIT2_EEPKiS6_PKS3_S8_S4_PS3_21rocsparse_index_base_b.has_dyn_sized_stack, 0
	.set _ZN9rocsparseL19gebsrmvn_2xn_kernelILj128ELj8ELj32EdEEvi20rocsparse_direction_NS_24const_host_device_scalarIT2_EEPKiS6_PKS3_S8_S4_PS3_21rocsparse_index_base_b.has_recursion, 0
	.set _ZN9rocsparseL19gebsrmvn_2xn_kernelILj128ELj8ELj32EdEEvi20rocsparse_direction_NS_24const_host_device_scalarIT2_EEPKiS6_PKS3_S8_S4_PS3_21rocsparse_index_base_b.has_indirect_call, 0
	.section	.AMDGPU.csdata,"",@progbits
; Kernel info:
; codeLenInByte = 1664
; TotalNumSgprs: 16
; NumVgprs: 68
; ScratchSize: 0
; MemoryBound: 1
; FloatMode: 240
; IeeeMode: 1
; LDSByteSize: 0 bytes/workgroup (compile time only)
; SGPRBlocks: 0
; VGPRBlocks: 4
; NumSGPRsForWavesPerEU: 16
; NumVGPRsForWavesPerEU: 68
; NamedBarCnt: 0
; Occupancy: 12
; WaveLimiterHint : 1
; COMPUTE_PGM_RSRC2:SCRATCH_EN: 0
; COMPUTE_PGM_RSRC2:USER_SGPR: 2
; COMPUTE_PGM_RSRC2:TRAP_HANDLER: 0
; COMPUTE_PGM_RSRC2:TGID_X_EN: 1
; COMPUTE_PGM_RSRC2:TGID_Y_EN: 0
; COMPUTE_PGM_RSRC2:TGID_Z_EN: 0
; COMPUTE_PGM_RSRC2:TIDIG_COMP_CNT: 0
	.section	.text._ZN9rocsparseL19gebsrmvn_2xn_kernelILj128ELj8ELj64EdEEvi20rocsparse_direction_NS_24const_host_device_scalarIT2_EEPKiS6_PKS3_S8_S4_PS3_21rocsparse_index_base_b,"axG",@progbits,_ZN9rocsparseL19gebsrmvn_2xn_kernelILj128ELj8ELj64EdEEvi20rocsparse_direction_NS_24const_host_device_scalarIT2_EEPKiS6_PKS3_S8_S4_PS3_21rocsparse_index_base_b,comdat
	.globl	_ZN9rocsparseL19gebsrmvn_2xn_kernelILj128ELj8ELj64EdEEvi20rocsparse_direction_NS_24const_host_device_scalarIT2_EEPKiS6_PKS3_S8_S4_PS3_21rocsparse_index_base_b ; -- Begin function _ZN9rocsparseL19gebsrmvn_2xn_kernelILj128ELj8ELj64EdEEvi20rocsparse_direction_NS_24const_host_device_scalarIT2_EEPKiS6_PKS3_S8_S4_PS3_21rocsparse_index_base_b
	.p2align	8
	.type	_ZN9rocsparseL19gebsrmvn_2xn_kernelILj128ELj8ELj64EdEEvi20rocsparse_direction_NS_24const_host_device_scalarIT2_EEPKiS6_PKS3_S8_S4_PS3_21rocsparse_index_base_b,@function
_ZN9rocsparseL19gebsrmvn_2xn_kernelILj128ELj8ELj64EdEEvi20rocsparse_direction_NS_24const_host_device_scalarIT2_EEPKiS6_PKS3_S8_S4_PS3_21rocsparse_index_base_b: ; @_ZN9rocsparseL19gebsrmvn_2xn_kernelILj128ELj8ELj64EdEEvi20rocsparse_direction_NS_24const_host_device_scalarIT2_EEPKiS6_PKS3_S8_S4_PS3_21rocsparse_index_base_b
; %bb.0:
	s_clause 0x2
	s_load_b64 s[12:13], s[0:1], 0x40
	s_load_b64 s[4:5], s[0:1], 0x8
	;; [unrolled: 1-line block ×3, first 2 shown]
	s_wait_kmcnt 0x0
	s_bitcmp1_b32 s13, 0
	v_mov_b64_e32 v[2:3], s[4:5]
	s_cselect_b32 s6, -1, 0
	s_delay_alu instid0(SALU_CYCLE_1)
	s_and_b32 vcc_lo, exec_lo, s6
	s_xor_b32 s6, s6, -1
	s_cbranch_vccnz .LBB110_2
; %bb.1:
	v_mov_b32_e32 v1, 0
	flat_load_b64 v[2:3], v1, s[4:5]
.LBB110_2:
	v_mov_b64_e32 v[4:5], s[2:3]
	s_and_not1_b32 vcc_lo, exec_lo, s6
	s_cbranch_vccnz .LBB110_4
; %bb.3:
	s_wait_xcnt 0x0
	v_mov_b32_e32 v1, 0
	flat_load_b64 v[4:5], v1, s[2:3]
.LBB110_4:
	s_wait_loadcnt_dscnt 0x0
	v_cmp_neq_f64_e32 vcc_lo, 0, v[2:3]
	s_delay_alu instid0(VALU_DEP_2) | instskip(SKIP_1) | instid1(SALU_CYCLE_1)
	v_cmp_neq_f64_e64 s2, 1.0, v[4:5]
	s_or_b32 s2, vcc_lo, s2
	s_and_saveexec_b32 s3, s2
	s_cbranch_execz .LBB110_23
; %bb.5:
	s_load_b64 s[2:3], s[0:1], 0x0
	s_bfe_u32 s4, ttmp6, 0x4000c
	s_and_b32 s5, ttmp6, 15
	s_add_co_i32 s4, s4, 1
	s_getreg_b32 s6, hwreg(HW_REG_IB_STS2, 6, 4)
	s_mul_i32 s4, ttmp9, s4
	v_lshrrev_b32_e32 v1, 6, v0
	s_add_co_i32 s5, s5, s4
	s_cmp_eq_u32 s6, 0
	s_cselect_b32 s4, ttmp9, s5
	s_delay_alu instid0(VALU_DEP_1) | instid1(SALU_CYCLE_1)
	v_lshl_or_b32 v6, s4, 1, v1
	s_wait_kmcnt 0x0
	s_delay_alu instid0(VALU_DEP_1)
	v_cmp_gt_i32_e32 vcc_lo, s2, v6
	s_and_b32 exec_lo, exec_lo, vcc_lo
	s_cbranch_execz .LBB110_23
; %bb.6:
	s_load_b256 s[4:11], s[0:1], 0x10
	v_ashrrev_i32_e32 v7, 31, v6
	s_cmp_lg_u32 s3, 0
	s_wait_kmcnt 0x0
	s_delay_alu instid0(VALU_DEP_1)
	v_lshl_add_u64 v[8:9], v[6:7], 2, s[4:5]
	v_and_b32_e32 v7, 63, v0
	global_load_b64 v[8:9], v[8:9], off
	s_wait_loadcnt 0x0
	v_subrev_nc_u32_e32 v0, s12, v8
	v_subrev_nc_u32_e32 v12, s12, v9
	s_delay_alu instid0(VALU_DEP_2) | instskip(NEXT) | instid1(VALU_DEP_1)
	v_add_nc_u32_e32 v13, v0, v7
	v_cmp_lt_i32_e64 s2, v13, v12
	s_cbranch_scc0 .LBB110_12
; %bb.7:
	v_mov_b64_e32 v[0:1], 0
	v_mov_b64_e32 v[8:9], 0
	s_and_saveexec_b32 s3, s2
	s_cbranch_execz .LBB110_11
; %bb.8:
	v_mov_b64_e32 v[0:1], 0
	v_mov_b64_e32 v[8:9], 0
	v_dual_mov_b32 v11, 0 :: v_dual_lshlrev_b32 v10, 4, v13
	v_mov_b32_e32 v14, v13
	s_mov_b32 s4, 0
.LBB110_9:                              ; =>This Inner Loop Header: Depth=1
	global_load_b32 v15, v14, s[6:7] scale_offset
	v_lshl_add_u64 v[64:65], v[10:11], 3, s[8:9]
	s_wait_xcnt 0x0
	v_add_nc_u32_e32 v14, 64, v14
	v_add_nc_u32_e32 v10, 0x400, v10
	s_delay_alu instid0(VALU_DEP_2) | instskip(SKIP_3) | instid1(VALU_DEP_1)
	v_cmp_ge_i32_e32 vcc_lo, v14, v12
	s_or_b32 s4, vcc_lo, s4
	s_wait_loadcnt 0x0
	v_subrev_nc_u32_e32 v15, s12, v15
	v_dual_mov_b32 v17, v11 :: v_dual_lshlrev_b32 v16, 3, v15
	s_delay_alu instid0(VALU_DEP_1)
	v_lshl_add_u64 v[66:67], v[16:17], 3, s[10:11]
	s_clause 0x1
	global_load_b128 v[16:19], v[64:65], off offset:16
	global_load_b128 v[20:23], v[64:65], off
	s_clause 0x1
	global_load_b128 v[24:27], v[66:67], off
	global_load_b128 v[28:31], v[66:67], off offset:16
	s_clause 0x3
	global_load_b128 v[32:35], v[64:65], off offset:32
	global_load_b128 v[36:39], v[64:65], off offset:48
	global_load_b128 v[40:43], v[64:65], off offset:80
	global_load_b128 v[44:47], v[64:65], off offset:64
	s_clause 0x1
	global_load_b128 v[48:51], v[66:67], off offset:32
	global_load_b128 v[52:55], v[66:67], off offset:48
	s_clause 0x1
	global_load_b128 v[56:59], v[64:65], off offset:96
	global_load_b128 v[60:63], v[64:65], off offset:112
	s_wait_loadcnt 0x9
	v_fmac_f64_e32 v[0:1], v[20:21], v[24:25]
	v_fmac_f64_e32 v[8:9], v[22:23], v[24:25]
	s_delay_alu instid0(VALU_DEP_2) | instskip(NEXT) | instid1(VALU_DEP_2)
	v_fmac_f64_e32 v[0:1], v[16:17], v[26:27]
	v_fmac_f64_e32 v[8:9], v[18:19], v[26:27]
	s_wait_loadcnt 0x7
	s_delay_alu instid0(VALU_DEP_2) | instskip(NEXT) | instid1(VALU_DEP_2)
	v_fmac_f64_e32 v[0:1], v[32:33], v[28:29]
	v_fmac_f64_e32 v[8:9], v[34:35], v[28:29]
	s_wait_loadcnt 0x6
	;; [unrolled: 4-line block ×3, first 2 shown]
	s_delay_alu instid0(VALU_DEP_2) | instskip(NEXT) | instid1(VALU_DEP_2)
	v_fmac_f64_e32 v[0:1], v[44:45], v[48:49]
	v_fmac_f64_e32 v[8:9], v[46:47], v[48:49]
	s_delay_alu instid0(VALU_DEP_2) | instskip(NEXT) | instid1(VALU_DEP_2)
	v_fmac_f64_e32 v[0:1], v[40:41], v[50:51]
	v_fmac_f64_e32 v[8:9], v[42:43], v[50:51]
	s_wait_loadcnt 0x1
	s_delay_alu instid0(VALU_DEP_2) | instskip(NEXT) | instid1(VALU_DEP_2)
	v_fmac_f64_e32 v[0:1], v[56:57], v[52:53]
	v_fmac_f64_e32 v[8:9], v[58:59], v[52:53]
	s_wait_loadcnt 0x0
	s_delay_alu instid0(VALU_DEP_2) | instskip(NEXT) | instid1(VALU_DEP_2)
	v_fmac_f64_e32 v[0:1], v[60:61], v[54:55]
	v_fmac_f64_e32 v[8:9], v[62:63], v[54:55]
	s_and_not1_b32 exec_lo, exec_lo, s4
	s_cbranch_execnz .LBB110_9
; %bb.10:
	s_or_b32 exec_lo, exec_lo, s4
.LBB110_11:
	s_delay_alu instid0(SALU_CYCLE_1)
	s_or_b32 exec_lo, exec_lo, s3
	s_cbranch_execz .LBB110_13
	s_branch .LBB110_18
.LBB110_12:
                                        ; implicit-def: $vgpr0_vgpr1
                                        ; implicit-def: $vgpr8_vgpr9
.LBB110_13:
	v_mov_b64_e32 v[0:1], 0
	v_mov_b64_e32 v[8:9], 0
	s_and_saveexec_b32 s3, s2
	s_cbranch_execz .LBB110_17
; %bb.14:
	v_mov_b64_e32 v[0:1], 0
	v_mov_b64_e32 v[8:9], 0
	v_dual_mov_b32 v11, 0 :: v_dual_lshlrev_b32 v10, 4, v13
	s_mov_b32 s2, 0
.LBB110_15:                             ; =>This Inner Loop Header: Depth=1
	global_load_b32 v14, v13, s[6:7] scale_offset
	v_lshl_add_u64 v[62:63], v[10:11], 3, s[8:9]
	s_wait_xcnt 0x0
	v_add_nc_u32_e32 v13, 64, v13
	v_add_nc_u32_e32 v10, 0x400, v10
	s_delay_alu instid0(VALU_DEP_2) | instskip(SKIP_3) | instid1(VALU_DEP_1)
	v_cmp_ge_i32_e32 vcc_lo, v13, v12
	s_or_b32 s2, vcc_lo, s2
	s_wait_loadcnt 0x0
	v_subrev_nc_u32_e32 v14, s12, v14
	v_dual_mov_b32 v19, v11 :: v_dual_lshlrev_b32 v18, 3, v14
	global_load_b128 v[14:17], v[62:63], off offset:16
	v_lshl_add_u64 v[64:65], v[18:19], 3, s[10:11]
	s_clause 0x2
	global_load_b128 v[18:21], v[62:63], off
	global_load_b128 v[22:25], v[62:63], off offset:80
	global_load_b128 v[26:29], v[62:63], off offset:64
	s_clause 0x1
	global_load_b128 v[30:33], v[64:65], off
	global_load_b128 v[34:37], v[64:65], off offset:16
	s_clause 0x3
	global_load_b128 v[38:41], v[62:63], off offset:48
	global_load_b128 v[42:45], v[62:63], off offset:32
	;; [unrolled: 1-line block ×4, first 2 shown]
	s_clause 0x1
	global_load_b128 v[54:57], v[64:65], off offset:32
	global_load_b128 v[58:61], v[64:65], off offset:48
	s_wait_loadcnt 0x7
	v_fmac_f64_e32 v[0:1], v[18:19], v[30:31]
	v_fmac_f64_e32 v[8:9], v[26:27], v[30:31]
	s_delay_alu instid0(VALU_DEP_2) | instskip(NEXT) | instid1(VALU_DEP_2)
	v_fmac_f64_e32 v[0:1], v[20:21], v[32:33]
	v_fmac_f64_e32 v[8:9], v[28:29], v[32:33]
	s_wait_loadcnt 0x6
	s_delay_alu instid0(VALU_DEP_2) | instskip(NEXT) | instid1(VALU_DEP_2)
	v_fmac_f64_e32 v[0:1], v[14:15], v[34:35]
	v_fmac_f64_e32 v[8:9], v[22:23], v[34:35]
	s_delay_alu instid0(VALU_DEP_2) | instskip(NEXT) | instid1(VALU_DEP_2)
	v_fmac_f64_e32 v[0:1], v[16:17], v[36:37]
	v_fmac_f64_e32 v[8:9], v[24:25], v[36:37]
	s_wait_loadcnt 0x1
	s_delay_alu instid0(VALU_DEP_2) | instskip(NEXT) | instid1(VALU_DEP_2)
	;; [unrolled: 7-line block ×3, first 2 shown]
	v_fmac_f64_e32 v[0:1], v[38:39], v[58:59]
	v_fmac_f64_e32 v[8:9], v[46:47], v[58:59]
	s_delay_alu instid0(VALU_DEP_2) | instskip(NEXT) | instid1(VALU_DEP_2)
	v_fmac_f64_e32 v[0:1], v[40:41], v[60:61]
	v_fmac_f64_e32 v[8:9], v[48:49], v[60:61]
	s_and_not1_b32 exec_lo, exec_lo, s2
	s_cbranch_execnz .LBB110_15
; %bb.16:
	s_or_b32 exec_lo, exec_lo, s2
.LBB110_17:
	s_delay_alu instid0(SALU_CYCLE_1)
	s_or_b32 exec_lo, exec_lo, s3
.LBB110_18:
	v_mbcnt_lo_u32_b32 v14, -1, 0
	s_delay_alu instid0(VALU_DEP_1) | instskip(NEXT) | instid1(VALU_DEP_1)
	v_or_b32_e32 v10, 32, v14
	v_cmp_gt_i32_e32 vcc_lo, 32, v10
	v_cndmask_b32_e32 v10, v14, v10, vcc_lo
	s_delay_alu instid0(VALU_DEP_1)
	v_lshlrev_b32_e32 v13, 2, v10
	ds_bpermute_b32 v10, v13, v0
	ds_bpermute_b32 v11, v13, v1
	s_wait_dscnt 0x0
	v_add_f64_e32 v[0:1], v[0:1], v[10:11]
	v_xor_b32_e32 v10, 16, v14
	s_delay_alu instid0(VALU_DEP_1)
	v_cmp_gt_i32_e32 vcc_lo, 32, v10
	v_cndmask_b32_e32 v10, v14, v10, vcc_lo
	ds_bpermute_b32 v12, v13, v8
	ds_bpermute_b32 v13, v13, v9
	s_wait_dscnt 0x0
	v_dual_add_f64 v[8:9], v[8:9], v[12:13] :: v_dual_lshlrev_b32 v13, 2, v10
	ds_bpermute_b32 v10, v13, v0
	ds_bpermute_b32 v11, v13, v1
	s_wait_dscnt 0x0
	v_add_f64_e32 v[0:1], v[0:1], v[10:11]
	v_xor_b32_e32 v10, 8, v14
	s_delay_alu instid0(VALU_DEP_1)
	v_cmp_gt_i32_e32 vcc_lo, 32, v10
	v_cndmask_b32_e32 v10, v14, v10, vcc_lo
	ds_bpermute_b32 v12, v13, v8
	ds_bpermute_b32 v13, v13, v9
	s_wait_dscnt 0x0
	v_dual_add_f64 v[8:9], v[8:9], v[12:13] :: v_dual_lshlrev_b32 v13, 2, v10
	;; [unrolled: 12-line block ×4, first 2 shown]
	ds_bpermute_b32 v10, v13, v0
	ds_bpermute_b32 v11, v13, v1
	s_wait_dscnt 0x0
	v_add_f64_e32 v[0:1], v[0:1], v[10:11]
	ds_bpermute_b32 v12, v13, v8
	ds_bpermute_b32 v13, v13, v9
	s_wait_dscnt 0x0
	v_dual_add_f64 v[10:11], v[8:9], v[12:13] :: v_dual_bitop2_b32 v8, 1, v14 bitop3:0x14
	s_delay_alu instid0(VALU_DEP_1) | instskip(SKIP_2) | instid1(VALU_DEP_2)
	v_cmp_gt_i32_e32 vcc_lo, 32, v8
	v_cndmask_b32_e32 v8, v14, v8, vcc_lo
	v_cmp_eq_u32_e32 vcc_lo, 63, v7
	v_lshlrev_b32_e32 v13, 2, v8
	ds_bpermute_b32 v8, v13, v0
	ds_bpermute_b32 v9, v13, v1
	;; [unrolled: 1-line block ×4, first 2 shown]
	s_and_b32 exec_lo, exec_lo, vcc_lo
	s_cbranch_execz .LBB110_23
; %bb.19:
	s_wait_dscnt 0x2
	v_add_f64_e32 v[8:9], v[0:1], v[8:9]
	s_wait_dscnt 0x0
	v_add_f64_e32 v[0:1], v[10:11], v[12:13]
	s_load_b64 s[0:1], s[0:1], 0x38
	s_mov_b32 s2, exec_lo
	v_cmpx_eq_f64_e32 0, v[4:5]
	s_xor_b32 s2, exec_lo, s2
	s_cbranch_execz .LBB110_21
; %bb.20:
	s_delay_alu instid0(VALU_DEP_3) | instskip(NEXT) | instid1(VALU_DEP_3)
	v_mul_f64_e32 v[8:9], v[2:3], v[8:9]
	v_dual_mul_f64 v[10:11], v[2:3], v[0:1] :: v_dual_lshlrev_b32 v0, 1, v6
                                        ; implicit-def: $vgpr6
                                        ; implicit-def: $vgpr2_vgpr3
                                        ; implicit-def: $vgpr4_vgpr5
	s_delay_alu instid0(VALU_DEP_1) | instskip(SKIP_1) | instid1(VALU_DEP_1)
	v_ashrrev_i32_e32 v1, 31, v0
	s_wait_kmcnt 0x0
	v_lshl_add_u64 v[0:1], v[0:1], 3, s[0:1]
	global_store_b128 v[0:1], v[8:11], off
                                        ; implicit-def: $vgpr8_vgpr9
                                        ; implicit-def: $vgpr0_vgpr1
.LBB110_21:
	s_wait_xcnt 0x0
	s_and_not1_saveexec_b32 s2, s2
	s_cbranch_execz .LBB110_23
; %bb.22:
	v_lshlrev_b32_e32 v6, 1, v6
	s_delay_alu instid0(VALU_DEP_1) | instskip(SKIP_1) | instid1(VALU_DEP_1)
	v_ashrrev_i32_e32 v7, 31, v6
	s_wait_kmcnt 0x0
	v_lshl_add_u64 v[14:15], v[6:7], 3, s[0:1]
	v_mul_f64_e32 v[6:7], v[2:3], v[8:9]
	v_mul_f64_e32 v[8:9], v[2:3], v[0:1]
	global_load_b128 v[10:13], v[14:15], off
	s_wait_loadcnt 0x0
	v_fmac_f64_e32 v[6:7], v[4:5], v[10:11]
	v_fmac_f64_e32 v[8:9], v[4:5], v[12:13]
	global_store_b128 v[14:15], v[6:9], off
.LBB110_23:
	s_sendmsg sendmsg(MSG_DEALLOC_VGPRS)
	s_endpgm
	.section	.rodata,"a",@progbits
	.p2align	6, 0x0
	.amdhsa_kernel _ZN9rocsparseL19gebsrmvn_2xn_kernelILj128ELj8ELj64EdEEvi20rocsparse_direction_NS_24const_host_device_scalarIT2_EEPKiS6_PKS3_S8_S4_PS3_21rocsparse_index_base_b
		.amdhsa_group_segment_fixed_size 0
		.amdhsa_private_segment_fixed_size 0
		.amdhsa_kernarg_size 72
		.amdhsa_user_sgpr_count 2
		.amdhsa_user_sgpr_dispatch_ptr 0
		.amdhsa_user_sgpr_queue_ptr 0
		.amdhsa_user_sgpr_kernarg_segment_ptr 1
		.amdhsa_user_sgpr_dispatch_id 0
		.amdhsa_user_sgpr_kernarg_preload_length 0
		.amdhsa_user_sgpr_kernarg_preload_offset 0
		.amdhsa_user_sgpr_private_segment_size 0
		.amdhsa_wavefront_size32 1
		.amdhsa_uses_dynamic_stack 0
		.amdhsa_enable_private_segment 0
		.amdhsa_system_sgpr_workgroup_id_x 1
		.amdhsa_system_sgpr_workgroup_id_y 0
		.amdhsa_system_sgpr_workgroup_id_z 0
		.amdhsa_system_sgpr_workgroup_info 0
		.amdhsa_system_vgpr_workitem_id 0
		.amdhsa_next_free_vgpr 68
		.amdhsa_next_free_sgpr 14
		.amdhsa_named_barrier_count 0
		.amdhsa_reserve_vcc 1
		.amdhsa_float_round_mode_32 0
		.amdhsa_float_round_mode_16_64 0
		.amdhsa_float_denorm_mode_32 3
		.amdhsa_float_denorm_mode_16_64 3
		.amdhsa_fp16_overflow 0
		.amdhsa_memory_ordered 1
		.amdhsa_forward_progress 1
		.amdhsa_inst_pref_size 14
		.amdhsa_round_robin_scheduling 0
		.amdhsa_exception_fp_ieee_invalid_op 0
		.amdhsa_exception_fp_denorm_src 0
		.amdhsa_exception_fp_ieee_div_zero 0
		.amdhsa_exception_fp_ieee_overflow 0
		.amdhsa_exception_fp_ieee_underflow 0
		.amdhsa_exception_fp_ieee_inexact 0
		.amdhsa_exception_int_div_zero 0
	.end_amdhsa_kernel
	.section	.text._ZN9rocsparseL19gebsrmvn_2xn_kernelILj128ELj8ELj64EdEEvi20rocsparse_direction_NS_24const_host_device_scalarIT2_EEPKiS6_PKS3_S8_S4_PS3_21rocsparse_index_base_b,"axG",@progbits,_ZN9rocsparseL19gebsrmvn_2xn_kernelILj128ELj8ELj64EdEEvi20rocsparse_direction_NS_24const_host_device_scalarIT2_EEPKiS6_PKS3_S8_S4_PS3_21rocsparse_index_base_b,comdat
.Lfunc_end110:
	.size	_ZN9rocsparseL19gebsrmvn_2xn_kernelILj128ELj8ELj64EdEEvi20rocsparse_direction_NS_24const_host_device_scalarIT2_EEPKiS6_PKS3_S8_S4_PS3_21rocsparse_index_base_b, .Lfunc_end110-_ZN9rocsparseL19gebsrmvn_2xn_kernelILj128ELj8ELj64EdEEvi20rocsparse_direction_NS_24const_host_device_scalarIT2_EEPKiS6_PKS3_S8_S4_PS3_21rocsparse_index_base_b
                                        ; -- End function
	.set _ZN9rocsparseL19gebsrmvn_2xn_kernelILj128ELj8ELj64EdEEvi20rocsparse_direction_NS_24const_host_device_scalarIT2_EEPKiS6_PKS3_S8_S4_PS3_21rocsparse_index_base_b.num_vgpr, 68
	.set _ZN9rocsparseL19gebsrmvn_2xn_kernelILj128ELj8ELj64EdEEvi20rocsparse_direction_NS_24const_host_device_scalarIT2_EEPKiS6_PKS3_S8_S4_PS3_21rocsparse_index_base_b.num_agpr, 0
	.set _ZN9rocsparseL19gebsrmvn_2xn_kernelILj128ELj8ELj64EdEEvi20rocsparse_direction_NS_24const_host_device_scalarIT2_EEPKiS6_PKS3_S8_S4_PS3_21rocsparse_index_base_b.numbered_sgpr, 14
	.set _ZN9rocsparseL19gebsrmvn_2xn_kernelILj128ELj8ELj64EdEEvi20rocsparse_direction_NS_24const_host_device_scalarIT2_EEPKiS6_PKS3_S8_S4_PS3_21rocsparse_index_base_b.num_named_barrier, 0
	.set _ZN9rocsparseL19gebsrmvn_2xn_kernelILj128ELj8ELj64EdEEvi20rocsparse_direction_NS_24const_host_device_scalarIT2_EEPKiS6_PKS3_S8_S4_PS3_21rocsparse_index_base_b.private_seg_size, 0
	.set _ZN9rocsparseL19gebsrmvn_2xn_kernelILj128ELj8ELj64EdEEvi20rocsparse_direction_NS_24const_host_device_scalarIT2_EEPKiS6_PKS3_S8_S4_PS3_21rocsparse_index_base_b.uses_vcc, 1
	.set _ZN9rocsparseL19gebsrmvn_2xn_kernelILj128ELj8ELj64EdEEvi20rocsparse_direction_NS_24const_host_device_scalarIT2_EEPKiS6_PKS3_S8_S4_PS3_21rocsparse_index_base_b.uses_flat_scratch, 0
	.set _ZN9rocsparseL19gebsrmvn_2xn_kernelILj128ELj8ELj64EdEEvi20rocsparse_direction_NS_24const_host_device_scalarIT2_EEPKiS6_PKS3_S8_S4_PS3_21rocsparse_index_base_b.has_dyn_sized_stack, 0
	.set _ZN9rocsparseL19gebsrmvn_2xn_kernelILj128ELj8ELj64EdEEvi20rocsparse_direction_NS_24const_host_device_scalarIT2_EEPKiS6_PKS3_S8_S4_PS3_21rocsparse_index_base_b.has_recursion, 0
	.set _ZN9rocsparseL19gebsrmvn_2xn_kernelILj128ELj8ELj64EdEEvi20rocsparse_direction_NS_24const_host_device_scalarIT2_EEPKiS6_PKS3_S8_S4_PS3_21rocsparse_index_base_b.has_indirect_call, 0
	.section	.AMDGPU.csdata,"",@progbits
; Kernel info:
; codeLenInByte = 1736
; TotalNumSgprs: 16
; NumVgprs: 68
; ScratchSize: 0
; MemoryBound: 1
; FloatMode: 240
; IeeeMode: 1
; LDSByteSize: 0 bytes/workgroup (compile time only)
; SGPRBlocks: 0
; VGPRBlocks: 4
; NumSGPRsForWavesPerEU: 16
; NumVGPRsForWavesPerEU: 68
; NamedBarCnt: 0
; Occupancy: 12
; WaveLimiterHint : 1
; COMPUTE_PGM_RSRC2:SCRATCH_EN: 0
; COMPUTE_PGM_RSRC2:USER_SGPR: 2
; COMPUTE_PGM_RSRC2:TRAP_HANDLER: 0
; COMPUTE_PGM_RSRC2:TGID_X_EN: 1
; COMPUTE_PGM_RSRC2:TGID_Y_EN: 0
; COMPUTE_PGM_RSRC2:TGID_Z_EN: 0
; COMPUTE_PGM_RSRC2:TIDIG_COMP_CNT: 0
	.section	.text._ZN9rocsparseL19gebsrmvn_2xn_kernelILj128ELj9ELj4EdEEvi20rocsparse_direction_NS_24const_host_device_scalarIT2_EEPKiS6_PKS3_S8_S4_PS3_21rocsparse_index_base_b,"axG",@progbits,_ZN9rocsparseL19gebsrmvn_2xn_kernelILj128ELj9ELj4EdEEvi20rocsparse_direction_NS_24const_host_device_scalarIT2_EEPKiS6_PKS3_S8_S4_PS3_21rocsparse_index_base_b,comdat
	.globl	_ZN9rocsparseL19gebsrmvn_2xn_kernelILj128ELj9ELj4EdEEvi20rocsparse_direction_NS_24const_host_device_scalarIT2_EEPKiS6_PKS3_S8_S4_PS3_21rocsparse_index_base_b ; -- Begin function _ZN9rocsparseL19gebsrmvn_2xn_kernelILj128ELj9ELj4EdEEvi20rocsparse_direction_NS_24const_host_device_scalarIT2_EEPKiS6_PKS3_S8_S4_PS3_21rocsparse_index_base_b
	.p2align	8
	.type	_ZN9rocsparseL19gebsrmvn_2xn_kernelILj128ELj9ELj4EdEEvi20rocsparse_direction_NS_24const_host_device_scalarIT2_EEPKiS6_PKS3_S8_S4_PS3_21rocsparse_index_base_b,@function
_ZN9rocsparseL19gebsrmvn_2xn_kernelILj128ELj9ELj4EdEEvi20rocsparse_direction_NS_24const_host_device_scalarIT2_EEPKiS6_PKS3_S8_S4_PS3_21rocsparse_index_base_b: ; @_ZN9rocsparseL19gebsrmvn_2xn_kernelILj128ELj9ELj4EdEEvi20rocsparse_direction_NS_24const_host_device_scalarIT2_EEPKiS6_PKS3_S8_S4_PS3_21rocsparse_index_base_b
; %bb.0:
	s_clause 0x2
	s_load_b64 s[12:13], s[0:1], 0x40
	s_load_b64 s[4:5], s[0:1], 0x8
	;; [unrolled: 1-line block ×3, first 2 shown]
	s_wait_kmcnt 0x0
	s_bitcmp1_b32 s13, 0
	v_mov_b64_e32 v[2:3], s[4:5]
	s_cselect_b32 s6, -1, 0
	s_delay_alu instid0(SALU_CYCLE_1)
	s_and_b32 vcc_lo, exec_lo, s6
	s_xor_b32 s6, s6, -1
	s_cbranch_vccnz .LBB111_2
; %bb.1:
	v_mov_b32_e32 v1, 0
	flat_load_b64 v[2:3], v1, s[4:5]
.LBB111_2:
	v_mov_b64_e32 v[4:5], s[2:3]
	s_and_not1_b32 vcc_lo, exec_lo, s6
	s_cbranch_vccnz .LBB111_4
; %bb.3:
	s_wait_xcnt 0x0
	v_mov_b32_e32 v1, 0
	flat_load_b64 v[4:5], v1, s[2:3]
.LBB111_4:
	s_wait_loadcnt_dscnt 0x0
	v_cmp_neq_f64_e32 vcc_lo, 0, v[2:3]
	s_delay_alu instid0(VALU_DEP_2) | instskip(SKIP_1) | instid1(SALU_CYCLE_1)
	v_cmp_neq_f64_e64 s2, 1.0, v[4:5]
	s_or_b32 s2, vcc_lo, s2
	s_and_saveexec_b32 s3, s2
	s_cbranch_execz .LBB111_23
; %bb.5:
	s_load_b64 s[2:3], s[0:1], 0x0
	s_bfe_u32 s4, ttmp6, 0x4000c
	s_and_b32 s5, ttmp6, 15
	s_add_co_i32 s4, s4, 1
	s_getreg_b32 s6, hwreg(HW_REG_IB_STS2, 6, 4)
	s_mul_i32 s4, ttmp9, s4
	v_lshrrev_b32_e32 v1, 2, v0
	s_add_co_i32 s5, s5, s4
	s_cmp_eq_u32 s6, 0
	s_cselect_b32 s4, ttmp9, s5
	s_delay_alu instid0(VALU_DEP_1) | instid1(SALU_CYCLE_1)
	v_lshl_or_b32 v6, s4, 5, v1
	s_wait_kmcnt 0x0
	s_delay_alu instid0(VALU_DEP_1)
	v_cmp_gt_i32_e32 vcc_lo, s2, v6
	s_and_b32 exec_lo, exec_lo, vcc_lo
	s_cbranch_execz .LBB111_23
; %bb.6:
	s_load_b256 s[4:11], s[0:1], 0x10
	v_ashrrev_i32_e32 v7, 31, v6
	s_cmp_lg_u32 s3, 0
	s_wait_kmcnt 0x0
	s_delay_alu instid0(VALU_DEP_1)
	v_lshl_add_u64 v[8:9], v[6:7], 2, s[4:5]
	v_and_b32_e32 v7, 3, v0
	global_load_b64 v[8:9], v[8:9], off
	s_wait_loadcnt 0x0
	v_subrev_nc_u32_e32 v0, s12, v8
	v_subrev_nc_u32_e32 v14, s12, v9
	s_delay_alu instid0(VALU_DEP_2) | instskip(NEXT) | instid1(VALU_DEP_1)
	v_add_nc_u32_e32 v15, v0, v7
	v_cmp_lt_i32_e64 s2, v15, v14
	s_cbranch_scc0 .LBB111_12
; %bb.7:
	v_mov_b64_e32 v[0:1], 0
	v_mov_b64_e32 v[8:9], 0
	s_and_saveexec_b32 s3, s2
	s_cbranch_execz .LBB111_11
; %bb.8:
	v_mad_u32 v10, v15, 18, 16
	v_mov_b64_e32 v[0:1], 0
	v_mov_b64_e32 v[8:9], 0
	v_dual_mov_b32 v13, 0 :: v_dual_mov_b32 v16, v15
	s_mov_b32 s4, 0
.LBB111_9:                              ; =>This Inner Loop Header: Depth=1
	global_load_b32 v11, v16, s[6:7] scale_offset
	s_wait_xcnt 0x0
	v_add_nc_u32_e32 v16, 4, v16
	s_delay_alu instid0(VALU_DEP_1) | instskip(SKIP_3) | instid1(VALU_DEP_1)
	v_cmp_ge_i32_e32 vcc_lo, v16, v14
	s_or_b32 s4, vcc_lo, s4
	s_wait_loadcnt 0x0
	v_subrev_nc_u32_e32 v11, s12, v11
	v_lshl_add_u32 v17, v11, 3, v11
	s_delay_alu instid0(VALU_DEP_1) | instskip(NEXT) | instid1(VALU_DEP_1)
	v_dual_add_nc_u32 v12, -16, v10 :: v_dual_add_nc_u32 v11, 1, v17
	v_lshl_add_u64 v[22:23], v[12:13], 3, s[8:9]
	global_load_b128 v[18:21], v[22:23], off
	global_load_b64 v[54:55], v17, s[10:11] scale_offset
	v_add_nc_u32_e32 v12, -14, v10
	s_delay_alu instid0(VALU_DEP_1) | instskip(SKIP_4) | instid1(VALU_DEP_1)
	v_lshl_add_u64 v[26:27], v[12:13], 3, s[8:9]
	global_load_b128 v[22:25], v[26:27], off
	global_load_b64 v[56:57], v11, s[10:11] scale_offset
	s_wait_xcnt 0x0
	v_dual_add_nc_u32 v12, -12, v10 :: v_dual_add_nc_u32 v11, 2, v17
	v_lshl_add_u64 v[30:31], v[12:13], 3, s[8:9]
	global_load_b128 v[26:29], v[30:31], off
	global_load_b64 v[58:59], v11, s[10:11] scale_offset
	s_wait_xcnt 0x0
	v_dual_add_nc_u32 v12, -10, v10 :: v_dual_add_nc_u32 v11, 3, v17
	s_delay_alu instid0(VALU_DEP_1) | instskip(SKIP_4) | instid1(VALU_DEP_1)
	v_lshl_add_u64 v[34:35], v[12:13], 3, s[8:9]
	global_load_b128 v[30:33], v[34:35], off
	global_load_b64 v[60:61], v11, s[10:11] scale_offset
	s_wait_xcnt 0x0
	v_dual_add_nc_u32 v12, -8, v10 :: v_dual_add_nc_u32 v11, 4, v17
	v_lshl_add_u64 v[38:39], v[12:13], 3, s[8:9]
	global_load_b128 v[34:37], v[38:39], off
	global_load_b64 v[62:63], v11, s[10:11] scale_offset
	s_wait_xcnt 0x0
	v_dual_add_nc_u32 v12, -6, v10 :: v_dual_add_nc_u32 v11, 5, v17
	;; [unrolled: 11-line block ×3, first 2 shown]
	s_delay_alu instid0(VALU_DEP_1) | instskip(SKIP_4) | instid1(VALU_DEP_1)
	v_lshl_add_u64 v[50:51], v[12:13], 3, s[8:9]
	global_load_b128 v[46:49], v[50:51], off
	global_load_b64 v[68:69], v11, s[10:11] scale_offset
	s_wait_xcnt 0x0
	v_mov_b32_e32 v11, v13
	v_lshl_add_u64 v[70:71], v[10:11], 3, s[8:9]
	v_add_nc_u32_e32 v11, 8, v17
	global_load_b128 v[50:53], v[70:71], off
	global_load_b64 v[72:73], v11, s[10:11] scale_offset
	v_add_nc_u32_e32 v10, 0x48, v10
	s_wait_loadcnt 0x10
	v_fmac_f64_e32 v[0:1], v[18:19], v[54:55]
	v_fmac_f64_e32 v[8:9], v[20:21], v[54:55]
	s_wait_loadcnt 0xe
	s_delay_alu instid0(VALU_DEP_2) | instskip(NEXT) | instid1(VALU_DEP_2)
	v_fmac_f64_e32 v[0:1], v[22:23], v[56:57]
	v_fmac_f64_e32 v[8:9], v[24:25], v[56:57]
	s_wait_loadcnt 0xc
	s_delay_alu instid0(VALU_DEP_2) | instskip(NEXT) | instid1(VALU_DEP_2)
	;; [unrolled: 4-line block ×8, first 2 shown]
	v_fmac_f64_e32 v[0:1], v[50:51], v[72:73]
	v_fmac_f64_e32 v[8:9], v[52:53], v[72:73]
	s_and_not1_b32 exec_lo, exec_lo, s4
	s_cbranch_execnz .LBB111_9
; %bb.10:
	s_or_b32 exec_lo, exec_lo, s4
.LBB111_11:
	s_delay_alu instid0(SALU_CYCLE_1)
	s_or_b32 exec_lo, exec_lo, s3
	s_cbranch_execz .LBB111_13
	s_branch .LBB111_18
.LBB111_12:
                                        ; implicit-def: $vgpr0_vgpr1
                                        ; implicit-def: $vgpr8_vgpr9
.LBB111_13:
	v_mov_b64_e32 v[0:1], 0
	v_mov_b64_e32 v[8:9], 0
	s_and_saveexec_b32 s3, s2
	s_cbranch_execz .LBB111_17
; %bb.14:
	v_mad_u32 v12, v15, 18, 17
	v_mov_b64_e32 v[0:1], 0
	v_mov_b64_e32 v[8:9], 0
	v_mov_b32_e32 v11, 0
	s_mov_b32 s2, 0
.LBB111_15:                             ; =>This Inner Loop Header: Depth=1
	global_load_b32 v13, v15, s[6:7] scale_offset
	v_subrev_nc_u32_e32 v10, 17, v12
	s_wait_xcnt 0x0
	v_dual_add_nc_u32 v24, -8, v12 :: v_dual_add_nc_u32 v15, 4, v15
	v_dual_add_nc_u32 v40, -5, v12 :: v_dual_add_nc_u32 v52, -3, v12
	s_delay_alu instid0(VALU_DEP_3) | instskip(SKIP_1) | instid1(VALU_DEP_4)
	v_lshl_add_u64 v[20:21], v[10:11], 3, s[8:9]
	v_add_nc_u32_e32 v64, -1, v12
	v_cmp_ge_i32_e32 vcc_lo, v15, v14
	s_or_b32 s2, vcc_lo, s2
	s_wait_loadcnt 0x0
	v_subrev_nc_u32_e32 v10, s12, v13
	v_add_nc_u32_e32 v13, -7, v12
	s_clause 0x1
	global_load_b64 v[22:23], v24, s[8:9] scale_offset
	global_load_b128 v[16:19], v[20:21], off
	v_lshl_add_u32 v10, v10, 3, v10
	v_dual_add_nc_u32 v34, -6, v12 :: v_dual_add_nc_u32 v46, -4, v12
	s_delay_alu instid0(VALU_DEP_2)
	v_dual_add_nc_u32 v58, -2, v12 :: v_dual_add_nc_u32 v59, 6, v10
	global_load_b64 v[20:21], v10, s[10:11] scale_offset
	v_add_nc_u32_e32 v28, 1, v10
	global_load_b64 v[24:25], v13, s[8:9] scale_offset
	global_load_b64 v[26:27], v28, s[10:11] scale_offset
	s_wait_xcnt 0x1
	v_dual_add_nc_u32 v13, -15, v12 :: v_dual_add_nc_u32 v35, 2, v10
	s_clause 0x1
	global_load_b64 v[28:29], v13, s[8:9] scale_offset
	global_load_b64 v[30:31], v34, s[8:9] scale_offset
	global_load_b64 v[32:33], v35, s[10:11] scale_offset
	s_wait_xcnt 0x2
	v_dual_add_nc_u32 v13, -14, v12 :: v_dual_add_nc_u32 v41, 3, v10
	s_clause 0x1
	global_load_b64 v[34:35], v13, s[8:9] scale_offset
	;; [unrolled: 6-line block ×4, first 2 shown]
	global_load_b64 v[48:49], v52, s[8:9] scale_offset
	global_load_b64 v[50:51], v53, s[10:11] scale_offset
	s_wait_xcnt 0x2
	v_add_nc_u32_e32 v13, -11, v12
	s_clause 0x1
	global_load_b64 v[52:53], v13, s[8:9] scale_offset
	global_load_b64 v[54:55], v58, s[8:9] scale_offset
	;; [unrolled: 1-line block ×3, first 2 shown]
	s_wait_xcnt 0x2
	v_dual_add_nc_u32 v13, -10, v12 :: v_dual_add_nc_u32 v65, 7, v10
	s_clause 0x1
	global_load_b64 v[58:59], v13, s[8:9] scale_offset
	global_load_b64 v[60:61], v64, s[8:9] scale_offset
	;; [unrolled: 1-line block ×3, first 2 shown]
	s_wait_xcnt 0x2
	v_dual_add_nc_u32 v10, 8, v10 :: v_dual_add_nc_u32 v13, -9, v12
	s_wait_loadcnt 0x14
	v_fmac_f64_e32 v[8:9], v[22:23], v[20:21]
	s_clause 0x1
	global_load_b64 v[22:23], v12, s[8:9] scale_offset
	global_load_b64 v[64:65], v13, s[8:9] scale_offset
	v_fmac_f64_e32 v[0:1], v[16:17], v[20:21]
	global_load_b64 v[16:17], v10, s[10:11] scale_offset
	s_wait_xcnt 0x2
	v_add_nc_u32_e32 v12, 0x48, v12
	s_wait_loadcnt 0x15
	v_fmac_f64_e32 v[8:9], v[24:25], v[26:27]
	v_fmac_f64_e32 v[0:1], v[18:19], v[26:27]
	s_wait_loadcnt 0x12
	s_delay_alu instid0(VALU_DEP_2) | instskip(NEXT) | instid1(VALU_DEP_2)
	v_fmac_f64_e32 v[8:9], v[30:31], v[32:33]
	v_fmac_f64_e32 v[0:1], v[28:29], v[32:33]
	s_wait_loadcnt 0xf
	s_delay_alu instid0(VALU_DEP_2) | instskip(NEXT) | instid1(VALU_DEP_2)
	;; [unrolled: 4-line block ×6, first 2 shown]
	v_fmac_f64_e32 v[8:9], v[60:61], v[62:63]
	v_fmac_f64_e32 v[0:1], v[58:59], v[62:63]
	s_wait_loadcnt 0x0
	s_delay_alu instid0(VALU_DEP_1) | instskip(NEXT) | instid1(VALU_DEP_3)
	v_fmac_f64_e32 v[0:1], v[64:65], v[16:17]
	v_fmac_f64_e32 v[8:9], v[22:23], v[16:17]
	s_and_not1_b32 exec_lo, exec_lo, s2
	s_cbranch_execnz .LBB111_15
; %bb.16:
	s_or_b32 exec_lo, exec_lo, s2
.LBB111_17:
	s_delay_alu instid0(SALU_CYCLE_1)
	s_or_b32 exec_lo, exec_lo, s3
.LBB111_18:
	v_mbcnt_lo_u32_b32 v14, -1, 0
	s_delay_alu instid0(VALU_DEP_1) | instskip(NEXT) | instid1(VALU_DEP_1)
	v_xor_b32_e32 v10, 2, v14
	v_cmp_gt_i32_e32 vcc_lo, 32, v10
	v_cndmask_b32_e32 v10, v14, v10, vcc_lo
	s_delay_alu instid0(VALU_DEP_1)
	v_lshlrev_b32_e32 v13, 2, v10
	ds_bpermute_b32 v10, v13, v0
	ds_bpermute_b32 v11, v13, v1
	;; [unrolled: 1-line block ×4, first 2 shown]
	s_wait_dscnt 0x2
	v_add_f64_e32 v[0:1], v[0:1], v[10:11]
	s_wait_dscnt 0x0
	v_dual_add_f64 v[10:11], v[8:9], v[12:13] :: v_dual_bitop2_b32 v8, 1, v14 bitop3:0x14
	s_delay_alu instid0(VALU_DEP_1) | instskip(SKIP_2) | instid1(VALU_DEP_2)
	v_cmp_gt_i32_e32 vcc_lo, 32, v8
	v_cndmask_b32_e32 v8, v14, v8, vcc_lo
	v_cmp_eq_u32_e32 vcc_lo, 3, v7
	v_lshlrev_b32_e32 v13, 2, v8
	ds_bpermute_b32 v8, v13, v0
	ds_bpermute_b32 v9, v13, v1
	;; [unrolled: 1-line block ×4, first 2 shown]
	s_and_b32 exec_lo, exec_lo, vcc_lo
	s_cbranch_execz .LBB111_23
; %bb.19:
	s_wait_dscnt 0x2
	v_add_f64_e32 v[8:9], v[0:1], v[8:9]
	s_wait_dscnt 0x0
	v_add_f64_e32 v[0:1], v[10:11], v[12:13]
	s_load_b64 s[0:1], s[0:1], 0x38
	s_mov_b32 s2, exec_lo
	v_cmpx_eq_f64_e32 0, v[4:5]
	s_xor_b32 s2, exec_lo, s2
	s_cbranch_execz .LBB111_21
; %bb.20:
	s_delay_alu instid0(VALU_DEP_3) | instskip(NEXT) | instid1(VALU_DEP_3)
	v_mul_f64_e32 v[8:9], v[2:3], v[8:9]
	v_dual_mul_f64 v[10:11], v[2:3], v[0:1] :: v_dual_lshlrev_b32 v0, 1, v6
                                        ; implicit-def: $vgpr6
                                        ; implicit-def: $vgpr2_vgpr3
                                        ; implicit-def: $vgpr4_vgpr5
	s_delay_alu instid0(VALU_DEP_1) | instskip(SKIP_1) | instid1(VALU_DEP_1)
	v_ashrrev_i32_e32 v1, 31, v0
	s_wait_kmcnt 0x0
	v_lshl_add_u64 v[0:1], v[0:1], 3, s[0:1]
	global_store_b128 v[0:1], v[8:11], off
                                        ; implicit-def: $vgpr8_vgpr9
                                        ; implicit-def: $vgpr0_vgpr1
.LBB111_21:
	s_wait_xcnt 0x0
	s_and_not1_saveexec_b32 s2, s2
	s_cbranch_execz .LBB111_23
; %bb.22:
	v_lshlrev_b32_e32 v6, 1, v6
	s_delay_alu instid0(VALU_DEP_1) | instskip(SKIP_1) | instid1(VALU_DEP_1)
	v_ashrrev_i32_e32 v7, 31, v6
	s_wait_kmcnt 0x0
	v_lshl_add_u64 v[14:15], v[6:7], 3, s[0:1]
	v_mul_f64_e32 v[6:7], v[2:3], v[8:9]
	v_mul_f64_e32 v[8:9], v[2:3], v[0:1]
	global_load_b128 v[10:13], v[14:15], off
	s_wait_loadcnt 0x0
	v_fmac_f64_e32 v[6:7], v[4:5], v[10:11]
	v_fmac_f64_e32 v[8:9], v[4:5], v[12:13]
	global_store_b128 v[14:15], v[6:9], off
.LBB111_23:
	s_sendmsg sendmsg(MSG_DEALLOC_VGPRS)
	s_endpgm
	.section	.rodata,"a",@progbits
	.p2align	6, 0x0
	.amdhsa_kernel _ZN9rocsparseL19gebsrmvn_2xn_kernelILj128ELj9ELj4EdEEvi20rocsparse_direction_NS_24const_host_device_scalarIT2_EEPKiS6_PKS3_S8_S4_PS3_21rocsparse_index_base_b
		.amdhsa_group_segment_fixed_size 0
		.amdhsa_private_segment_fixed_size 0
		.amdhsa_kernarg_size 72
		.amdhsa_user_sgpr_count 2
		.amdhsa_user_sgpr_dispatch_ptr 0
		.amdhsa_user_sgpr_queue_ptr 0
		.amdhsa_user_sgpr_kernarg_segment_ptr 1
		.amdhsa_user_sgpr_dispatch_id 0
		.amdhsa_user_sgpr_kernarg_preload_length 0
		.amdhsa_user_sgpr_kernarg_preload_offset 0
		.amdhsa_user_sgpr_private_segment_size 0
		.amdhsa_wavefront_size32 1
		.amdhsa_uses_dynamic_stack 0
		.amdhsa_enable_private_segment 0
		.amdhsa_system_sgpr_workgroup_id_x 1
		.amdhsa_system_sgpr_workgroup_id_y 0
		.amdhsa_system_sgpr_workgroup_id_z 0
		.amdhsa_system_sgpr_workgroup_info 0
		.amdhsa_system_vgpr_workitem_id 0
		.amdhsa_next_free_vgpr 74
		.amdhsa_next_free_sgpr 14
		.amdhsa_named_barrier_count 0
		.amdhsa_reserve_vcc 1
		.amdhsa_float_round_mode_32 0
		.amdhsa_float_round_mode_16_64 0
		.amdhsa_float_denorm_mode_32 3
		.amdhsa_float_denorm_mode_16_64 3
		.amdhsa_fp16_overflow 0
		.amdhsa_memory_ordered 1
		.amdhsa_forward_progress 1
		.amdhsa_inst_pref_size 17
		.amdhsa_round_robin_scheduling 0
		.amdhsa_exception_fp_ieee_invalid_op 0
		.amdhsa_exception_fp_denorm_src 0
		.amdhsa_exception_fp_ieee_div_zero 0
		.amdhsa_exception_fp_ieee_overflow 0
		.amdhsa_exception_fp_ieee_underflow 0
		.amdhsa_exception_fp_ieee_inexact 0
		.amdhsa_exception_int_div_zero 0
	.end_amdhsa_kernel
	.section	.text._ZN9rocsparseL19gebsrmvn_2xn_kernelILj128ELj9ELj4EdEEvi20rocsparse_direction_NS_24const_host_device_scalarIT2_EEPKiS6_PKS3_S8_S4_PS3_21rocsparse_index_base_b,"axG",@progbits,_ZN9rocsparseL19gebsrmvn_2xn_kernelILj128ELj9ELj4EdEEvi20rocsparse_direction_NS_24const_host_device_scalarIT2_EEPKiS6_PKS3_S8_S4_PS3_21rocsparse_index_base_b,comdat
.Lfunc_end111:
	.size	_ZN9rocsparseL19gebsrmvn_2xn_kernelILj128ELj9ELj4EdEEvi20rocsparse_direction_NS_24const_host_device_scalarIT2_EEPKiS6_PKS3_S8_S4_PS3_21rocsparse_index_base_b, .Lfunc_end111-_ZN9rocsparseL19gebsrmvn_2xn_kernelILj128ELj9ELj4EdEEvi20rocsparse_direction_NS_24const_host_device_scalarIT2_EEPKiS6_PKS3_S8_S4_PS3_21rocsparse_index_base_b
                                        ; -- End function
	.set _ZN9rocsparseL19gebsrmvn_2xn_kernelILj128ELj9ELj4EdEEvi20rocsparse_direction_NS_24const_host_device_scalarIT2_EEPKiS6_PKS3_S8_S4_PS3_21rocsparse_index_base_b.num_vgpr, 74
	.set _ZN9rocsparseL19gebsrmvn_2xn_kernelILj128ELj9ELj4EdEEvi20rocsparse_direction_NS_24const_host_device_scalarIT2_EEPKiS6_PKS3_S8_S4_PS3_21rocsparse_index_base_b.num_agpr, 0
	.set _ZN9rocsparseL19gebsrmvn_2xn_kernelILj128ELj9ELj4EdEEvi20rocsparse_direction_NS_24const_host_device_scalarIT2_EEPKiS6_PKS3_S8_S4_PS3_21rocsparse_index_base_b.numbered_sgpr, 14
	.set _ZN9rocsparseL19gebsrmvn_2xn_kernelILj128ELj9ELj4EdEEvi20rocsparse_direction_NS_24const_host_device_scalarIT2_EEPKiS6_PKS3_S8_S4_PS3_21rocsparse_index_base_b.num_named_barrier, 0
	.set _ZN9rocsparseL19gebsrmvn_2xn_kernelILj128ELj9ELj4EdEEvi20rocsparse_direction_NS_24const_host_device_scalarIT2_EEPKiS6_PKS3_S8_S4_PS3_21rocsparse_index_base_b.private_seg_size, 0
	.set _ZN9rocsparseL19gebsrmvn_2xn_kernelILj128ELj9ELj4EdEEvi20rocsparse_direction_NS_24const_host_device_scalarIT2_EEPKiS6_PKS3_S8_S4_PS3_21rocsparse_index_base_b.uses_vcc, 1
	.set _ZN9rocsparseL19gebsrmvn_2xn_kernelILj128ELj9ELj4EdEEvi20rocsparse_direction_NS_24const_host_device_scalarIT2_EEPKiS6_PKS3_S8_S4_PS3_21rocsparse_index_base_b.uses_flat_scratch, 0
	.set _ZN9rocsparseL19gebsrmvn_2xn_kernelILj128ELj9ELj4EdEEvi20rocsparse_direction_NS_24const_host_device_scalarIT2_EEPKiS6_PKS3_S8_S4_PS3_21rocsparse_index_base_b.has_dyn_sized_stack, 0
	.set _ZN9rocsparseL19gebsrmvn_2xn_kernelILj128ELj9ELj4EdEEvi20rocsparse_direction_NS_24const_host_device_scalarIT2_EEPKiS6_PKS3_S8_S4_PS3_21rocsparse_index_base_b.has_recursion, 0
	.set _ZN9rocsparseL19gebsrmvn_2xn_kernelILj128ELj9ELj4EdEEvi20rocsparse_direction_NS_24const_host_device_scalarIT2_EEPKiS6_PKS3_S8_S4_PS3_21rocsparse_index_base_b.has_indirect_call, 0
	.section	.AMDGPU.csdata,"",@progbits
; Kernel info:
; codeLenInByte = 2104
; TotalNumSgprs: 16
; NumVgprs: 74
; ScratchSize: 0
; MemoryBound: 0
; FloatMode: 240
; IeeeMode: 1
; LDSByteSize: 0 bytes/workgroup (compile time only)
; SGPRBlocks: 0
; VGPRBlocks: 4
; NumSGPRsForWavesPerEU: 16
; NumVGPRsForWavesPerEU: 74
; NamedBarCnt: 0
; Occupancy: 12
; WaveLimiterHint : 1
; COMPUTE_PGM_RSRC2:SCRATCH_EN: 0
; COMPUTE_PGM_RSRC2:USER_SGPR: 2
; COMPUTE_PGM_RSRC2:TRAP_HANDLER: 0
; COMPUTE_PGM_RSRC2:TGID_X_EN: 1
; COMPUTE_PGM_RSRC2:TGID_Y_EN: 0
; COMPUTE_PGM_RSRC2:TGID_Z_EN: 0
; COMPUTE_PGM_RSRC2:TIDIG_COMP_CNT: 0
	.section	.text._ZN9rocsparseL19gebsrmvn_2xn_kernelILj128ELj9ELj8EdEEvi20rocsparse_direction_NS_24const_host_device_scalarIT2_EEPKiS6_PKS3_S8_S4_PS3_21rocsparse_index_base_b,"axG",@progbits,_ZN9rocsparseL19gebsrmvn_2xn_kernelILj128ELj9ELj8EdEEvi20rocsparse_direction_NS_24const_host_device_scalarIT2_EEPKiS6_PKS3_S8_S4_PS3_21rocsparse_index_base_b,comdat
	.globl	_ZN9rocsparseL19gebsrmvn_2xn_kernelILj128ELj9ELj8EdEEvi20rocsparse_direction_NS_24const_host_device_scalarIT2_EEPKiS6_PKS3_S8_S4_PS3_21rocsparse_index_base_b ; -- Begin function _ZN9rocsparseL19gebsrmvn_2xn_kernelILj128ELj9ELj8EdEEvi20rocsparse_direction_NS_24const_host_device_scalarIT2_EEPKiS6_PKS3_S8_S4_PS3_21rocsparse_index_base_b
	.p2align	8
	.type	_ZN9rocsparseL19gebsrmvn_2xn_kernelILj128ELj9ELj8EdEEvi20rocsparse_direction_NS_24const_host_device_scalarIT2_EEPKiS6_PKS3_S8_S4_PS3_21rocsparse_index_base_b,@function
_ZN9rocsparseL19gebsrmvn_2xn_kernelILj128ELj9ELj8EdEEvi20rocsparse_direction_NS_24const_host_device_scalarIT2_EEPKiS6_PKS3_S8_S4_PS3_21rocsparse_index_base_b: ; @_ZN9rocsparseL19gebsrmvn_2xn_kernelILj128ELj9ELj8EdEEvi20rocsparse_direction_NS_24const_host_device_scalarIT2_EEPKiS6_PKS3_S8_S4_PS3_21rocsparse_index_base_b
; %bb.0:
	s_clause 0x2
	s_load_b64 s[12:13], s[0:1], 0x40
	s_load_b64 s[4:5], s[0:1], 0x8
	;; [unrolled: 1-line block ×3, first 2 shown]
	s_wait_kmcnt 0x0
	s_bitcmp1_b32 s13, 0
	v_mov_b64_e32 v[2:3], s[4:5]
	s_cselect_b32 s6, -1, 0
	s_delay_alu instid0(SALU_CYCLE_1)
	s_and_b32 vcc_lo, exec_lo, s6
	s_xor_b32 s6, s6, -1
	s_cbranch_vccnz .LBB112_2
; %bb.1:
	v_mov_b32_e32 v1, 0
	flat_load_b64 v[2:3], v1, s[4:5]
.LBB112_2:
	v_mov_b64_e32 v[4:5], s[2:3]
	s_and_not1_b32 vcc_lo, exec_lo, s6
	s_cbranch_vccnz .LBB112_4
; %bb.3:
	s_wait_xcnt 0x0
	v_mov_b32_e32 v1, 0
	flat_load_b64 v[4:5], v1, s[2:3]
.LBB112_4:
	s_wait_loadcnt_dscnt 0x0
	v_cmp_neq_f64_e32 vcc_lo, 0, v[2:3]
	s_delay_alu instid0(VALU_DEP_2) | instskip(SKIP_1) | instid1(SALU_CYCLE_1)
	v_cmp_neq_f64_e64 s2, 1.0, v[4:5]
	s_or_b32 s2, vcc_lo, s2
	s_and_saveexec_b32 s3, s2
	s_cbranch_execz .LBB112_23
; %bb.5:
	s_load_b64 s[2:3], s[0:1], 0x0
	s_bfe_u32 s4, ttmp6, 0x4000c
	s_and_b32 s5, ttmp6, 15
	s_add_co_i32 s4, s4, 1
	s_getreg_b32 s6, hwreg(HW_REG_IB_STS2, 6, 4)
	s_mul_i32 s4, ttmp9, s4
	v_lshrrev_b32_e32 v1, 3, v0
	s_add_co_i32 s5, s5, s4
	s_cmp_eq_u32 s6, 0
	s_cselect_b32 s4, ttmp9, s5
	s_delay_alu instid0(VALU_DEP_1) | instid1(SALU_CYCLE_1)
	v_lshl_or_b32 v6, s4, 4, v1
	s_wait_kmcnt 0x0
	s_delay_alu instid0(VALU_DEP_1)
	v_cmp_gt_i32_e32 vcc_lo, s2, v6
	s_and_b32 exec_lo, exec_lo, vcc_lo
	s_cbranch_execz .LBB112_23
; %bb.6:
	s_load_b256 s[4:11], s[0:1], 0x10
	v_ashrrev_i32_e32 v7, 31, v6
	s_cmp_lg_u32 s3, 0
	s_wait_kmcnt 0x0
	s_delay_alu instid0(VALU_DEP_1)
	v_lshl_add_u64 v[8:9], v[6:7], 2, s[4:5]
	v_and_b32_e32 v7, 7, v0
	global_load_b64 v[8:9], v[8:9], off
	s_wait_loadcnt 0x0
	v_subrev_nc_u32_e32 v0, s12, v8
	v_subrev_nc_u32_e32 v14, s12, v9
	s_delay_alu instid0(VALU_DEP_2) | instskip(NEXT) | instid1(VALU_DEP_1)
	v_add_nc_u32_e32 v15, v0, v7
	v_cmp_lt_i32_e64 s2, v15, v14
	s_cbranch_scc0 .LBB112_12
; %bb.7:
	v_mov_b64_e32 v[0:1], 0
	v_mov_b64_e32 v[8:9], 0
	s_and_saveexec_b32 s3, s2
	s_cbranch_execz .LBB112_11
; %bb.8:
	v_mad_u32 v10, v15, 18, 16
	v_mov_b64_e32 v[0:1], 0
	v_mov_b64_e32 v[8:9], 0
	v_dual_mov_b32 v13, 0 :: v_dual_mov_b32 v16, v15
	s_mov_b32 s4, 0
.LBB112_9:                              ; =>This Inner Loop Header: Depth=1
	global_load_b32 v11, v16, s[6:7] scale_offset
	s_wait_xcnt 0x0
	v_add_nc_u32_e32 v16, 8, v16
	s_delay_alu instid0(VALU_DEP_1) | instskip(SKIP_3) | instid1(VALU_DEP_1)
	v_cmp_ge_i32_e32 vcc_lo, v16, v14
	s_or_b32 s4, vcc_lo, s4
	s_wait_loadcnt 0x0
	v_subrev_nc_u32_e32 v11, s12, v11
	v_lshl_add_u32 v17, v11, 3, v11
	s_delay_alu instid0(VALU_DEP_1) | instskip(NEXT) | instid1(VALU_DEP_1)
	v_dual_add_nc_u32 v12, -16, v10 :: v_dual_add_nc_u32 v11, 1, v17
	v_lshl_add_u64 v[22:23], v[12:13], 3, s[8:9]
	global_load_b128 v[18:21], v[22:23], off
	global_load_b64 v[54:55], v17, s[10:11] scale_offset
	v_add_nc_u32_e32 v12, -14, v10
	s_delay_alu instid0(VALU_DEP_1) | instskip(SKIP_4) | instid1(VALU_DEP_1)
	v_lshl_add_u64 v[26:27], v[12:13], 3, s[8:9]
	global_load_b128 v[22:25], v[26:27], off
	global_load_b64 v[56:57], v11, s[10:11] scale_offset
	s_wait_xcnt 0x0
	v_dual_add_nc_u32 v12, -12, v10 :: v_dual_add_nc_u32 v11, 2, v17
	v_lshl_add_u64 v[30:31], v[12:13], 3, s[8:9]
	global_load_b128 v[26:29], v[30:31], off
	global_load_b64 v[58:59], v11, s[10:11] scale_offset
	s_wait_xcnt 0x0
	v_dual_add_nc_u32 v12, -10, v10 :: v_dual_add_nc_u32 v11, 3, v17
	s_delay_alu instid0(VALU_DEP_1) | instskip(SKIP_4) | instid1(VALU_DEP_1)
	v_lshl_add_u64 v[34:35], v[12:13], 3, s[8:9]
	global_load_b128 v[30:33], v[34:35], off
	global_load_b64 v[60:61], v11, s[10:11] scale_offset
	s_wait_xcnt 0x0
	v_dual_add_nc_u32 v12, -8, v10 :: v_dual_add_nc_u32 v11, 4, v17
	v_lshl_add_u64 v[38:39], v[12:13], 3, s[8:9]
	global_load_b128 v[34:37], v[38:39], off
	global_load_b64 v[62:63], v11, s[10:11] scale_offset
	s_wait_xcnt 0x0
	v_dual_add_nc_u32 v12, -6, v10 :: v_dual_add_nc_u32 v11, 5, v17
	;; [unrolled: 11-line block ×3, first 2 shown]
	s_delay_alu instid0(VALU_DEP_1) | instskip(SKIP_4) | instid1(VALU_DEP_1)
	v_lshl_add_u64 v[50:51], v[12:13], 3, s[8:9]
	global_load_b128 v[46:49], v[50:51], off
	global_load_b64 v[68:69], v11, s[10:11] scale_offset
	s_wait_xcnt 0x0
	v_mov_b32_e32 v11, v13
	v_lshl_add_u64 v[70:71], v[10:11], 3, s[8:9]
	v_add_nc_u32_e32 v11, 8, v17
	global_load_b128 v[50:53], v[70:71], off
	global_load_b64 v[72:73], v11, s[10:11] scale_offset
	v_add_nc_u32_e32 v10, 0x90, v10
	s_wait_loadcnt 0x10
	v_fmac_f64_e32 v[0:1], v[18:19], v[54:55]
	v_fmac_f64_e32 v[8:9], v[20:21], v[54:55]
	s_wait_loadcnt 0xe
	s_delay_alu instid0(VALU_DEP_2) | instskip(NEXT) | instid1(VALU_DEP_2)
	v_fmac_f64_e32 v[0:1], v[22:23], v[56:57]
	v_fmac_f64_e32 v[8:9], v[24:25], v[56:57]
	s_wait_loadcnt 0xc
	s_delay_alu instid0(VALU_DEP_2) | instskip(NEXT) | instid1(VALU_DEP_2)
	;; [unrolled: 4-line block ×8, first 2 shown]
	v_fmac_f64_e32 v[0:1], v[50:51], v[72:73]
	v_fmac_f64_e32 v[8:9], v[52:53], v[72:73]
	s_and_not1_b32 exec_lo, exec_lo, s4
	s_cbranch_execnz .LBB112_9
; %bb.10:
	s_or_b32 exec_lo, exec_lo, s4
.LBB112_11:
	s_delay_alu instid0(SALU_CYCLE_1)
	s_or_b32 exec_lo, exec_lo, s3
	s_cbranch_execz .LBB112_13
	s_branch .LBB112_18
.LBB112_12:
                                        ; implicit-def: $vgpr0_vgpr1
                                        ; implicit-def: $vgpr8_vgpr9
.LBB112_13:
	v_mov_b64_e32 v[0:1], 0
	v_mov_b64_e32 v[8:9], 0
	s_and_saveexec_b32 s3, s2
	s_cbranch_execz .LBB112_17
; %bb.14:
	v_mad_u32 v12, v15, 18, 17
	v_mov_b64_e32 v[0:1], 0
	v_mov_b64_e32 v[8:9], 0
	v_mov_b32_e32 v11, 0
	s_mov_b32 s2, 0
.LBB112_15:                             ; =>This Inner Loop Header: Depth=1
	global_load_b32 v13, v15, s[6:7] scale_offset
	v_subrev_nc_u32_e32 v10, 17, v12
	s_wait_xcnt 0x0
	v_dual_add_nc_u32 v24, -8, v12 :: v_dual_add_nc_u32 v15, 8, v15
	v_dual_add_nc_u32 v40, -5, v12 :: v_dual_add_nc_u32 v52, -3, v12
	s_delay_alu instid0(VALU_DEP_3) | instskip(SKIP_1) | instid1(VALU_DEP_4)
	v_lshl_add_u64 v[20:21], v[10:11], 3, s[8:9]
	v_add_nc_u32_e32 v64, -1, v12
	v_cmp_ge_i32_e32 vcc_lo, v15, v14
	s_or_b32 s2, vcc_lo, s2
	s_wait_loadcnt 0x0
	v_subrev_nc_u32_e32 v10, s12, v13
	v_add_nc_u32_e32 v13, -7, v12
	s_clause 0x1
	global_load_b64 v[22:23], v24, s[8:9] scale_offset
	global_load_b128 v[16:19], v[20:21], off
	v_lshl_add_u32 v10, v10, 3, v10
	v_dual_add_nc_u32 v34, -6, v12 :: v_dual_add_nc_u32 v46, -4, v12
	s_delay_alu instid0(VALU_DEP_2)
	v_dual_add_nc_u32 v58, -2, v12 :: v_dual_add_nc_u32 v59, 6, v10
	global_load_b64 v[20:21], v10, s[10:11] scale_offset
	v_add_nc_u32_e32 v28, 1, v10
	global_load_b64 v[24:25], v13, s[8:9] scale_offset
	global_load_b64 v[26:27], v28, s[10:11] scale_offset
	s_wait_xcnt 0x1
	v_dual_add_nc_u32 v13, -15, v12 :: v_dual_add_nc_u32 v35, 2, v10
	s_clause 0x1
	global_load_b64 v[28:29], v13, s[8:9] scale_offset
	global_load_b64 v[30:31], v34, s[8:9] scale_offset
	global_load_b64 v[32:33], v35, s[10:11] scale_offset
	s_wait_xcnt 0x2
	v_dual_add_nc_u32 v13, -14, v12 :: v_dual_add_nc_u32 v41, 3, v10
	s_clause 0x1
	global_load_b64 v[34:35], v13, s[8:9] scale_offset
	;; [unrolled: 6-line block ×4, first 2 shown]
	global_load_b64 v[48:49], v52, s[8:9] scale_offset
	global_load_b64 v[50:51], v53, s[10:11] scale_offset
	s_wait_xcnt 0x2
	v_add_nc_u32_e32 v13, -11, v12
	s_clause 0x1
	global_load_b64 v[52:53], v13, s[8:9] scale_offset
	global_load_b64 v[54:55], v58, s[8:9] scale_offset
	;; [unrolled: 1-line block ×3, first 2 shown]
	s_wait_xcnt 0x2
	v_dual_add_nc_u32 v13, -10, v12 :: v_dual_add_nc_u32 v65, 7, v10
	s_clause 0x1
	global_load_b64 v[58:59], v13, s[8:9] scale_offset
	global_load_b64 v[60:61], v64, s[8:9] scale_offset
	;; [unrolled: 1-line block ×3, first 2 shown]
	s_wait_xcnt 0x2
	v_dual_add_nc_u32 v10, 8, v10 :: v_dual_add_nc_u32 v13, -9, v12
	s_wait_loadcnt 0x14
	v_fmac_f64_e32 v[8:9], v[22:23], v[20:21]
	s_clause 0x1
	global_load_b64 v[22:23], v12, s[8:9] scale_offset
	global_load_b64 v[64:65], v13, s[8:9] scale_offset
	v_fmac_f64_e32 v[0:1], v[16:17], v[20:21]
	global_load_b64 v[16:17], v10, s[10:11] scale_offset
	s_wait_xcnt 0x2
	v_add_nc_u32_e32 v12, 0x90, v12
	s_wait_loadcnt 0x15
	v_fmac_f64_e32 v[8:9], v[24:25], v[26:27]
	v_fmac_f64_e32 v[0:1], v[18:19], v[26:27]
	s_wait_loadcnt 0x12
	s_delay_alu instid0(VALU_DEP_2) | instskip(NEXT) | instid1(VALU_DEP_2)
	v_fmac_f64_e32 v[8:9], v[30:31], v[32:33]
	v_fmac_f64_e32 v[0:1], v[28:29], v[32:33]
	s_wait_loadcnt 0xf
	s_delay_alu instid0(VALU_DEP_2) | instskip(NEXT) | instid1(VALU_DEP_2)
	;; [unrolled: 4-line block ×6, first 2 shown]
	v_fmac_f64_e32 v[8:9], v[60:61], v[62:63]
	v_fmac_f64_e32 v[0:1], v[58:59], v[62:63]
	s_wait_loadcnt 0x0
	s_delay_alu instid0(VALU_DEP_1) | instskip(NEXT) | instid1(VALU_DEP_3)
	v_fmac_f64_e32 v[0:1], v[64:65], v[16:17]
	v_fmac_f64_e32 v[8:9], v[22:23], v[16:17]
	s_and_not1_b32 exec_lo, exec_lo, s2
	s_cbranch_execnz .LBB112_15
; %bb.16:
	s_or_b32 exec_lo, exec_lo, s2
.LBB112_17:
	s_delay_alu instid0(SALU_CYCLE_1)
	s_or_b32 exec_lo, exec_lo, s3
.LBB112_18:
	v_mbcnt_lo_u32_b32 v14, -1, 0
	s_delay_alu instid0(VALU_DEP_1) | instskip(NEXT) | instid1(VALU_DEP_1)
	v_xor_b32_e32 v10, 4, v14
	v_cmp_gt_i32_e32 vcc_lo, 32, v10
	v_cndmask_b32_e32 v10, v14, v10, vcc_lo
	s_delay_alu instid0(VALU_DEP_1)
	v_lshlrev_b32_e32 v13, 2, v10
	ds_bpermute_b32 v10, v13, v0
	ds_bpermute_b32 v11, v13, v1
	s_wait_dscnt 0x0
	v_add_f64_e32 v[0:1], v[0:1], v[10:11]
	v_xor_b32_e32 v10, 2, v14
	s_delay_alu instid0(VALU_DEP_1)
	v_cmp_gt_i32_e32 vcc_lo, 32, v10
	v_cndmask_b32_e32 v10, v14, v10, vcc_lo
	ds_bpermute_b32 v12, v13, v8
	ds_bpermute_b32 v13, v13, v9
	s_wait_dscnt 0x0
	v_dual_add_f64 v[8:9], v[8:9], v[12:13] :: v_dual_lshlrev_b32 v13, 2, v10
	ds_bpermute_b32 v10, v13, v0
	ds_bpermute_b32 v11, v13, v1
	s_wait_dscnt 0x0
	v_add_f64_e32 v[0:1], v[0:1], v[10:11]
	ds_bpermute_b32 v12, v13, v8
	ds_bpermute_b32 v13, v13, v9
	s_wait_dscnt 0x0
	v_dual_add_f64 v[10:11], v[8:9], v[12:13] :: v_dual_bitop2_b32 v8, 1, v14 bitop3:0x14
	s_delay_alu instid0(VALU_DEP_1) | instskip(SKIP_2) | instid1(VALU_DEP_2)
	v_cmp_gt_i32_e32 vcc_lo, 32, v8
	v_cndmask_b32_e32 v8, v14, v8, vcc_lo
	v_cmp_eq_u32_e32 vcc_lo, 7, v7
	v_lshlrev_b32_e32 v13, 2, v8
	ds_bpermute_b32 v8, v13, v0
	ds_bpermute_b32 v9, v13, v1
	;; [unrolled: 1-line block ×4, first 2 shown]
	s_and_b32 exec_lo, exec_lo, vcc_lo
	s_cbranch_execz .LBB112_23
; %bb.19:
	s_wait_dscnt 0x2
	v_add_f64_e32 v[8:9], v[0:1], v[8:9]
	s_wait_dscnt 0x0
	v_add_f64_e32 v[0:1], v[10:11], v[12:13]
	s_load_b64 s[0:1], s[0:1], 0x38
	s_mov_b32 s2, exec_lo
	v_cmpx_eq_f64_e32 0, v[4:5]
	s_xor_b32 s2, exec_lo, s2
	s_cbranch_execz .LBB112_21
; %bb.20:
	s_delay_alu instid0(VALU_DEP_3) | instskip(NEXT) | instid1(VALU_DEP_3)
	v_mul_f64_e32 v[8:9], v[2:3], v[8:9]
	v_dual_mul_f64 v[10:11], v[2:3], v[0:1] :: v_dual_lshlrev_b32 v0, 1, v6
                                        ; implicit-def: $vgpr6
                                        ; implicit-def: $vgpr2_vgpr3
                                        ; implicit-def: $vgpr4_vgpr5
	s_delay_alu instid0(VALU_DEP_1) | instskip(SKIP_1) | instid1(VALU_DEP_1)
	v_ashrrev_i32_e32 v1, 31, v0
	s_wait_kmcnt 0x0
	v_lshl_add_u64 v[0:1], v[0:1], 3, s[0:1]
	global_store_b128 v[0:1], v[8:11], off
                                        ; implicit-def: $vgpr8_vgpr9
                                        ; implicit-def: $vgpr0_vgpr1
.LBB112_21:
	s_wait_xcnt 0x0
	s_and_not1_saveexec_b32 s2, s2
	s_cbranch_execz .LBB112_23
; %bb.22:
	v_lshlrev_b32_e32 v6, 1, v6
	s_delay_alu instid0(VALU_DEP_1) | instskip(SKIP_1) | instid1(VALU_DEP_1)
	v_ashrrev_i32_e32 v7, 31, v6
	s_wait_kmcnt 0x0
	v_lshl_add_u64 v[14:15], v[6:7], 3, s[0:1]
	v_mul_f64_e32 v[6:7], v[2:3], v[8:9]
	v_mul_f64_e32 v[8:9], v[2:3], v[0:1]
	global_load_b128 v[10:13], v[14:15], off
	s_wait_loadcnt 0x0
	v_fmac_f64_e32 v[6:7], v[4:5], v[10:11]
	v_fmac_f64_e32 v[8:9], v[4:5], v[12:13]
	global_store_b128 v[14:15], v[6:9], off
.LBB112_23:
	s_sendmsg sendmsg(MSG_DEALLOC_VGPRS)
	s_endpgm
	.section	.rodata,"a",@progbits
	.p2align	6, 0x0
	.amdhsa_kernel _ZN9rocsparseL19gebsrmvn_2xn_kernelILj128ELj9ELj8EdEEvi20rocsparse_direction_NS_24const_host_device_scalarIT2_EEPKiS6_PKS3_S8_S4_PS3_21rocsparse_index_base_b
		.amdhsa_group_segment_fixed_size 0
		.amdhsa_private_segment_fixed_size 0
		.amdhsa_kernarg_size 72
		.amdhsa_user_sgpr_count 2
		.amdhsa_user_sgpr_dispatch_ptr 0
		.amdhsa_user_sgpr_queue_ptr 0
		.amdhsa_user_sgpr_kernarg_segment_ptr 1
		.amdhsa_user_sgpr_dispatch_id 0
		.amdhsa_user_sgpr_kernarg_preload_length 0
		.amdhsa_user_sgpr_kernarg_preload_offset 0
		.amdhsa_user_sgpr_private_segment_size 0
		.amdhsa_wavefront_size32 1
		.amdhsa_uses_dynamic_stack 0
		.amdhsa_enable_private_segment 0
		.amdhsa_system_sgpr_workgroup_id_x 1
		.amdhsa_system_sgpr_workgroup_id_y 0
		.amdhsa_system_sgpr_workgroup_id_z 0
		.amdhsa_system_sgpr_workgroup_info 0
		.amdhsa_system_vgpr_workitem_id 0
		.amdhsa_next_free_vgpr 74
		.amdhsa_next_free_sgpr 14
		.amdhsa_named_barrier_count 0
		.amdhsa_reserve_vcc 1
		.amdhsa_float_round_mode_32 0
		.amdhsa_float_round_mode_16_64 0
		.amdhsa_float_denorm_mode_32 3
		.amdhsa_float_denorm_mode_16_64 3
		.amdhsa_fp16_overflow 0
		.amdhsa_memory_ordered 1
		.amdhsa_forward_progress 1
		.amdhsa_inst_pref_size 17
		.amdhsa_round_robin_scheduling 0
		.amdhsa_exception_fp_ieee_invalid_op 0
		.amdhsa_exception_fp_denorm_src 0
		.amdhsa_exception_fp_ieee_div_zero 0
		.amdhsa_exception_fp_ieee_overflow 0
		.amdhsa_exception_fp_ieee_underflow 0
		.amdhsa_exception_fp_ieee_inexact 0
		.amdhsa_exception_int_div_zero 0
	.end_amdhsa_kernel
	.section	.text._ZN9rocsparseL19gebsrmvn_2xn_kernelILj128ELj9ELj8EdEEvi20rocsparse_direction_NS_24const_host_device_scalarIT2_EEPKiS6_PKS3_S8_S4_PS3_21rocsparse_index_base_b,"axG",@progbits,_ZN9rocsparseL19gebsrmvn_2xn_kernelILj128ELj9ELj8EdEEvi20rocsparse_direction_NS_24const_host_device_scalarIT2_EEPKiS6_PKS3_S8_S4_PS3_21rocsparse_index_base_b,comdat
.Lfunc_end112:
	.size	_ZN9rocsparseL19gebsrmvn_2xn_kernelILj128ELj9ELj8EdEEvi20rocsparse_direction_NS_24const_host_device_scalarIT2_EEPKiS6_PKS3_S8_S4_PS3_21rocsparse_index_base_b, .Lfunc_end112-_ZN9rocsparseL19gebsrmvn_2xn_kernelILj128ELj9ELj8EdEEvi20rocsparse_direction_NS_24const_host_device_scalarIT2_EEPKiS6_PKS3_S8_S4_PS3_21rocsparse_index_base_b
                                        ; -- End function
	.set _ZN9rocsparseL19gebsrmvn_2xn_kernelILj128ELj9ELj8EdEEvi20rocsparse_direction_NS_24const_host_device_scalarIT2_EEPKiS6_PKS3_S8_S4_PS3_21rocsparse_index_base_b.num_vgpr, 74
	.set _ZN9rocsparseL19gebsrmvn_2xn_kernelILj128ELj9ELj8EdEEvi20rocsparse_direction_NS_24const_host_device_scalarIT2_EEPKiS6_PKS3_S8_S4_PS3_21rocsparse_index_base_b.num_agpr, 0
	.set _ZN9rocsparseL19gebsrmvn_2xn_kernelILj128ELj9ELj8EdEEvi20rocsparse_direction_NS_24const_host_device_scalarIT2_EEPKiS6_PKS3_S8_S4_PS3_21rocsparse_index_base_b.numbered_sgpr, 14
	.set _ZN9rocsparseL19gebsrmvn_2xn_kernelILj128ELj9ELj8EdEEvi20rocsparse_direction_NS_24const_host_device_scalarIT2_EEPKiS6_PKS3_S8_S4_PS3_21rocsparse_index_base_b.num_named_barrier, 0
	.set _ZN9rocsparseL19gebsrmvn_2xn_kernelILj128ELj9ELj8EdEEvi20rocsparse_direction_NS_24const_host_device_scalarIT2_EEPKiS6_PKS3_S8_S4_PS3_21rocsparse_index_base_b.private_seg_size, 0
	.set _ZN9rocsparseL19gebsrmvn_2xn_kernelILj128ELj9ELj8EdEEvi20rocsparse_direction_NS_24const_host_device_scalarIT2_EEPKiS6_PKS3_S8_S4_PS3_21rocsparse_index_base_b.uses_vcc, 1
	.set _ZN9rocsparseL19gebsrmvn_2xn_kernelILj128ELj9ELj8EdEEvi20rocsparse_direction_NS_24const_host_device_scalarIT2_EEPKiS6_PKS3_S8_S4_PS3_21rocsparse_index_base_b.uses_flat_scratch, 0
	.set _ZN9rocsparseL19gebsrmvn_2xn_kernelILj128ELj9ELj8EdEEvi20rocsparse_direction_NS_24const_host_device_scalarIT2_EEPKiS6_PKS3_S8_S4_PS3_21rocsparse_index_base_b.has_dyn_sized_stack, 0
	.set _ZN9rocsparseL19gebsrmvn_2xn_kernelILj128ELj9ELj8EdEEvi20rocsparse_direction_NS_24const_host_device_scalarIT2_EEPKiS6_PKS3_S8_S4_PS3_21rocsparse_index_base_b.has_recursion, 0
	.set _ZN9rocsparseL19gebsrmvn_2xn_kernelILj128ELj9ELj8EdEEvi20rocsparse_direction_NS_24const_host_device_scalarIT2_EEPKiS6_PKS3_S8_S4_PS3_21rocsparse_index_base_b.has_indirect_call, 0
	.section	.AMDGPU.csdata,"",@progbits
; Kernel info:
; codeLenInByte = 2176
; TotalNumSgprs: 16
; NumVgprs: 74
; ScratchSize: 0
; MemoryBound: 0
; FloatMode: 240
; IeeeMode: 1
; LDSByteSize: 0 bytes/workgroup (compile time only)
; SGPRBlocks: 0
; VGPRBlocks: 4
; NumSGPRsForWavesPerEU: 16
; NumVGPRsForWavesPerEU: 74
; NamedBarCnt: 0
; Occupancy: 12
; WaveLimiterHint : 1
; COMPUTE_PGM_RSRC2:SCRATCH_EN: 0
; COMPUTE_PGM_RSRC2:USER_SGPR: 2
; COMPUTE_PGM_RSRC2:TRAP_HANDLER: 0
; COMPUTE_PGM_RSRC2:TGID_X_EN: 1
; COMPUTE_PGM_RSRC2:TGID_Y_EN: 0
; COMPUTE_PGM_RSRC2:TGID_Z_EN: 0
; COMPUTE_PGM_RSRC2:TIDIG_COMP_CNT: 0
	.section	.text._ZN9rocsparseL19gebsrmvn_2xn_kernelILj128ELj9ELj16EdEEvi20rocsparse_direction_NS_24const_host_device_scalarIT2_EEPKiS6_PKS3_S8_S4_PS3_21rocsparse_index_base_b,"axG",@progbits,_ZN9rocsparseL19gebsrmvn_2xn_kernelILj128ELj9ELj16EdEEvi20rocsparse_direction_NS_24const_host_device_scalarIT2_EEPKiS6_PKS3_S8_S4_PS3_21rocsparse_index_base_b,comdat
	.globl	_ZN9rocsparseL19gebsrmvn_2xn_kernelILj128ELj9ELj16EdEEvi20rocsparse_direction_NS_24const_host_device_scalarIT2_EEPKiS6_PKS3_S8_S4_PS3_21rocsparse_index_base_b ; -- Begin function _ZN9rocsparseL19gebsrmvn_2xn_kernelILj128ELj9ELj16EdEEvi20rocsparse_direction_NS_24const_host_device_scalarIT2_EEPKiS6_PKS3_S8_S4_PS3_21rocsparse_index_base_b
	.p2align	8
	.type	_ZN9rocsparseL19gebsrmvn_2xn_kernelILj128ELj9ELj16EdEEvi20rocsparse_direction_NS_24const_host_device_scalarIT2_EEPKiS6_PKS3_S8_S4_PS3_21rocsparse_index_base_b,@function
_ZN9rocsparseL19gebsrmvn_2xn_kernelILj128ELj9ELj16EdEEvi20rocsparse_direction_NS_24const_host_device_scalarIT2_EEPKiS6_PKS3_S8_S4_PS3_21rocsparse_index_base_b: ; @_ZN9rocsparseL19gebsrmvn_2xn_kernelILj128ELj9ELj16EdEEvi20rocsparse_direction_NS_24const_host_device_scalarIT2_EEPKiS6_PKS3_S8_S4_PS3_21rocsparse_index_base_b
; %bb.0:
	s_clause 0x2
	s_load_b64 s[12:13], s[0:1], 0x40
	s_load_b64 s[4:5], s[0:1], 0x8
	s_load_b64 s[2:3], s[0:1], 0x30
	s_wait_kmcnt 0x0
	s_bitcmp1_b32 s13, 0
	v_mov_b64_e32 v[2:3], s[4:5]
	s_cselect_b32 s6, -1, 0
	s_delay_alu instid0(SALU_CYCLE_1)
	s_and_b32 vcc_lo, exec_lo, s6
	s_xor_b32 s6, s6, -1
	s_cbranch_vccnz .LBB113_2
; %bb.1:
	v_mov_b32_e32 v1, 0
	flat_load_b64 v[2:3], v1, s[4:5]
.LBB113_2:
	v_mov_b64_e32 v[4:5], s[2:3]
	s_and_not1_b32 vcc_lo, exec_lo, s6
	s_cbranch_vccnz .LBB113_4
; %bb.3:
	s_wait_xcnt 0x0
	v_mov_b32_e32 v1, 0
	flat_load_b64 v[4:5], v1, s[2:3]
.LBB113_4:
	s_wait_loadcnt_dscnt 0x0
	v_cmp_neq_f64_e32 vcc_lo, 0, v[2:3]
	s_delay_alu instid0(VALU_DEP_2) | instskip(SKIP_1) | instid1(SALU_CYCLE_1)
	v_cmp_neq_f64_e64 s2, 1.0, v[4:5]
	s_or_b32 s2, vcc_lo, s2
	s_and_saveexec_b32 s3, s2
	s_cbranch_execz .LBB113_23
; %bb.5:
	s_load_b64 s[2:3], s[0:1], 0x0
	s_bfe_u32 s4, ttmp6, 0x4000c
	s_and_b32 s5, ttmp6, 15
	s_add_co_i32 s4, s4, 1
	s_getreg_b32 s6, hwreg(HW_REG_IB_STS2, 6, 4)
	s_mul_i32 s4, ttmp9, s4
	v_lshrrev_b32_e32 v1, 4, v0
	s_add_co_i32 s5, s5, s4
	s_cmp_eq_u32 s6, 0
	s_cselect_b32 s4, ttmp9, s5
	s_delay_alu instid0(VALU_DEP_1) | instid1(SALU_CYCLE_1)
	v_lshl_or_b32 v6, s4, 3, v1
	s_wait_kmcnt 0x0
	s_delay_alu instid0(VALU_DEP_1)
	v_cmp_gt_i32_e32 vcc_lo, s2, v6
	s_and_b32 exec_lo, exec_lo, vcc_lo
	s_cbranch_execz .LBB113_23
; %bb.6:
	s_load_b256 s[4:11], s[0:1], 0x10
	v_ashrrev_i32_e32 v7, 31, v6
	s_cmp_lg_u32 s3, 0
	s_wait_kmcnt 0x0
	s_delay_alu instid0(VALU_DEP_1)
	v_lshl_add_u64 v[8:9], v[6:7], 2, s[4:5]
	v_and_b32_e32 v7, 15, v0
	global_load_b64 v[8:9], v[8:9], off
	s_wait_loadcnt 0x0
	v_subrev_nc_u32_e32 v0, s12, v8
	v_subrev_nc_u32_e32 v14, s12, v9
	s_delay_alu instid0(VALU_DEP_2) | instskip(NEXT) | instid1(VALU_DEP_1)
	v_add_nc_u32_e32 v15, v0, v7
	v_cmp_lt_i32_e64 s2, v15, v14
	s_cbranch_scc0 .LBB113_12
; %bb.7:
	v_mov_b64_e32 v[0:1], 0
	v_mov_b64_e32 v[8:9], 0
	s_and_saveexec_b32 s3, s2
	s_cbranch_execz .LBB113_11
; %bb.8:
	v_mad_u32 v10, v15, 18, 16
	v_mov_b64_e32 v[0:1], 0
	v_mov_b64_e32 v[8:9], 0
	v_dual_mov_b32 v13, 0 :: v_dual_mov_b32 v16, v15
	s_mov_b32 s4, 0
.LBB113_9:                              ; =>This Inner Loop Header: Depth=1
	global_load_b32 v11, v16, s[6:7] scale_offset
	s_wait_xcnt 0x0
	v_add_nc_u32_e32 v16, 16, v16
	s_delay_alu instid0(VALU_DEP_1) | instskip(SKIP_3) | instid1(VALU_DEP_1)
	v_cmp_ge_i32_e32 vcc_lo, v16, v14
	s_or_b32 s4, vcc_lo, s4
	s_wait_loadcnt 0x0
	v_subrev_nc_u32_e32 v11, s12, v11
	v_lshl_add_u32 v17, v11, 3, v11
	s_delay_alu instid0(VALU_DEP_1) | instskip(NEXT) | instid1(VALU_DEP_1)
	v_dual_add_nc_u32 v12, -16, v10 :: v_dual_add_nc_u32 v11, 1, v17
	v_lshl_add_u64 v[22:23], v[12:13], 3, s[8:9]
	global_load_b128 v[18:21], v[22:23], off
	global_load_b64 v[54:55], v17, s[10:11] scale_offset
	v_add_nc_u32_e32 v12, -14, v10
	s_delay_alu instid0(VALU_DEP_1) | instskip(SKIP_4) | instid1(VALU_DEP_1)
	v_lshl_add_u64 v[26:27], v[12:13], 3, s[8:9]
	global_load_b128 v[22:25], v[26:27], off
	global_load_b64 v[56:57], v11, s[10:11] scale_offset
	s_wait_xcnt 0x0
	v_dual_add_nc_u32 v12, -12, v10 :: v_dual_add_nc_u32 v11, 2, v17
	v_lshl_add_u64 v[30:31], v[12:13], 3, s[8:9]
	global_load_b128 v[26:29], v[30:31], off
	global_load_b64 v[58:59], v11, s[10:11] scale_offset
	s_wait_xcnt 0x0
	v_dual_add_nc_u32 v12, -10, v10 :: v_dual_add_nc_u32 v11, 3, v17
	s_delay_alu instid0(VALU_DEP_1) | instskip(SKIP_4) | instid1(VALU_DEP_1)
	v_lshl_add_u64 v[34:35], v[12:13], 3, s[8:9]
	global_load_b128 v[30:33], v[34:35], off
	global_load_b64 v[60:61], v11, s[10:11] scale_offset
	s_wait_xcnt 0x0
	v_dual_add_nc_u32 v12, -8, v10 :: v_dual_add_nc_u32 v11, 4, v17
	v_lshl_add_u64 v[38:39], v[12:13], 3, s[8:9]
	global_load_b128 v[34:37], v[38:39], off
	global_load_b64 v[62:63], v11, s[10:11] scale_offset
	s_wait_xcnt 0x0
	v_dual_add_nc_u32 v12, -6, v10 :: v_dual_add_nc_u32 v11, 5, v17
	;; [unrolled: 11-line block ×3, first 2 shown]
	s_delay_alu instid0(VALU_DEP_1) | instskip(SKIP_4) | instid1(VALU_DEP_1)
	v_lshl_add_u64 v[50:51], v[12:13], 3, s[8:9]
	global_load_b128 v[46:49], v[50:51], off
	global_load_b64 v[68:69], v11, s[10:11] scale_offset
	s_wait_xcnt 0x0
	v_mov_b32_e32 v11, v13
	v_lshl_add_u64 v[70:71], v[10:11], 3, s[8:9]
	v_add_nc_u32_e32 v11, 8, v17
	global_load_b128 v[50:53], v[70:71], off
	global_load_b64 v[72:73], v11, s[10:11] scale_offset
	v_add_nc_u32_e32 v10, 0x120, v10
	s_wait_loadcnt 0x10
	v_fmac_f64_e32 v[0:1], v[18:19], v[54:55]
	v_fmac_f64_e32 v[8:9], v[20:21], v[54:55]
	s_wait_loadcnt 0xe
	s_delay_alu instid0(VALU_DEP_2) | instskip(NEXT) | instid1(VALU_DEP_2)
	v_fmac_f64_e32 v[0:1], v[22:23], v[56:57]
	v_fmac_f64_e32 v[8:9], v[24:25], v[56:57]
	s_wait_loadcnt 0xc
	s_delay_alu instid0(VALU_DEP_2) | instskip(NEXT) | instid1(VALU_DEP_2)
	;; [unrolled: 4-line block ×8, first 2 shown]
	v_fmac_f64_e32 v[0:1], v[50:51], v[72:73]
	v_fmac_f64_e32 v[8:9], v[52:53], v[72:73]
	s_and_not1_b32 exec_lo, exec_lo, s4
	s_cbranch_execnz .LBB113_9
; %bb.10:
	s_or_b32 exec_lo, exec_lo, s4
.LBB113_11:
	s_delay_alu instid0(SALU_CYCLE_1)
	s_or_b32 exec_lo, exec_lo, s3
	s_cbranch_execz .LBB113_13
	s_branch .LBB113_18
.LBB113_12:
                                        ; implicit-def: $vgpr0_vgpr1
                                        ; implicit-def: $vgpr8_vgpr9
.LBB113_13:
	v_mov_b64_e32 v[0:1], 0
	v_mov_b64_e32 v[8:9], 0
	s_and_saveexec_b32 s3, s2
	s_cbranch_execz .LBB113_17
; %bb.14:
	v_mad_u32 v12, v15, 18, 17
	v_mov_b64_e32 v[0:1], 0
	v_mov_b64_e32 v[8:9], 0
	v_mov_b32_e32 v11, 0
	s_mov_b32 s2, 0
.LBB113_15:                             ; =>This Inner Loop Header: Depth=1
	global_load_b32 v13, v15, s[6:7] scale_offset
	v_subrev_nc_u32_e32 v10, 17, v12
	s_wait_xcnt 0x0
	v_dual_add_nc_u32 v24, -8, v12 :: v_dual_add_nc_u32 v15, 16, v15
	v_dual_add_nc_u32 v40, -5, v12 :: v_dual_add_nc_u32 v52, -3, v12
	s_delay_alu instid0(VALU_DEP_3) | instskip(SKIP_1) | instid1(VALU_DEP_4)
	v_lshl_add_u64 v[20:21], v[10:11], 3, s[8:9]
	v_add_nc_u32_e32 v64, -1, v12
	v_cmp_ge_i32_e32 vcc_lo, v15, v14
	s_or_b32 s2, vcc_lo, s2
	s_wait_loadcnt 0x0
	v_subrev_nc_u32_e32 v10, s12, v13
	v_add_nc_u32_e32 v13, -7, v12
	s_clause 0x1
	global_load_b64 v[22:23], v24, s[8:9] scale_offset
	global_load_b128 v[16:19], v[20:21], off
	v_lshl_add_u32 v10, v10, 3, v10
	v_dual_add_nc_u32 v34, -6, v12 :: v_dual_add_nc_u32 v46, -4, v12
	s_delay_alu instid0(VALU_DEP_2)
	v_dual_add_nc_u32 v58, -2, v12 :: v_dual_add_nc_u32 v59, 6, v10
	global_load_b64 v[20:21], v10, s[10:11] scale_offset
	v_add_nc_u32_e32 v28, 1, v10
	global_load_b64 v[24:25], v13, s[8:9] scale_offset
	global_load_b64 v[26:27], v28, s[10:11] scale_offset
	s_wait_xcnt 0x1
	v_dual_add_nc_u32 v13, -15, v12 :: v_dual_add_nc_u32 v35, 2, v10
	s_clause 0x1
	global_load_b64 v[28:29], v13, s[8:9] scale_offset
	global_load_b64 v[30:31], v34, s[8:9] scale_offset
	global_load_b64 v[32:33], v35, s[10:11] scale_offset
	s_wait_xcnt 0x2
	v_dual_add_nc_u32 v13, -14, v12 :: v_dual_add_nc_u32 v41, 3, v10
	s_clause 0x1
	global_load_b64 v[34:35], v13, s[8:9] scale_offset
	global_load_b64 v[36:37], v40, s[8:9] scale_offset
	global_load_b64 v[38:39], v41, s[10:11] scale_offset
	s_wait_xcnt 0x2
	v_dual_add_nc_u32 v13, -13, v12 :: v_dual_add_nc_u32 v47, 4, v10
	s_clause 0x1
	global_load_b64 v[40:41], v13, s[8:9] scale_offset
	global_load_b64 v[42:43], v46, s[8:9] scale_offset
	global_load_b64 v[44:45], v47, s[10:11] scale_offset
	s_wait_xcnt 0x2
	v_dual_add_nc_u32 v13, -12, v12 :: v_dual_add_nc_u32 v53, 5, v10
	s_clause 0x1
	global_load_b64 v[46:47], v13, s[8:9] scale_offset
	global_load_b64 v[48:49], v52, s[8:9] scale_offset
	global_load_b64 v[50:51], v53, s[10:11] scale_offset
	s_wait_xcnt 0x2
	v_add_nc_u32_e32 v13, -11, v12
	s_clause 0x1
	global_load_b64 v[52:53], v13, s[8:9] scale_offset
	global_load_b64 v[54:55], v58, s[8:9] scale_offset
	;; [unrolled: 1-line block ×3, first 2 shown]
	s_wait_xcnt 0x2
	v_dual_add_nc_u32 v13, -10, v12 :: v_dual_add_nc_u32 v65, 7, v10
	s_clause 0x1
	global_load_b64 v[58:59], v13, s[8:9] scale_offset
	global_load_b64 v[60:61], v64, s[8:9] scale_offset
	;; [unrolled: 1-line block ×3, first 2 shown]
	s_wait_xcnt 0x2
	v_dual_add_nc_u32 v10, 8, v10 :: v_dual_add_nc_u32 v13, -9, v12
	s_wait_loadcnt 0x14
	v_fmac_f64_e32 v[8:9], v[22:23], v[20:21]
	s_clause 0x1
	global_load_b64 v[22:23], v12, s[8:9] scale_offset
	global_load_b64 v[64:65], v13, s[8:9] scale_offset
	v_fmac_f64_e32 v[0:1], v[16:17], v[20:21]
	global_load_b64 v[16:17], v10, s[10:11] scale_offset
	s_wait_xcnt 0x2
	v_add_nc_u32_e32 v12, 0x120, v12
	s_wait_loadcnt 0x15
	v_fmac_f64_e32 v[8:9], v[24:25], v[26:27]
	v_fmac_f64_e32 v[0:1], v[18:19], v[26:27]
	s_wait_loadcnt 0x12
	s_delay_alu instid0(VALU_DEP_2) | instskip(NEXT) | instid1(VALU_DEP_2)
	v_fmac_f64_e32 v[8:9], v[30:31], v[32:33]
	v_fmac_f64_e32 v[0:1], v[28:29], v[32:33]
	s_wait_loadcnt 0xf
	s_delay_alu instid0(VALU_DEP_2) | instskip(NEXT) | instid1(VALU_DEP_2)
	;; [unrolled: 4-line block ×6, first 2 shown]
	v_fmac_f64_e32 v[8:9], v[60:61], v[62:63]
	v_fmac_f64_e32 v[0:1], v[58:59], v[62:63]
	s_wait_loadcnt 0x0
	s_delay_alu instid0(VALU_DEP_1) | instskip(NEXT) | instid1(VALU_DEP_3)
	v_fmac_f64_e32 v[0:1], v[64:65], v[16:17]
	v_fmac_f64_e32 v[8:9], v[22:23], v[16:17]
	s_and_not1_b32 exec_lo, exec_lo, s2
	s_cbranch_execnz .LBB113_15
; %bb.16:
	s_or_b32 exec_lo, exec_lo, s2
.LBB113_17:
	s_delay_alu instid0(SALU_CYCLE_1)
	s_or_b32 exec_lo, exec_lo, s3
.LBB113_18:
	v_mbcnt_lo_u32_b32 v14, -1, 0
	s_delay_alu instid0(VALU_DEP_1) | instskip(NEXT) | instid1(VALU_DEP_1)
	v_xor_b32_e32 v10, 8, v14
	v_cmp_gt_i32_e32 vcc_lo, 32, v10
	v_cndmask_b32_e32 v10, v14, v10, vcc_lo
	s_delay_alu instid0(VALU_DEP_1)
	v_lshlrev_b32_e32 v13, 2, v10
	ds_bpermute_b32 v10, v13, v0
	ds_bpermute_b32 v11, v13, v1
	s_wait_dscnt 0x0
	v_add_f64_e32 v[0:1], v[0:1], v[10:11]
	v_xor_b32_e32 v10, 4, v14
	s_delay_alu instid0(VALU_DEP_1)
	v_cmp_gt_i32_e32 vcc_lo, 32, v10
	v_cndmask_b32_e32 v10, v14, v10, vcc_lo
	ds_bpermute_b32 v12, v13, v8
	ds_bpermute_b32 v13, v13, v9
	s_wait_dscnt 0x0
	v_dual_add_f64 v[8:9], v[8:9], v[12:13] :: v_dual_lshlrev_b32 v13, 2, v10
	ds_bpermute_b32 v10, v13, v0
	ds_bpermute_b32 v11, v13, v1
	s_wait_dscnt 0x0
	v_add_f64_e32 v[0:1], v[0:1], v[10:11]
	v_xor_b32_e32 v10, 2, v14
	s_delay_alu instid0(VALU_DEP_1)
	v_cmp_gt_i32_e32 vcc_lo, 32, v10
	v_cndmask_b32_e32 v10, v14, v10, vcc_lo
	ds_bpermute_b32 v12, v13, v8
	ds_bpermute_b32 v13, v13, v9
	s_wait_dscnt 0x0
	v_dual_add_f64 v[8:9], v[8:9], v[12:13] :: v_dual_lshlrev_b32 v13, 2, v10
	ds_bpermute_b32 v10, v13, v0
	ds_bpermute_b32 v11, v13, v1
	s_wait_dscnt 0x0
	v_add_f64_e32 v[0:1], v[0:1], v[10:11]
	ds_bpermute_b32 v12, v13, v8
	ds_bpermute_b32 v13, v13, v9
	s_wait_dscnt 0x0
	v_dual_add_f64 v[10:11], v[8:9], v[12:13] :: v_dual_bitop2_b32 v8, 1, v14 bitop3:0x14
	s_delay_alu instid0(VALU_DEP_1) | instskip(SKIP_2) | instid1(VALU_DEP_2)
	v_cmp_gt_i32_e32 vcc_lo, 32, v8
	v_cndmask_b32_e32 v8, v14, v8, vcc_lo
	v_cmp_eq_u32_e32 vcc_lo, 15, v7
	v_lshlrev_b32_e32 v13, 2, v8
	ds_bpermute_b32 v8, v13, v0
	ds_bpermute_b32 v9, v13, v1
	;; [unrolled: 1-line block ×4, first 2 shown]
	s_and_b32 exec_lo, exec_lo, vcc_lo
	s_cbranch_execz .LBB113_23
; %bb.19:
	s_wait_dscnt 0x2
	v_add_f64_e32 v[8:9], v[0:1], v[8:9]
	s_wait_dscnt 0x0
	v_add_f64_e32 v[0:1], v[10:11], v[12:13]
	s_load_b64 s[0:1], s[0:1], 0x38
	s_mov_b32 s2, exec_lo
	v_cmpx_eq_f64_e32 0, v[4:5]
	s_xor_b32 s2, exec_lo, s2
	s_cbranch_execz .LBB113_21
; %bb.20:
	s_delay_alu instid0(VALU_DEP_3) | instskip(NEXT) | instid1(VALU_DEP_3)
	v_mul_f64_e32 v[8:9], v[2:3], v[8:9]
	v_dual_mul_f64 v[10:11], v[2:3], v[0:1] :: v_dual_lshlrev_b32 v0, 1, v6
                                        ; implicit-def: $vgpr6
                                        ; implicit-def: $vgpr2_vgpr3
                                        ; implicit-def: $vgpr4_vgpr5
	s_delay_alu instid0(VALU_DEP_1) | instskip(SKIP_1) | instid1(VALU_DEP_1)
	v_ashrrev_i32_e32 v1, 31, v0
	s_wait_kmcnt 0x0
	v_lshl_add_u64 v[0:1], v[0:1], 3, s[0:1]
	global_store_b128 v[0:1], v[8:11], off
                                        ; implicit-def: $vgpr8_vgpr9
                                        ; implicit-def: $vgpr0_vgpr1
.LBB113_21:
	s_wait_xcnt 0x0
	s_and_not1_saveexec_b32 s2, s2
	s_cbranch_execz .LBB113_23
; %bb.22:
	v_lshlrev_b32_e32 v6, 1, v6
	s_delay_alu instid0(VALU_DEP_1) | instskip(SKIP_1) | instid1(VALU_DEP_1)
	v_ashrrev_i32_e32 v7, 31, v6
	s_wait_kmcnt 0x0
	v_lshl_add_u64 v[14:15], v[6:7], 3, s[0:1]
	v_mul_f64_e32 v[6:7], v[2:3], v[8:9]
	v_mul_f64_e32 v[8:9], v[2:3], v[0:1]
	global_load_b128 v[10:13], v[14:15], off
	s_wait_loadcnt 0x0
	v_fmac_f64_e32 v[6:7], v[4:5], v[10:11]
	v_fmac_f64_e32 v[8:9], v[4:5], v[12:13]
	global_store_b128 v[14:15], v[6:9], off
.LBB113_23:
	s_sendmsg sendmsg(MSG_DEALLOC_VGPRS)
	s_endpgm
	.section	.rodata,"a",@progbits
	.p2align	6, 0x0
	.amdhsa_kernel _ZN9rocsparseL19gebsrmvn_2xn_kernelILj128ELj9ELj16EdEEvi20rocsparse_direction_NS_24const_host_device_scalarIT2_EEPKiS6_PKS3_S8_S4_PS3_21rocsparse_index_base_b
		.amdhsa_group_segment_fixed_size 0
		.amdhsa_private_segment_fixed_size 0
		.amdhsa_kernarg_size 72
		.amdhsa_user_sgpr_count 2
		.amdhsa_user_sgpr_dispatch_ptr 0
		.amdhsa_user_sgpr_queue_ptr 0
		.amdhsa_user_sgpr_kernarg_segment_ptr 1
		.amdhsa_user_sgpr_dispatch_id 0
		.amdhsa_user_sgpr_kernarg_preload_length 0
		.amdhsa_user_sgpr_kernarg_preload_offset 0
		.amdhsa_user_sgpr_private_segment_size 0
		.amdhsa_wavefront_size32 1
		.amdhsa_uses_dynamic_stack 0
		.amdhsa_enable_private_segment 0
		.amdhsa_system_sgpr_workgroup_id_x 1
		.amdhsa_system_sgpr_workgroup_id_y 0
		.amdhsa_system_sgpr_workgroup_id_z 0
		.amdhsa_system_sgpr_workgroup_info 0
		.amdhsa_system_vgpr_workitem_id 0
		.amdhsa_next_free_vgpr 74
		.amdhsa_next_free_sgpr 14
		.amdhsa_named_barrier_count 0
		.amdhsa_reserve_vcc 1
		.amdhsa_float_round_mode_32 0
		.amdhsa_float_round_mode_16_64 0
		.amdhsa_float_denorm_mode_32 3
		.amdhsa_float_denorm_mode_16_64 3
		.amdhsa_fp16_overflow 0
		.amdhsa_memory_ordered 1
		.amdhsa_forward_progress 1
		.amdhsa_inst_pref_size 18
		.amdhsa_round_robin_scheduling 0
		.amdhsa_exception_fp_ieee_invalid_op 0
		.amdhsa_exception_fp_denorm_src 0
		.amdhsa_exception_fp_ieee_div_zero 0
		.amdhsa_exception_fp_ieee_overflow 0
		.amdhsa_exception_fp_ieee_underflow 0
		.amdhsa_exception_fp_ieee_inexact 0
		.amdhsa_exception_int_div_zero 0
	.end_amdhsa_kernel
	.section	.text._ZN9rocsparseL19gebsrmvn_2xn_kernelILj128ELj9ELj16EdEEvi20rocsparse_direction_NS_24const_host_device_scalarIT2_EEPKiS6_PKS3_S8_S4_PS3_21rocsparse_index_base_b,"axG",@progbits,_ZN9rocsparseL19gebsrmvn_2xn_kernelILj128ELj9ELj16EdEEvi20rocsparse_direction_NS_24const_host_device_scalarIT2_EEPKiS6_PKS3_S8_S4_PS3_21rocsparse_index_base_b,comdat
.Lfunc_end113:
	.size	_ZN9rocsparseL19gebsrmvn_2xn_kernelILj128ELj9ELj16EdEEvi20rocsparse_direction_NS_24const_host_device_scalarIT2_EEPKiS6_PKS3_S8_S4_PS3_21rocsparse_index_base_b, .Lfunc_end113-_ZN9rocsparseL19gebsrmvn_2xn_kernelILj128ELj9ELj16EdEEvi20rocsparse_direction_NS_24const_host_device_scalarIT2_EEPKiS6_PKS3_S8_S4_PS3_21rocsparse_index_base_b
                                        ; -- End function
	.set _ZN9rocsparseL19gebsrmvn_2xn_kernelILj128ELj9ELj16EdEEvi20rocsparse_direction_NS_24const_host_device_scalarIT2_EEPKiS6_PKS3_S8_S4_PS3_21rocsparse_index_base_b.num_vgpr, 74
	.set _ZN9rocsparseL19gebsrmvn_2xn_kernelILj128ELj9ELj16EdEEvi20rocsparse_direction_NS_24const_host_device_scalarIT2_EEPKiS6_PKS3_S8_S4_PS3_21rocsparse_index_base_b.num_agpr, 0
	.set _ZN9rocsparseL19gebsrmvn_2xn_kernelILj128ELj9ELj16EdEEvi20rocsparse_direction_NS_24const_host_device_scalarIT2_EEPKiS6_PKS3_S8_S4_PS3_21rocsparse_index_base_b.numbered_sgpr, 14
	.set _ZN9rocsparseL19gebsrmvn_2xn_kernelILj128ELj9ELj16EdEEvi20rocsparse_direction_NS_24const_host_device_scalarIT2_EEPKiS6_PKS3_S8_S4_PS3_21rocsparse_index_base_b.num_named_barrier, 0
	.set _ZN9rocsparseL19gebsrmvn_2xn_kernelILj128ELj9ELj16EdEEvi20rocsparse_direction_NS_24const_host_device_scalarIT2_EEPKiS6_PKS3_S8_S4_PS3_21rocsparse_index_base_b.private_seg_size, 0
	.set _ZN9rocsparseL19gebsrmvn_2xn_kernelILj128ELj9ELj16EdEEvi20rocsparse_direction_NS_24const_host_device_scalarIT2_EEPKiS6_PKS3_S8_S4_PS3_21rocsparse_index_base_b.uses_vcc, 1
	.set _ZN9rocsparseL19gebsrmvn_2xn_kernelILj128ELj9ELj16EdEEvi20rocsparse_direction_NS_24const_host_device_scalarIT2_EEPKiS6_PKS3_S8_S4_PS3_21rocsparse_index_base_b.uses_flat_scratch, 0
	.set _ZN9rocsparseL19gebsrmvn_2xn_kernelILj128ELj9ELj16EdEEvi20rocsparse_direction_NS_24const_host_device_scalarIT2_EEPKiS6_PKS3_S8_S4_PS3_21rocsparse_index_base_b.has_dyn_sized_stack, 0
	.set _ZN9rocsparseL19gebsrmvn_2xn_kernelILj128ELj9ELj16EdEEvi20rocsparse_direction_NS_24const_host_device_scalarIT2_EEPKiS6_PKS3_S8_S4_PS3_21rocsparse_index_base_b.has_recursion, 0
	.set _ZN9rocsparseL19gebsrmvn_2xn_kernelILj128ELj9ELj16EdEEvi20rocsparse_direction_NS_24const_host_device_scalarIT2_EEPKiS6_PKS3_S8_S4_PS3_21rocsparse_index_base_b.has_indirect_call, 0
	.section	.AMDGPU.csdata,"",@progbits
; Kernel info:
; codeLenInByte = 2248
; TotalNumSgprs: 16
; NumVgprs: 74
; ScratchSize: 0
; MemoryBound: 0
; FloatMode: 240
; IeeeMode: 1
; LDSByteSize: 0 bytes/workgroup (compile time only)
; SGPRBlocks: 0
; VGPRBlocks: 4
; NumSGPRsForWavesPerEU: 16
; NumVGPRsForWavesPerEU: 74
; NamedBarCnt: 0
; Occupancy: 12
; WaveLimiterHint : 1
; COMPUTE_PGM_RSRC2:SCRATCH_EN: 0
; COMPUTE_PGM_RSRC2:USER_SGPR: 2
; COMPUTE_PGM_RSRC2:TRAP_HANDLER: 0
; COMPUTE_PGM_RSRC2:TGID_X_EN: 1
; COMPUTE_PGM_RSRC2:TGID_Y_EN: 0
; COMPUTE_PGM_RSRC2:TGID_Z_EN: 0
; COMPUTE_PGM_RSRC2:TIDIG_COMP_CNT: 0
	.section	.text._ZN9rocsparseL19gebsrmvn_2xn_kernelILj128ELj9ELj32EdEEvi20rocsparse_direction_NS_24const_host_device_scalarIT2_EEPKiS6_PKS3_S8_S4_PS3_21rocsparse_index_base_b,"axG",@progbits,_ZN9rocsparseL19gebsrmvn_2xn_kernelILj128ELj9ELj32EdEEvi20rocsparse_direction_NS_24const_host_device_scalarIT2_EEPKiS6_PKS3_S8_S4_PS3_21rocsparse_index_base_b,comdat
	.globl	_ZN9rocsparseL19gebsrmvn_2xn_kernelILj128ELj9ELj32EdEEvi20rocsparse_direction_NS_24const_host_device_scalarIT2_EEPKiS6_PKS3_S8_S4_PS3_21rocsparse_index_base_b ; -- Begin function _ZN9rocsparseL19gebsrmvn_2xn_kernelILj128ELj9ELj32EdEEvi20rocsparse_direction_NS_24const_host_device_scalarIT2_EEPKiS6_PKS3_S8_S4_PS3_21rocsparse_index_base_b
	.p2align	8
	.type	_ZN9rocsparseL19gebsrmvn_2xn_kernelILj128ELj9ELj32EdEEvi20rocsparse_direction_NS_24const_host_device_scalarIT2_EEPKiS6_PKS3_S8_S4_PS3_21rocsparse_index_base_b,@function
_ZN9rocsparseL19gebsrmvn_2xn_kernelILj128ELj9ELj32EdEEvi20rocsparse_direction_NS_24const_host_device_scalarIT2_EEPKiS6_PKS3_S8_S4_PS3_21rocsparse_index_base_b: ; @_ZN9rocsparseL19gebsrmvn_2xn_kernelILj128ELj9ELj32EdEEvi20rocsparse_direction_NS_24const_host_device_scalarIT2_EEPKiS6_PKS3_S8_S4_PS3_21rocsparse_index_base_b
; %bb.0:
	s_clause 0x2
	s_load_b64 s[12:13], s[0:1], 0x40
	s_load_b64 s[4:5], s[0:1], 0x8
	;; [unrolled: 1-line block ×3, first 2 shown]
	s_wait_kmcnt 0x0
	s_bitcmp1_b32 s13, 0
	v_mov_b64_e32 v[2:3], s[4:5]
	s_cselect_b32 s6, -1, 0
	s_delay_alu instid0(SALU_CYCLE_1)
	s_and_b32 vcc_lo, exec_lo, s6
	s_xor_b32 s6, s6, -1
	s_cbranch_vccnz .LBB114_2
; %bb.1:
	v_mov_b32_e32 v1, 0
	flat_load_b64 v[2:3], v1, s[4:5]
.LBB114_2:
	v_mov_b64_e32 v[4:5], s[2:3]
	s_and_not1_b32 vcc_lo, exec_lo, s6
	s_cbranch_vccnz .LBB114_4
; %bb.3:
	s_wait_xcnt 0x0
	v_mov_b32_e32 v1, 0
	flat_load_b64 v[4:5], v1, s[2:3]
.LBB114_4:
	s_wait_loadcnt_dscnt 0x0
	v_cmp_neq_f64_e32 vcc_lo, 0, v[2:3]
	s_delay_alu instid0(VALU_DEP_2) | instskip(SKIP_1) | instid1(SALU_CYCLE_1)
	v_cmp_neq_f64_e64 s2, 1.0, v[4:5]
	s_or_b32 s2, vcc_lo, s2
	s_and_saveexec_b32 s3, s2
	s_cbranch_execz .LBB114_23
; %bb.5:
	s_load_b64 s[2:3], s[0:1], 0x0
	s_bfe_u32 s4, ttmp6, 0x4000c
	s_and_b32 s5, ttmp6, 15
	s_add_co_i32 s4, s4, 1
	s_getreg_b32 s6, hwreg(HW_REG_IB_STS2, 6, 4)
	s_mul_i32 s4, ttmp9, s4
	v_lshrrev_b32_e32 v1, 5, v0
	s_add_co_i32 s5, s5, s4
	s_cmp_eq_u32 s6, 0
	s_cselect_b32 s4, ttmp9, s5
	s_delay_alu instid0(VALU_DEP_1) | instid1(SALU_CYCLE_1)
	v_lshl_or_b32 v6, s4, 2, v1
	s_wait_kmcnt 0x0
	s_delay_alu instid0(VALU_DEP_1)
	v_cmp_gt_i32_e32 vcc_lo, s2, v6
	s_and_b32 exec_lo, exec_lo, vcc_lo
	s_cbranch_execz .LBB114_23
; %bb.6:
	s_load_b256 s[4:11], s[0:1], 0x10
	v_ashrrev_i32_e32 v7, 31, v6
	s_cmp_lg_u32 s3, 0
	s_wait_kmcnt 0x0
	s_delay_alu instid0(VALU_DEP_1)
	v_lshl_add_u64 v[8:9], v[6:7], 2, s[4:5]
	v_and_b32_e32 v7, 31, v0
	global_load_b64 v[8:9], v[8:9], off
	s_wait_loadcnt 0x0
	v_subrev_nc_u32_e32 v0, s12, v8
	v_subrev_nc_u32_e32 v14, s12, v9
	s_delay_alu instid0(VALU_DEP_2) | instskip(NEXT) | instid1(VALU_DEP_1)
	v_add_nc_u32_e32 v15, v0, v7
	v_cmp_lt_i32_e64 s2, v15, v14
	s_cbranch_scc0 .LBB114_12
; %bb.7:
	v_mov_b64_e32 v[0:1], 0
	v_mov_b64_e32 v[8:9], 0
	s_and_saveexec_b32 s3, s2
	s_cbranch_execz .LBB114_11
; %bb.8:
	v_mad_u32 v10, v15, 18, 16
	v_mov_b64_e32 v[0:1], 0
	v_mov_b64_e32 v[8:9], 0
	v_dual_mov_b32 v13, 0 :: v_dual_mov_b32 v16, v15
	s_mov_b32 s4, 0
.LBB114_9:                              ; =>This Inner Loop Header: Depth=1
	global_load_b32 v11, v16, s[6:7] scale_offset
	s_wait_xcnt 0x0
	v_add_nc_u32_e32 v16, 32, v16
	s_delay_alu instid0(VALU_DEP_1) | instskip(SKIP_3) | instid1(VALU_DEP_1)
	v_cmp_ge_i32_e32 vcc_lo, v16, v14
	s_or_b32 s4, vcc_lo, s4
	s_wait_loadcnt 0x0
	v_subrev_nc_u32_e32 v11, s12, v11
	v_lshl_add_u32 v17, v11, 3, v11
	s_delay_alu instid0(VALU_DEP_1) | instskip(NEXT) | instid1(VALU_DEP_1)
	v_dual_add_nc_u32 v12, -16, v10 :: v_dual_add_nc_u32 v11, 1, v17
	v_lshl_add_u64 v[22:23], v[12:13], 3, s[8:9]
	global_load_b128 v[18:21], v[22:23], off
	global_load_b64 v[54:55], v17, s[10:11] scale_offset
	v_add_nc_u32_e32 v12, -14, v10
	s_delay_alu instid0(VALU_DEP_1) | instskip(SKIP_4) | instid1(VALU_DEP_1)
	v_lshl_add_u64 v[26:27], v[12:13], 3, s[8:9]
	global_load_b128 v[22:25], v[26:27], off
	global_load_b64 v[56:57], v11, s[10:11] scale_offset
	s_wait_xcnt 0x0
	v_dual_add_nc_u32 v12, -12, v10 :: v_dual_add_nc_u32 v11, 2, v17
	v_lshl_add_u64 v[30:31], v[12:13], 3, s[8:9]
	global_load_b128 v[26:29], v[30:31], off
	global_load_b64 v[58:59], v11, s[10:11] scale_offset
	s_wait_xcnt 0x0
	v_dual_add_nc_u32 v12, -10, v10 :: v_dual_add_nc_u32 v11, 3, v17
	s_delay_alu instid0(VALU_DEP_1) | instskip(SKIP_4) | instid1(VALU_DEP_1)
	v_lshl_add_u64 v[34:35], v[12:13], 3, s[8:9]
	global_load_b128 v[30:33], v[34:35], off
	global_load_b64 v[60:61], v11, s[10:11] scale_offset
	s_wait_xcnt 0x0
	v_dual_add_nc_u32 v12, -8, v10 :: v_dual_add_nc_u32 v11, 4, v17
	v_lshl_add_u64 v[38:39], v[12:13], 3, s[8:9]
	global_load_b128 v[34:37], v[38:39], off
	global_load_b64 v[62:63], v11, s[10:11] scale_offset
	s_wait_xcnt 0x0
	v_dual_add_nc_u32 v12, -6, v10 :: v_dual_add_nc_u32 v11, 5, v17
	;; [unrolled: 11-line block ×3, first 2 shown]
	s_delay_alu instid0(VALU_DEP_1) | instskip(SKIP_4) | instid1(VALU_DEP_1)
	v_lshl_add_u64 v[50:51], v[12:13], 3, s[8:9]
	global_load_b128 v[46:49], v[50:51], off
	global_load_b64 v[68:69], v11, s[10:11] scale_offset
	s_wait_xcnt 0x0
	v_mov_b32_e32 v11, v13
	v_lshl_add_u64 v[70:71], v[10:11], 3, s[8:9]
	v_add_nc_u32_e32 v11, 8, v17
	global_load_b128 v[50:53], v[70:71], off
	global_load_b64 v[72:73], v11, s[10:11] scale_offset
	v_add_nc_u32_e32 v10, 0x240, v10
	s_wait_loadcnt 0x10
	v_fmac_f64_e32 v[0:1], v[18:19], v[54:55]
	v_fmac_f64_e32 v[8:9], v[20:21], v[54:55]
	s_wait_loadcnt 0xe
	s_delay_alu instid0(VALU_DEP_2) | instskip(NEXT) | instid1(VALU_DEP_2)
	v_fmac_f64_e32 v[0:1], v[22:23], v[56:57]
	v_fmac_f64_e32 v[8:9], v[24:25], v[56:57]
	s_wait_loadcnt 0xc
	s_delay_alu instid0(VALU_DEP_2) | instskip(NEXT) | instid1(VALU_DEP_2)
	;; [unrolled: 4-line block ×8, first 2 shown]
	v_fmac_f64_e32 v[0:1], v[50:51], v[72:73]
	v_fmac_f64_e32 v[8:9], v[52:53], v[72:73]
	s_and_not1_b32 exec_lo, exec_lo, s4
	s_cbranch_execnz .LBB114_9
; %bb.10:
	s_or_b32 exec_lo, exec_lo, s4
.LBB114_11:
	s_delay_alu instid0(SALU_CYCLE_1)
	s_or_b32 exec_lo, exec_lo, s3
	s_cbranch_execz .LBB114_13
	s_branch .LBB114_18
.LBB114_12:
                                        ; implicit-def: $vgpr0_vgpr1
                                        ; implicit-def: $vgpr8_vgpr9
.LBB114_13:
	v_mov_b64_e32 v[0:1], 0
	v_mov_b64_e32 v[8:9], 0
	s_and_saveexec_b32 s3, s2
	s_cbranch_execz .LBB114_17
; %bb.14:
	v_mad_u32 v12, v15, 18, 17
	v_mov_b64_e32 v[0:1], 0
	v_mov_b64_e32 v[8:9], 0
	v_mov_b32_e32 v11, 0
	s_mov_b32 s2, 0
.LBB114_15:                             ; =>This Inner Loop Header: Depth=1
	global_load_b32 v13, v15, s[6:7] scale_offset
	v_subrev_nc_u32_e32 v10, 17, v12
	s_wait_xcnt 0x0
	v_dual_add_nc_u32 v24, -8, v12 :: v_dual_add_nc_u32 v15, 32, v15
	v_dual_add_nc_u32 v40, -5, v12 :: v_dual_add_nc_u32 v52, -3, v12
	s_delay_alu instid0(VALU_DEP_3) | instskip(SKIP_1) | instid1(VALU_DEP_4)
	v_lshl_add_u64 v[20:21], v[10:11], 3, s[8:9]
	v_add_nc_u32_e32 v64, -1, v12
	v_cmp_ge_i32_e32 vcc_lo, v15, v14
	s_or_b32 s2, vcc_lo, s2
	s_wait_loadcnt 0x0
	v_subrev_nc_u32_e32 v10, s12, v13
	v_add_nc_u32_e32 v13, -7, v12
	s_clause 0x1
	global_load_b64 v[22:23], v24, s[8:9] scale_offset
	global_load_b128 v[16:19], v[20:21], off
	v_lshl_add_u32 v10, v10, 3, v10
	v_dual_add_nc_u32 v34, -6, v12 :: v_dual_add_nc_u32 v46, -4, v12
	s_delay_alu instid0(VALU_DEP_2)
	v_dual_add_nc_u32 v58, -2, v12 :: v_dual_add_nc_u32 v59, 6, v10
	global_load_b64 v[20:21], v10, s[10:11] scale_offset
	v_add_nc_u32_e32 v28, 1, v10
	global_load_b64 v[24:25], v13, s[8:9] scale_offset
	global_load_b64 v[26:27], v28, s[10:11] scale_offset
	s_wait_xcnt 0x1
	v_dual_add_nc_u32 v13, -15, v12 :: v_dual_add_nc_u32 v35, 2, v10
	s_clause 0x1
	global_load_b64 v[28:29], v13, s[8:9] scale_offset
	global_load_b64 v[30:31], v34, s[8:9] scale_offset
	global_load_b64 v[32:33], v35, s[10:11] scale_offset
	s_wait_xcnt 0x2
	v_dual_add_nc_u32 v13, -14, v12 :: v_dual_add_nc_u32 v41, 3, v10
	s_clause 0x1
	global_load_b64 v[34:35], v13, s[8:9] scale_offset
	;; [unrolled: 6-line block ×4, first 2 shown]
	global_load_b64 v[48:49], v52, s[8:9] scale_offset
	global_load_b64 v[50:51], v53, s[10:11] scale_offset
	s_wait_xcnt 0x2
	v_add_nc_u32_e32 v13, -11, v12
	s_clause 0x1
	global_load_b64 v[52:53], v13, s[8:9] scale_offset
	global_load_b64 v[54:55], v58, s[8:9] scale_offset
	;; [unrolled: 1-line block ×3, first 2 shown]
	s_wait_xcnt 0x2
	v_dual_add_nc_u32 v13, -10, v12 :: v_dual_add_nc_u32 v65, 7, v10
	s_clause 0x1
	global_load_b64 v[58:59], v13, s[8:9] scale_offset
	global_load_b64 v[60:61], v64, s[8:9] scale_offset
	;; [unrolled: 1-line block ×3, first 2 shown]
	s_wait_xcnt 0x2
	v_dual_add_nc_u32 v10, 8, v10 :: v_dual_add_nc_u32 v13, -9, v12
	s_wait_loadcnt 0x14
	v_fmac_f64_e32 v[8:9], v[22:23], v[20:21]
	s_clause 0x1
	global_load_b64 v[22:23], v12, s[8:9] scale_offset
	global_load_b64 v[64:65], v13, s[8:9] scale_offset
	v_fmac_f64_e32 v[0:1], v[16:17], v[20:21]
	global_load_b64 v[16:17], v10, s[10:11] scale_offset
	s_wait_xcnt 0x2
	v_add_nc_u32_e32 v12, 0x240, v12
	s_wait_loadcnt 0x15
	v_fmac_f64_e32 v[8:9], v[24:25], v[26:27]
	v_fmac_f64_e32 v[0:1], v[18:19], v[26:27]
	s_wait_loadcnt 0x12
	s_delay_alu instid0(VALU_DEP_2) | instskip(NEXT) | instid1(VALU_DEP_2)
	v_fmac_f64_e32 v[8:9], v[30:31], v[32:33]
	v_fmac_f64_e32 v[0:1], v[28:29], v[32:33]
	s_wait_loadcnt 0xf
	s_delay_alu instid0(VALU_DEP_2) | instskip(NEXT) | instid1(VALU_DEP_2)
	;; [unrolled: 4-line block ×6, first 2 shown]
	v_fmac_f64_e32 v[8:9], v[60:61], v[62:63]
	v_fmac_f64_e32 v[0:1], v[58:59], v[62:63]
	s_wait_loadcnt 0x0
	s_delay_alu instid0(VALU_DEP_1) | instskip(NEXT) | instid1(VALU_DEP_3)
	v_fmac_f64_e32 v[0:1], v[64:65], v[16:17]
	v_fmac_f64_e32 v[8:9], v[22:23], v[16:17]
	s_and_not1_b32 exec_lo, exec_lo, s2
	s_cbranch_execnz .LBB114_15
; %bb.16:
	s_or_b32 exec_lo, exec_lo, s2
.LBB114_17:
	s_delay_alu instid0(SALU_CYCLE_1)
	s_or_b32 exec_lo, exec_lo, s3
.LBB114_18:
	v_mbcnt_lo_u32_b32 v14, -1, 0
	s_delay_alu instid0(VALU_DEP_1) | instskip(NEXT) | instid1(VALU_DEP_1)
	v_xor_b32_e32 v10, 16, v14
	v_cmp_gt_i32_e32 vcc_lo, 32, v10
	v_cndmask_b32_e32 v10, v14, v10, vcc_lo
	s_delay_alu instid0(VALU_DEP_1)
	v_lshlrev_b32_e32 v13, 2, v10
	ds_bpermute_b32 v10, v13, v0
	ds_bpermute_b32 v11, v13, v1
	s_wait_dscnt 0x0
	v_add_f64_e32 v[0:1], v[0:1], v[10:11]
	v_xor_b32_e32 v10, 8, v14
	s_delay_alu instid0(VALU_DEP_1)
	v_cmp_gt_i32_e32 vcc_lo, 32, v10
	v_cndmask_b32_e32 v10, v14, v10, vcc_lo
	ds_bpermute_b32 v12, v13, v8
	ds_bpermute_b32 v13, v13, v9
	s_wait_dscnt 0x0
	v_dual_add_f64 v[8:9], v[8:9], v[12:13] :: v_dual_lshlrev_b32 v13, 2, v10
	ds_bpermute_b32 v10, v13, v0
	ds_bpermute_b32 v11, v13, v1
	s_wait_dscnt 0x0
	v_add_f64_e32 v[0:1], v[0:1], v[10:11]
	v_xor_b32_e32 v10, 4, v14
	s_delay_alu instid0(VALU_DEP_1)
	v_cmp_gt_i32_e32 vcc_lo, 32, v10
	v_cndmask_b32_e32 v10, v14, v10, vcc_lo
	ds_bpermute_b32 v12, v13, v8
	ds_bpermute_b32 v13, v13, v9
	s_wait_dscnt 0x0
	v_dual_add_f64 v[8:9], v[8:9], v[12:13] :: v_dual_lshlrev_b32 v13, 2, v10
	;; [unrolled: 12-line block ×3, first 2 shown]
	ds_bpermute_b32 v10, v13, v0
	ds_bpermute_b32 v11, v13, v1
	s_wait_dscnt 0x0
	v_add_f64_e32 v[0:1], v[0:1], v[10:11]
	ds_bpermute_b32 v12, v13, v8
	ds_bpermute_b32 v13, v13, v9
	s_wait_dscnt 0x0
	v_dual_add_f64 v[10:11], v[8:9], v[12:13] :: v_dual_bitop2_b32 v8, 1, v14 bitop3:0x14
	s_delay_alu instid0(VALU_DEP_1) | instskip(SKIP_2) | instid1(VALU_DEP_2)
	v_cmp_gt_i32_e32 vcc_lo, 32, v8
	v_cndmask_b32_e32 v8, v14, v8, vcc_lo
	v_cmp_eq_u32_e32 vcc_lo, 31, v7
	v_lshlrev_b32_e32 v13, 2, v8
	ds_bpermute_b32 v8, v13, v0
	ds_bpermute_b32 v9, v13, v1
	;; [unrolled: 1-line block ×4, first 2 shown]
	s_and_b32 exec_lo, exec_lo, vcc_lo
	s_cbranch_execz .LBB114_23
; %bb.19:
	s_wait_dscnt 0x2
	v_add_f64_e32 v[8:9], v[0:1], v[8:9]
	s_wait_dscnt 0x0
	v_add_f64_e32 v[0:1], v[10:11], v[12:13]
	s_load_b64 s[0:1], s[0:1], 0x38
	s_mov_b32 s2, exec_lo
	v_cmpx_eq_f64_e32 0, v[4:5]
	s_xor_b32 s2, exec_lo, s2
	s_cbranch_execz .LBB114_21
; %bb.20:
	s_delay_alu instid0(VALU_DEP_3) | instskip(NEXT) | instid1(VALU_DEP_3)
	v_mul_f64_e32 v[8:9], v[2:3], v[8:9]
	v_dual_mul_f64 v[10:11], v[2:3], v[0:1] :: v_dual_lshlrev_b32 v0, 1, v6
                                        ; implicit-def: $vgpr6
                                        ; implicit-def: $vgpr2_vgpr3
                                        ; implicit-def: $vgpr4_vgpr5
	s_delay_alu instid0(VALU_DEP_1) | instskip(SKIP_1) | instid1(VALU_DEP_1)
	v_ashrrev_i32_e32 v1, 31, v0
	s_wait_kmcnt 0x0
	v_lshl_add_u64 v[0:1], v[0:1], 3, s[0:1]
	global_store_b128 v[0:1], v[8:11], off
                                        ; implicit-def: $vgpr8_vgpr9
                                        ; implicit-def: $vgpr0_vgpr1
.LBB114_21:
	s_wait_xcnt 0x0
	s_and_not1_saveexec_b32 s2, s2
	s_cbranch_execz .LBB114_23
; %bb.22:
	v_lshlrev_b32_e32 v6, 1, v6
	s_delay_alu instid0(VALU_DEP_1) | instskip(SKIP_1) | instid1(VALU_DEP_1)
	v_ashrrev_i32_e32 v7, 31, v6
	s_wait_kmcnt 0x0
	v_lshl_add_u64 v[14:15], v[6:7], 3, s[0:1]
	v_mul_f64_e32 v[6:7], v[2:3], v[8:9]
	v_mul_f64_e32 v[8:9], v[2:3], v[0:1]
	global_load_b128 v[10:13], v[14:15], off
	s_wait_loadcnt 0x0
	v_fmac_f64_e32 v[6:7], v[4:5], v[10:11]
	v_fmac_f64_e32 v[8:9], v[4:5], v[12:13]
	global_store_b128 v[14:15], v[6:9], off
.LBB114_23:
	s_sendmsg sendmsg(MSG_DEALLOC_VGPRS)
	s_endpgm
	.section	.rodata,"a",@progbits
	.p2align	6, 0x0
	.amdhsa_kernel _ZN9rocsparseL19gebsrmvn_2xn_kernelILj128ELj9ELj32EdEEvi20rocsparse_direction_NS_24const_host_device_scalarIT2_EEPKiS6_PKS3_S8_S4_PS3_21rocsparse_index_base_b
		.amdhsa_group_segment_fixed_size 0
		.amdhsa_private_segment_fixed_size 0
		.amdhsa_kernarg_size 72
		.amdhsa_user_sgpr_count 2
		.amdhsa_user_sgpr_dispatch_ptr 0
		.amdhsa_user_sgpr_queue_ptr 0
		.amdhsa_user_sgpr_kernarg_segment_ptr 1
		.amdhsa_user_sgpr_dispatch_id 0
		.amdhsa_user_sgpr_kernarg_preload_length 0
		.amdhsa_user_sgpr_kernarg_preload_offset 0
		.amdhsa_user_sgpr_private_segment_size 0
		.amdhsa_wavefront_size32 1
		.amdhsa_uses_dynamic_stack 0
		.amdhsa_enable_private_segment 0
		.amdhsa_system_sgpr_workgroup_id_x 1
		.amdhsa_system_sgpr_workgroup_id_y 0
		.amdhsa_system_sgpr_workgroup_id_z 0
		.amdhsa_system_sgpr_workgroup_info 0
		.amdhsa_system_vgpr_workitem_id 0
		.amdhsa_next_free_vgpr 74
		.amdhsa_next_free_sgpr 14
		.amdhsa_named_barrier_count 0
		.amdhsa_reserve_vcc 1
		.amdhsa_float_round_mode_32 0
		.amdhsa_float_round_mode_16_64 0
		.amdhsa_float_denorm_mode_32 3
		.amdhsa_float_denorm_mode_16_64 3
		.amdhsa_fp16_overflow 0
		.amdhsa_memory_ordered 1
		.amdhsa_forward_progress 1
		.amdhsa_inst_pref_size 19
		.amdhsa_round_robin_scheduling 0
		.amdhsa_exception_fp_ieee_invalid_op 0
		.amdhsa_exception_fp_denorm_src 0
		.amdhsa_exception_fp_ieee_div_zero 0
		.amdhsa_exception_fp_ieee_overflow 0
		.amdhsa_exception_fp_ieee_underflow 0
		.amdhsa_exception_fp_ieee_inexact 0
		.amdhsa_exception_int_div_zero 0
	.end_amdhsa_kernel
	.section	.text._ZN9rocsparseL19gebsrmvn_2xn_kernelILj128ELj9ELj32EdEEvi20rocsparse_direction_NS_24const_host_device_scalarIT2_EEPKiS6_PKS3_S8_S4_PS3_21rocsparse_index_base_b,"axG",@progbits,_ZN9rocsparseL19gebsrmvn_2xn_kernelILj128ELj9ELj32EdEEvi20rocsparse_direction_NS_24const_host_device_scalarIT2_EEPKiS6_PKS3_S8_S4_PS3_21rocsparse_index_base_b,comdat
.Lfunc_end114:
	.size	_ZN9rocsparseL19gebsrmvn_2xn_kernelILj128ELj9ELj32EdEEvi20rocsparse_direction_NS_24const_host_device_scalarIT2_EEPKiS6_PKS3_S8_S4_PS3_21rocsparse_index_base_b, .Lfunc_end114-_ZN9rocsparseL19gebsrmvn_2xn_kernelILj128ELj9ELj32EdEEvi20rocsparse_direction_NS_24const_host_device_scalarIT2_EEPKiS6_PKS3_S8_S4_PS3_21rocsparse_index_base_b
                                        ; -- End function
	.set _ZN9rocsparseL19gebsrmvn_2xn_kernelILj128ELj9ELj32EdEEvi20rocsparse_direction_NS_24const_host_device_scalarIT2_EEPKiS6_PKS3_S8_S4_PS3_21rocsparse_index_base_b.num_vgpr, 74
	.set _ZN9rocsparseL19gebsrmvn_2xn_kernelILj128ELj9ELj32EdEEvi20rocsparse_direction_NS_24const_host_device_scalarIT2_EEPKiS6_PKS3_S8_S4_PS3_21rocsparse_index_base_b.num_agpr, 0
	.set _ZN9rocsparseL19gebsrmvn_2xn_kernelILj128ELj9ELj32EdEEvi20rocsparse_direction_NS_24const_host_device_scalarIT2_EEPKiS6_PKS3_S8_S4_PS3_21rocsparse_index_base_b.numbered_sgpr, 14
	.set _ZN9rocsparseL19gebsrmvn_2xn_kernelILj128ELj9ELj32EdEEvi20rocsparse_direction_NS_24const_host_device_scalarIT2_EEPKiS6_PKS3_S8_S4_PS3_21rocsparse_index_base_b.num_named_barrier, 0
	.set _ZN9rocsparseL19gebsrmvn_2xn_kernelILj128ELj9ELj32EdEEvi20rocsparse_direction_NS_24const_host_device_scalarIT2_EEPKiS6_PKS3_S8_S4_PS3_21rocsparse_index_base_b.private_seg_size, 0
	.set _ZN9rocsparseL19gebsrmvn_2xn_kernelILj128ELj9ELj32EdEEvi20rocsparse_direction_NS_24const_host_device_scalarIT2_EEPKiS6_PKS3_S8_S4_PS3_21rocsparse_index_base_b.uses_vcc, 1
	.set _ZN9rocsparseL19gebsrmvn_2xn_kernelILj128ELj9ELj32EdEEvi20rocsparse_direction_NS_24const_host_device_scalarIT2_EEPKiS6_PKS3_S8_S4_PS3_21rocsparse_index_base_b.uses_flat_scratch, 0
	.set _ZN9rocsparseL19gebsrmvn_2xn_kernelILj128ELj9ELj32EdEEvi20rocsparse_direction_NS_24const_host_device_scalarIT2_EEPKiS6_PKS3_S8_S4_PS3_21rocsparse_index_base_b.has_dyn_sized_stack, 0
	.set _ZN9rocsparseL19gebsrmvn_2xn_kernelILj128ELj9ELj32EdEEvi20rocsparse_direction_NS_24const_host_device_scalarIT2_EEPKiS6_PKS3_S8_S4_PS3_21rocsparse_index_base_b.has_recursion, 0
	.set _ZN9rocsparseL19gebsrmvn_2xn_kernelILj128ELj9ELj32EdEEvi20rocsparse_direction_NS_24const_host_device_scalarIT2_EEPKiS6_PKS3_S8_S4_PS3_21rocsparse_index_base_b.has_indirect_call, 0
	.section	.AMDGPU.csdata,"",@progbits
; Kernel info:
; codeLenInByte = 2320
; TotalNumSgprs: 16
; NumVgprs: 74
; ScratchSize: 0
; MemoryBound: 0
; FloatMode: 240
; IeeeMode: 1
; LDSByteSize: 0 bytes/workgroup (compile time only)
; SGPRBlocks: 0
; VGPRBlocks: 4
; NumSGPRsForWavesPerEU: 16
; NumVGPRsForWavesPerEU: 74
; NamedBarCnt: 0
; Occupancy: 12
; WaveLimiterHint : 1
; COMPUTE_PGM_RSRC2:SCRATCH_EN: 0
; COMPUTE_PGM_RSRC2:USER_SGPR: 2
; COMPUTE_PGM_RSRC2:TRAP_HANDLER: 0
; COMPUTE_PGM_RSRC2:TGID_X_EN: 1
; COMPUTE_PGM_RSRC2:TGID_Y_EN: 0
; COMPUTE_PGM_RSRC2:TGID_Z_EN: 0
; COMPUTE_PGM_RSRC2:TIDIG_COMP_CNT: 0
	.section	.text._ZN9rocsparseL19gebsrmvn_2xn_kernelILj128ELj9ELj64EdEEvi20rocsparse_direction_NS_24const_host_device_scalarIT2_EEPKiS6_PKS3_S8_S4_PS3_21rocsparse_index_base_b,"axG",@progbits,_ZN9rocsparseL19gebsrmvn_2xn_kernelILj128ELj9ELj64EdEEvi20rocsparse_direction_NS_24const_host_device_scalarIT2_EEPKiS6_PKS3_S8_S4_PS3_21rocsparse_index_base_b,comdat
	.globl	_ZN9rocsparseL19gebsrmvn_2xn_kernelILj128ELj9ELj64EdEEvi20rocsparse_direction_NS_24const_host_device_scalarIT2_EEPKiS6_PKS3_S8_S4_PS3_21rocsparse_index_base_b ; -- Begin function _ZN9rocsparseL19gebsrmvn_2xn_kernelILj128ELj9ELj64EdEEvi20rocsparse_direction_NS_24const_host_device_scalarIT2_EEPKiS6_PKS3_S8_S4_PS3_21rocsparse_index_base_b
	.p2align	8
	.type	_ZN9rocsparseL19gebsrmvn_2xn_kernelILj128ELj9ELj64EdEEvi20rocsparse_direction_NS_24const_host_device_scalarIT2_EEPKiS6_PKS3_S8_S4_PS3_21rocsparse_index_base_b,@function
_ZN9rocsparseL19gebsrmvn_2xn_kernelILj128ELj9ELj64EdEEvi20rocsparse_direction_NS_24const_host_device_scalarIT2_EEPKiS6_PKS3_S8_S4_PS3_21rocsparse_index_base_b: ; @_ZN9rocsparseL19gebsrmvn_2xn_kernelILj128ELj9ELj64EdEEvi20rocsparse_direction_NS_24const_host_device_scalarIT2_EEPKiS6_PKS3_S8_S4_PS3_21rocsparse_index_base_b
; %bb.0:
	s_clause 0x2
	s_load_b64 s[12:13], s[0:1], 0x40
	s_load_b64 s[4:5], s[0:1], 0x8
	;; [unrolled: 1-line block ×3, first 2 shown]
	s_wait_kmcnt 0x0
	s_bitcmp1_b32 s13, 0
	v_mov_b64_e32 v[2:3], s[4:5]
	s_cselect_b32 s6, -1, 0
	s_delay_alu instid0(SALU_CYCLE_1)
	s_and_b32 vcc_lo, exec_lo, s6
	s_xor_b32 s6, s6, -1
	s_cbranch_vccnz .LBB115_2
; %bb.1:
	v_mov_b32_e32 v1, 0
	flat_load_b64 v[2:3], v1, s[4:5]
.LBB115_2:
	v_mov_b64_e32 v[4:5], s[2:3]
	s_and_not1_b32 vcc_lo, exec_lo, s6
	s_cbranch_vccnz .LBB115_4
; %bb.3:
	s_wait_xcnt 0x0
	v_mov_b32_e32 v1, 0
	flat_load_b64 v[4:5], v1, s[2:3]
.LBB115_4:
	s_wait_loadcnt_dscnt 0x0
	v_cmp_neq_f64_e32 vcc_lo, 0, v[2:3]
	s_delay_alu instid0(VALU_DEP_2) | instskip(SKIP_1) | instid1(SALU_CYCLE_1)
	v_cmp_neq_f64_e64 s2, 1.0, v[4:5]
	s_or_b32 s2, vcc_lo, s2
	s_and_saveexec_b32 s3, s2
	s_cbranch_execz .LBB115_23
; %bb.5:
	s_load_b64 s[2:3], s[0:1], 0x0
	s_bfe_u32 s4, ttmp6, 0x4000c
	s_and_b32 s5, ttmp6, 15
	s_add_co_i32 s4, s4, 1
	s_getreg_b32 s6, hwreg(HW_REG_IB_STS2, 6, 4)
	s_mul_i32 s4, ttmp9, s4
	v_lshrrev_b32_e32 v1, 6, v0
	s_add_co_i32 s5, s5, s4
	s_cmp_eq_u32 s6, 0
	s_cselect_b32 s4, ttmp9, s5
	s_delay_alu instid0(VALU_DEP_1) | instid1(SALU_CYCLE_1)
	v_lshl_or_b32 v6, s4, 1, v1
	s_wait_kmcnt 0x0
	s_delay_alu instid0(VALU_DEP_1)
	v_cmp_gt_i32_e32 vcc_lo, s2, v6
	s_and_b32 exec_lo, exec_lo, vcc_lo
	s_cbranch_execz .LBB115_23
; %bb.6:
	s_load_b256 s[4:11], s[0:1], 0x10
	v_ashrrev_i32_e32 v7, 31, v6
	s_cmp_lg_u32 s3, 0
	s_wait_kmcnt 0x0
	s_delay_alu instid0(VALU_DEP_1)
	v_lshl_add_u64 v[8:9], v[6:7], 2, s[4:5]
	v_and_b32_e32 v7, 63, v0
	global_load_b64 v[8:9], v[8:9], off
	s_wait_loadcnt 0x0
	v_subrev_nc_u32_e32 v0, s12, v8
	v_subrev_nc_u32_e32 v14, s12, v9
	s_delay_alu instid0(VALU_DEP_2) | instskip(NEXT) | instid1(VALU_DEP_1)
	v_add_nc_u32_e32 v15, v0, v7
	v_cmp_lt_i32_e64 s2, v15, v14
	s_cbranch_scc0 .LBB115_12
; %bb.7:
	v_mov_b64_e32 v[0:1], 0
	v_mov_b64_e32 v[8:9], 0
	s_and_saveexec_b32 s3, s2
	s_cbranch_execz .LBB115_11
; %bb.8:
	v_mad_u32 v10, v15, 18, 16
	v_mov_b64_e32 v[0:1], 0
	v_mov_b64_e32 v[8:9], 0
	v_dual_mov_b32 v13, 0 :: v_dual_mov_b32 v16, v15
	s_mov_b32 s4, 0
.LBB115_9:                              ; =>This Inner Loop Header: Depth=1
	global_load_b32 v11, v16, s[6:7] scale_offset
	s_wait_xcnt 0x0
	v_add_nc_u32_e32 v16, 64, v16
	s_delay_alu instid0(VALU_DEP_1) | instskip(SKIP_3) | instid1(VALU_DEP_1)
	v_cmp_ge_i32_e32 vcc_lo, v16, v14
	s_or_b32 s4, vcc_lo, s4
	s_wait_loadcnt 0x0
	v_subrev_nc_u32_e32 v11, s12, v11
	v_lshl_add_u32 v17, v11, 3, v11
	s_delay_alu instid0(VALU_DEP_1) | instskip(NEXT) | instid1(VALU_DEP_1)
	v_dual_add_nc_u32 v12, -16, v10 :: v_dual_add_nc_u32 v11, 1, v17
	v_lshl_add_u64 v[22:23], v[12:13], 3, s[8:9]
	global_load_b128 v[18:21], v[22:23], off
	global_load_b64 v[54:55], v17, s[10:11] scale_offset
	v_add_nc_u32_e32 v12, -14, v10
	s_delay_alu instid0(VALU_DEP_1) | instskip(SKIP_4) | instid1(VALU_DEP_1)
	v_lshl_add_u64 v[26:27], v[12:13], 3, s[8:9]
	global_load_b128 v[22:25], v[26:27], off
	global_load_b64 v[56:57], v11, s[10:11] scale_offset
	s_wait_xcnt 0x0
	v_dual_add_nc_u32 v12, -12, v10 :: v_dual_add_nc_u32 v11, 2, v17
	v_lshl_add_u64 v[30:31], v[12:13], 3, s[8:9]
	global_load_b128 v[26:29], v[30:31], off
	global_load_b64 v[58:59], v11, s[10:11] scale_offset
	s_wait_xcnt 0x0
	v_dual_add_nc_u32 v12, -10, v10 :: v_dual_add_nc_u32 v11, 3, v17
	s_delay_alu instid0(VALU_DEP_1) | instskip(SKIP_4) | instid1(VALU_DEP_1)
	v_lshl_add_u64 v[34:35], v[12:13], 3, s[8:9]
	global_load_b128 v[30:33], v[34:35], off
	global_load_b64 v[60:61], v11, s[10:11] scale_offset
	s_wait_xcnt 0x0
	v_dual_add_nc_u32 v12, -8, v10 :: v_dual_add_nc_u32 v11, 4, v17
	v_lshl_add_u64 v[38:39], v[12:13], 3, s[8:9]
	global_load_b128 v[34:37], v[38:39], off
	global_load_b64 v[62:63], v11, s[10:11] scale_offset
	s_wait_xcnt 0x0
	v_dual_add_nc_u32 v12, -6, v10 :: v_dual_add_nc_u32 v11, 5, v17
	;; [unrolled: 11-line block ×3, first 2 shown]
	s_delay_alu instid0(VALU_DEP_1) | instskip(SKIP_4) | instid1(VALU_DEP_1)
	v_lshl_add_u64 v[50:51], v[12:13], 3, s[8:9]
	global_load_b128 v[46:49], v[50:51], off
	global_load_b64 v[68:69], v11, s[10:11] scale_offset
	s_wait_xcnt 0x0
	v_mov_b32_e32 v11, v13
	v_lshl_add_u64 v[70:71], v[10:11], 3, s[8:9]
	v_add_nc_u32_e32 v11, 8, v17
	global_load_b128 v[50:53], v[70:71], off
	global_load_b64 v[72:73], v11, s[10:11] scale_offset
	v_add_nc_u32_e32 v10, 0x480, v10
	s_wait_loadcnt 0x10
	v_fmac_f64_e32 v[0:1], v[18:19], v[54:55]
	v_fmac_f64_e32 v[8:9], v[20:21], v[54:55]
	s_wait_loadcnt 0xe
	s_delay_alu instid0(VALU_DEP_2) | instskip(NEXT) | instid1(VALU_DEP_2)
	v_fmac_f64_e32 v[0:1], v[22:23], v[56:57]
	v_fmac_f64_e32 v[8:9], v[24:25], v[56:57]
	s_wait_loadcnt 0xc
	s_delay_alu instid0(VALU_DEP_2) | instskip(NEXT) | instid1(VALU_DEP_2)
	;; [unrolled: 4-line block ×8, first 2 shown]
	v_fmac_f64_e32 v[0:1], v[50:51], v[72:73]
	v_fmac_f64_e32 v[8:9], v[52:53], v[72:73]
	s_and_not1_b32 exec_lo, exec_lo, s4
	s_cbranch_execnz .LBB115_9
; %bb.10:
	s_or_b32 exec_lo, exec_lo, s4
.LBB115_11:
	s_delay_alu instid0(SALU_CYCLE_1)
	s_or_b32 exec_lo, exec_lo, s3
	s_cbranch_execz .LBB115_13
	s_branch .LBB115_18
.LBB115_12:
                                        ; implicit-def: $vgpr0_vgpr1
                                        ; implicit-def: $vgpr8_vgpr9
.LBB115_13:
	v_mov_b64_e32 v[0:1], 0
	v_mov_b64_e32 v[8:9], 0
	s_and_saveexec_b32 s3, s2
	s_cbranch_execz .LBB115_17
; %bb.14:
	v_mad_u32 v12, v15, 18, 17
	v_mov_b64_e32 v[0:1], 0
	v_mov_b64_e32 v[8:9], 0
	v_mov_b32_e32 v11, 0
	s_mov_b32 s2, 0
.LBB115_15:                             ; =>This Inner Loop Header: Depth=1
	global_load_b32 v13, v15, s[6:7] scale_offset
	v_subrev_nc_u32_e32 v10, 17, v12
	s_wait_xcnt 0x0
	v_dual_add_nc_u32 v24, -8, v12 :: v_dual_add_nc_u32 v15, 64, v15
	v_dual_add_nc_u32 v40, -5, v12 :: v_dual_add_nc_u32 v52, -3, v12
	s_delay_alu instid0(VALU_DEP_3) | instskip(SKIP_1) | instid1(VALU_DEP_4)
	v_lshl_add_u64 v[20:21], v[10:11], 3, s[8:9]
	v_add_nc_u32_e32 v64, -1, v12
	v_cmp_ge_i32_e32 vcc_lo, v15, v14
	s_or_b32 s2, vcc_lo, s2
	s_wait_loadcnt 0x0
	v_subrev_nc_u32_e32 v10, s12, v13
	v_add_nc_u32_e32 v13, -7, v12
	s_clause 0x1
	global_load_b64 v[22:23], v24, s[8:9] scale_offset
	global_load_b128 v[16:19], v[20:21], off
	v_lshl_add_u32 v10, v10, 3, v10
	v_dual_add_nc_u32 v34, -6, v12 :: v_dual_add_nc_u32 v46, -4, v12
	s_delay_alu instid0(VALU_DEP_2)
	v_dual_add_nc_u32 v58, -2, v12 :: v_dual_add_nc_u32 v59, 6, v10
	global_load_b64 v[20:21], v10, s[10:11] scale_offset
	v_add_nc_u32_e32 v28, 1, v10
	global_load_b64 v[24:25], v13, s[8:9] scale_offset
	global_load_b64 v[26:27], v28, s[10:11] scale_offset
	s_wait_xcnt 0x1
	v_dual_add_nc_u32 v13, -15, v12 :: v_dual_add_nc_u32 v35, 2, v10
	s_clause 0x1
	global_load_b64 v[28:29], v13, s[8:9] scale_offset
	global_load_b64 v[30:31], v34, s[8:9] scale_offset
	global_load_b64 v[32:33], v35, s[10:11] scale_offset
	s_wait_xcnt 0x2
	v_dual_add_nc_u32 v13, -14, v12 :: v_dual_add_nc_u32 v41, 3, v10
	s_clause 0x1
	global_load_b64 v[34:35], v13, s[8:9] scale_offset
	;; [unrolled: 6-line block ×4, first 2 shown]
	global_load_b64 v[48:49], v52, s[8:9] scale_offset
	global_load_b64 v[50:51], v53, s[10:11] scale_offset
	s_wait_xcnt 0x2
	v_add_nc_u32_e32 v13, -11, v12
	s_clause 0x1
	global_load_b64 v[52:53], v13, s[8:9] scale_offset
	global_load_b64 v[54:55], v58, s[8:9] scale_offset
	;; [unrolled: 1-line block ×3, first 2 shown]
	s_wait_xcnt 0x2
	v_dual_add_nc_u32 v13, -10, v12 :: v_dual_add_nc_u32 v65, 7, v10
	s_clause 0x1
	global_load_b64 v[58:59], v13, s[8:9] scale_offset
	global_load_b64 v[60:61], v64, s[8:9] scale_offset
	;; [unrolled: 1-line block ×3, first 2 shown]
	s_wait_xcnt 0x2
	v_dual_add_nc_u32 v10, 8, v10 :: v_dual_add_nc_u32 v13, -9, v12
	s_wait_loadcnt 0x14
	v_fmac_f64_e32 v[8:9], v[22:23], v[20:21]
	s_clause 0x1
	global_load_b64 v[22:23], v12, s[8:9] scale_offset
	global_load_b64 v[64:65], v13, s[8:9] scale_offset
	v_fmac_f64_e32 v[0:1], v[16:17], v[20:21]
	global_load_b64 v[16:17], v10, s[10:11] scale_offset
	s_wait_xcnt 0x2
	v_add_nc_u32_e32 v12, 0x480, v12
	s_wait_loadcnt 0x15
	v_fmac_f64_e32 v[8:9], v[24:25], v[26:27]
	v_fmac_f64_e32 v[0:1], v[18:19], v[26:27]
	s_wait_loadcnt 0x12
	s_delay_alu instid0(VALU_DEP_2) | instskip(NEXT) | instid1(VALU_DEP_2)
	v_fmac_f64_e32 v[8:9], v[30:31], v[32:33]
	v_fmac_f64_e32 v[0:1], v[28:29], v[32:33]
	s_wait_loadcnt 0xf
	s_delay_alu instid0(VALU_DEP_2) | instskip(NEXT) | instid1(VALU_DEP_2)
	;; [unrolled: 4-line block ×6, first 2 shown]
	v_fmac_f64_e32 v[8:9], v[60:61], v[62:63]
	v_fmac_f64_e32 v[0:1], v[58:59], v[62:63]
	s_wait_loadcnt 0x0
	s_delay_alu instid0(VALU_DEP_1) | instskip(NEXT) | instid1(VALU_DEP_3)
	v_fmac_f64_e32 v[0:1], v[64:65], v[16:17]
	v_fmac_f64_e32 v[8:9], v[22:23], v[16:17]
	s_and_not1_b32 exec_lo, exec_lo, s2
	s_cbranch_execnz .LBB115_15
; %bb.16:
	s_or_b32 exec_lo, exec_lo, s2
.LBB115_17:
	s_delay_alu instid0(SALU_CYCLE_1)
	s_or_b32 exec_lo, exec_lo, s3
.LBB115_18:
	v_mbcnt_lo_u32_b32 v14, -1, 0
	s_delay_alu instid0(VALU_DEP_1) | instskip(NEXT) | instid1(VALU_DEP_1)
	v_or_b32_e32 v10, 32, v14
	v_cmp_gt_i32_e32 vcc_lo, 32, v10
	v_cndmask_b32_e32 v10, v14, v10, vcc_lo
	s_delay_alu instid0(VALU_DEP_1)
	v_lshlrev_b32_e32 v13, 2, v10
	ds_bpermute_b32 v10, v13, v0
	ds_bpermute_b32 v11, v13, v1
	s_wait_dscnt 0x0
	v_add_f64_e32 v[0:1], v[0:1], v[10:11]
	v_xor_b32_e32 v10, 16, v14
	s_delay_alu instid0(VALU_DEP_1)
	v_cmp_gt_i32_e32 vcc_lo, 32, v10
	v_cndmask_b32_e32 v10, v14, v10, vcc_lo
	ds_bpermute_b32 v12, v13, v8
	ds_bpermute_b32 v13, v13, v9
	s_wait_dscnt 0x0
	v_dual_add_f64 v[8:9], v[8:9], v[12:13] :: v_dual_lshlrev_b32 v13, 2, v10
	ds_bpermute_b32 v10, v13, v0
	ds_bpermute_b32 v11, v13, v1
	s_wait_dscnt 0x0
	v_add_f64_e32 v[0:1], v[0:1], v[10:11]
	v_xor_b32_e32 v10, 8, v14
	s_delay_alu instid0(VALU_DEP_1)
	v_cmp_gt_i32_e32 vcc_lo, 32, v10
	v_cndmask_b32_e32 v10, v14, v10, vcc_lo
	ds_bpermute_b32 v12, v13, v8
	ds_bpermute_b32 v13, v13, v9
	s_wait_dscnt 0x0
	v_dual_add_f64 v[8:9], v[8:9], v[12:13] :: v_dual_lshlrev_b32 v13, 2, v10
	;; [unrolled: 12-line block ×4, first 2 shown]
	ds_bpermute_b32 v10, v13, v0
	ds_bpermute_b32 v11, v13, v1
	s_wait_dscnt 0x0
	v_add_f64_e32 v[0:1], v[0:1], v[10:11]
	ds_bpermute_b32 v12, v13, v8
	ds_bpermute_b32 v13, v13, v9
	s_wait_dscnt 0x0
	v_dual_add_f64 v[10:11], v[8:9], v[12:13] :: v_dual_bitop2_b32 v8, 1, v14 bitop3:0x14
	s_delay_alu instid0(VALU_DEP_1) | instskip(SKIP_2) | instid1(VALU_DEP_2)
	v_cmp_gt_i32_e32 vcc_lo, 32, v8
	v_cndmask_b32_e32 v8, v14, v8, vcc_lo
	v_cmp_eq_u32_e32 vcc_lo, 63, v7
	v_lshlrev_b32_e32 v13, 2, v8
	ds_bpermute_b32 v8, v13, v0
	ds_bpermute_b32 v9, v13, v1
	;; [unrolled: 1-line block ×4, first 2 shown]
	s_and_b32 exec_lo, exec_lo, vcc_lo
	s_cbranch_execz .LBB115_23
; %bb.19:
	s_wait_dscnt 0x2
	v_add_f64_e32 v[8:9], v[0:1], v[8:9]
	s_wait_dscnt 0x0
	v_add_f64_e32 v[0:1], v[10:11], v[12:13]
	s_load_b64 s[0:1], s[0:1], 0x38
	s_mov_b32 s2, exec_lo
	v_cmpx_eq_f64_e32 0, v[4:5]
	s_xor_b32 s2, exec_lo, s2
	s_cbranch_execz .LBB115_21
; %bb.20:
	s_delay_alu instid0(VALU_DEP_3) | instskip(NEXT) | instid1(VALU_DEP_3)
	v_mul_f64_e32 v[8:9], v[2:3], v[8:9]
	v_dual_mul_f64 v[10:11], v[2:3], v[0:1] :: v_dual_lshlrev_b32 v0, 1, v6
                                        ; implicit-def: $vgpr6
                                        ; implicit-def: $vgpr2_vgpr3
                                        ; implicit-def: $vgpr4_vgpr5
	s_delay_alu instid0(VALU_DEP_1) | instskip(SKIP_1) | instid1(VALU_DEP_1)
	v_ashrrev_i32_e32 v1, 31, v0
	s_wait_kmcnt 0x0
	v_lshl_add_u64 v[0:1], v[0:1], 3, s[0:1]
	global_store_b128 v[0:1], v[8:11], off
                                        ; implicit-def: $vgpr8_vgpr9
                                        ; implicit-def: $vgpr0_vgpr1
.LBB115_21:
	s_wait_xcnt 0x0
	s_and_not1_saveexec_b32 s2, s2
	s_cbranch_execz .LBB115_23
; %bb.22:
	v_lshlrev_b32_e32 v6, 1, v6
	s_delay_alu instid0(VALU_DEP_1) | instskip(SKIP_1) | instid1(VALU_DEP_1)
	v_ashrrev_i32_e32 v7, 31, v6
	s_wait_kmcnt 0x0
	v_lshl_add_u64 v[14:15], v[6:7], 3, s[0:1]
	v_mul_f64_e32 v[6:7], v[2:3], v[8:9]
	v_mul_f64_e32 v[8:9], v[2:3], v[0:1]
	global_load_b128 v[10:13], v[14:15], off
	s_wait_loadcnt 0x0
	v_fmac_f64_e32 v[6:7], v[4:5], v[10:11]
	v_fmac_f64_e32 v[8:9], v[4:5], v[12:13]
	global_store_b128 v[14:15], v[6:9], off
.LBB115_23:
	s_sendmsg sendmsg(MSG_DEALLOC_VGPRS)
	s_endpgm
	.section	.rodata,"a",@progbits
	.p2align	6, 0x0
	.amdhsa_kernel _ZN9rocsparseL19gebsrmvn_2xn_kernelILj128ELj9ELj64EdEEvi20rocsparse_direction_NS_24const_host_device_scalarIT2_EEPKiS6_PKS3_S8_S4_PS3_21rocsparse_index_base_b
		.amdhsa_group_segment_fixed_size 0
		.amdhsa_private_segment_fixed_size 0
		.amdhsa_kernarg_size 72
		.amdhsa_user_sgpr_count 2
		.amdhsa_user_sgpr_dispatch_ptr 0
		.amdhsa_user_sgpr_queue_ptr 0
		.amdhsa_user_sgpr_kernarg_segment_ptr 1
		.amdhsa_user_sgpr_dispatch_id 0
		.amdhsa_user_sgpr_kernarg_preload_length 0
		.amdhsa_user_sgpr_kernarg_preload_offset 0
		.amdhsa_user_sgpr_private_segment_size 0
		.amdhsa_wavefront_size32 1
		.amdhsa_uses_dynamic_stack 0
		.amdhsa_enable_private_segment 0
		.amdhsa_system_sgpr_workgroup_id_x 1
		.amdhsa_system_sgpr_workgroup_id_y 0
		.amdhsa_system_sgpr_workgroup_id_z 0
		.amdhsa_system_sgpr_workgroup_info 0
		.amdhsa_system_vgpr_workitem_id 0
		.amdhsa_next_free_vgpr 74
		.amdhsa_next_free_sgpr 14
		.amdhsa_named_barrier_count 0
		.amdhsa_reserve_vcc 1
		.amdhsa_float_round_mode_32 0
		.amdhsa_float_round_mode_16_64 0
		.amdhsa_float_denorm_mode_32 3
		.amdhsa_float_denorm_mode_16_64 3
		.amdhsa_fp16_overflow 0
		.amdhsa_memory_ordered 1
		.amdhsa_forward_progress 1
		.amdhsa_inst_pref_size 19
		.amdhsa_round_robin_scheduling 0
		.amdhsa_exception_fp_ieee_invalid_op 0
		.amdhsa_exception_fp_denorm_src 0
		.amdhsa_exception_fp_ieee_div_zero 0
		.amdhsa_exception_fp_ieee_overflow 0
		.amdhsa_exception_fp_ieee_underflow 0
		.amdhsa_exception_fp_ieee_inexact 0
		.amdhsa_exception_int_div_zero 0
	.end_amdhsa_kernel
	.section	.text._ZN9rocsparseL19gebsrmvn_2xn_kernelILj128ELj9ELj64EdEEvi20rocsparse_direction_NS_24const_host_device_scalarIT2_EEPKiS6_PKS3_S8_S4_PS3_21rocsparse_index_base_b,"axG",@progbits,_ZN9rocsparseL19gebsrmvn_2xn_kernelILj128ELj9ELj64EdEEvi20rocsparse_direction_NS_24const_host_device_scalarIT2_EEPKiS6_PKS3_S8_S4_PS3_21rocsparse_index_base_b,comdat
.Lfunc_end115:
	.size	_ZN9rocsparseL19gebsrmvn_2xn_kernelILj128ELj9ELj64EdEEvi20rocsparse_direction_NS_24const_host_device_scalarIT2_EEPKiS6_PKS3_S8_S4_PS3_21rocsparse_index_base_b, .Lfunc_end115-_ZN9rocsparseL19gebsrmvn_2xn_kernelILj128ELj9ELj64EdEEvi20rocsparse_direction_NS_24const_host_device_scalarIT2_EEPKiS6_PKS3_S8_S4_PS3_21rocsparse_index_base_b
                                        ; -- End function
	.set _ZN9rocsparseL19gebsrmvn_2xn_kernelILj128ELj9ELj64EdEEvi20rocsparse_direction_NS_24const_host_device_scalarIT2_EEPKiS6_PKS3_S8_S4_PS3_21rocsparse_index_base_b.num_vgpr, 74
	.set _ZN9rocsparseL19gebsrmvn_2xn_kernelILj128ELj9ELj64EdEEvi20rocsparse_direction_NS_24const_host_device_scalarIT2_EEPKiS6_PKS3_S8_S4_PS3_21rocsparse_index_base_b.num_agpr, 0
	.set _ZN9rocsparseL19gebsrmvn_2xn_kernelILj128ELj9ELj64EdEEvi20rocsparse_direction_NS_24const_host_device_scalarIT2_EEPKiS6_PKS3_S8_S4_PS3_21rocsparse_index_base_b.numbered_sgpr, 14
	.set _ZN9rocsparseL19gebsrmvn_2xn_kernelILj128ELj9ELj64EdEEvi20rocsparse_direction_NS_24const_host_device_scalarIT2_EEPKiS6_PKS3_S8_S4_PS3_21rocsparse_index_base_b.num_named_barrier, 0
	.set _ZN9rocsparseL19gebsrmvn_2xn_kernelILj128ELj9ELj64EdEEvi20rocsparse_direction_NS_24const_host_device_scalarIT2_EEPKiS6_PKS3_S8_S4_PS3_21rocsparse_index_base_b.private_seg_size, 0
	.set _ZN9rocsparseL19gebsrmvn_2xn_kernelILj128ELj9ELj64EdEEvi20rocsparse_direction_NS_24const_host_device_scalarIT2_EEPKiS6_PKS3_S8_S4_PS3_21rocsparse_index_base_b.uses_vcc, 1
	.set _ZN9rocsparseL19gebsrmvn_2xn_kernelILj128ELj9ELj64EdEEvi20rocsparse_direction_NS_24const_host_device_scalarIT2_EEPKiS6_PKS3_S8_S4_PS3_21rocsparse_index_base_b.uses_flat_scratch, 0
	.set _ZN9rocsparseL19gebsrmvn_2xn_kernelILj128ELj9ELj64EdEEvi20rocsparse_direction_NS_24const_host_device_scalarIT2_EEPKiS6_PKS3_S8_S4_PS3_21rocsparse_index_base_b.has_dyn_sized_stack, 0
	.set _ZN9rocsparseL19gebsrmvn_2xn_kernelILj128ELj9ELj64EdEEvi20rocsparse_direction_NS_24const_host_device_scalarIT2_EEPKiS6_PKS3_S8_S4_PS3_21rocsparse_index_base_b.has_recursion, 0
	.set _ZN9rocsparseL19gebsrmvn_2xn_kernelILj128ELj9ELj64EdEEvi20rocsparse_direction_NS_24const_host_device_scalarIT2_EEPKiS6_PKS3_S8_S4_PS3_21rocsparse_index_base_b.has_indirect_call, 0
	.section	.AMDGPU.csdata,"",@progbits
; Kernel info:
; codeLenInByte = 2392
; TotalNumSgprs: 16
; NumVgprs: 74
; ScratchSize: 0
; MemoryBound: 0
; FloatMode: 240
; IeeeMode: 1
; LDSByteSize: 0 bytes/workgroup (compile time only)
; SGPRBlocks: 0
; VGPRBlocks: 4
; NumSGPRsForWavesPerEU: 16
; NumVGPRsForWavesPerEU: 74
; NamedBarCnt: 0
; Occupancy: 12
; WaveLimiterHint : 1
; COMPUTE_PGM_RSRC2:SCRATCH_EN: 0
; COMPUTE_PGM_RSRC2:USER_SGPR: 2
; COMPUTE_PGM_RSRC2:TRAP_HANDLER: 0
; COMPUTE_PGM_RSRC2:TGID_X_EN: 1
; COMPUTE_PGM_RSRC2:TGID_Y_EN: 0
; COMPUTE_PGM_RSRC2:TGID_Z_EN: 0
; COMPUTE_PGM_RSRC2:TIDIG_COMP_CNT: 0
	.section	.text._ZN9rocsparseL19gebsrmvn_2xn_kernelILj128ELj10ELj4EdEEvi20rocsparse_direction_NS_24const_host_device_scalarIT2_EEPKiS6_PKS3_S8_S4_PS3_21rocsparse_index_base_b,"axG",@progbits,_ZN9rocsparseL19gebsrmvn_2xn_kernelILj128ELj10ELj4EdEEvi20rocsparse_direction_NS_24const_host_device_scalarIT2_EEPKiS6_PKS3_S8_S4_PS3_21rocsparse_index_base_b,comdat
	.globl	_ZN9rocsparseL19gebsrmvn_2xn_kernelILj128ELj10ELj4EdEEvi20rocsparse_direction_NS_24const_host_device_scalarIT2_EEPKiS6_PKS3_S8_S4_PS3_21rocsparse_index_base_b ; -- Begin function _ZN9rocsparseL19gebsrmvn_2xn_kernelILj128ELj10ELj4EdEEvi20rocsparse_direction_NS_24const_host_device_scalarIT2_EEPKiS6_PKS3_S8_S4_PS3_21rocsparse_index_base_b
	.p2align	8
	.type	_ZN9rocsparseL19gebsrmvn_2xn_kernelILj128ELj10ELj4EdEEvi20rocsparse_direction_NS_24const_host_device_scalarIT2_EEPKiS6_PKS3_S8_S4_PS3_21rocsparse_index_base_b,@function
_ZN9rocsparseL19gebsrmvn_2xn_kernelILj128ELj10ELj4EdEEvi20rocsparse_direction_NS_24const_host_device_scalarIT2_EEPKiS6_PKS3_S8_S4_PS3_21rocsparse_index_base_b: ; @_ZN9rocsparseL19gebsrmvn_2xn_kernelILj128ELj10ELj4EdEEvi20rocsparse_direction_NS_24const_host_device_scalarIT2_EEPKiS6_PKS3_S8_S4_PS3_21rocsparse_index_base_b
; %bb.0:
	s_clause 0x2
	s_load_b64 s[12:13], s[0:1], 0x40
	s_load_b64 s[4:5], s[0:1], 0x8
	;; [unrolled: 1-line block ×3, first 2 shown]
	s_wait_kmcnt 0x0
	s_bitcmp1_b32 s13, 0
	v_mov_b64_e32 v[2:3], s[4:5]
	s_cselect_b32 s6, -1, 0
	s_delay_alu instid0(SALU_CYCLE_1)
	s_and_b32 vcc_lo, exec_lo, s6
	s_xor_b32 s6, s6, -1
	s_cbranch_vccnz .LBB116_2
; %bb.1:
	v_mov_b32_e32 v1, 0
	flat_load_b64 v[2:3], v1, s[4:5]
.LBB116_2:
	v_mov_b64_e32 v[4:5], s[2:3]
	s_and_not1_b32 vcc_lo, exec_lo, s6
	s_cbranch_vccnz .LBB116_4
; %bb.3:
	s_wait_xcnt 0x0
	v_mov_b32_e32 v1, 0
	flat_load_b64 v[4:5], v1, s[2:3]
.LBB116_4:
	s_wait_loadcnt_dscnt 0x0
	v_cmp_neq_f64_e32 vcc_lo, 0, v[2:3]
	s_delay_alu instid0(VALU_DEP_2) | instskip(SKIP_1) | instid1(SALU_CYCLE_1)
	v_cmp_neq_f64_e64 s2, 1.0, v[4:5]
	s_or_b32 s2, vcc_lo, s2
	s_and_saveexec_b32 s3, s2
	s_cbranch_execz .LBB116_23
; %bb.5:
	s_load_b64 s[2:3], s[0:1], 0x0
	s_bfe_u32 s4, ttmp6, 0x4000c
	s_and_b32 s5, ttmp6, 15
	s_add_co_i32 s4, s4, 1
	s_getreg_b32 s6, hwreg(HW_REG_IB_STS2, 6, 4)
	s_mul_i32 s4, ttmp9, s4
	v_lshrrev_b32_e32 v1, 2, v0
	s_add_co_i32 s5, s5, s4
	s_cmp_eq_u32 s6, 0
	s_cselect_b32 s4, ttmp9, s5
	s_delay_alu instid0(VALU_DEP_1) | instid1(SALU_CYCLE_1)
	v_lshl_or_b32 v6, s4, 5, v1
	s_wait_kmcnt 0x0
	s_delay_alu instid0(VALU_DEP_1)
	v_cmp_gt_i32_e32 vcc_lo, s2, v6
	s_and_b32 exec_lo, exec_lo, vcc_lo
	s_cbranch_execz .LBB116_23
; %bb.6:
	s_load_b256 s[4:11], s[0:1], 0x10
	v_ashrrev_i32_e32 v7, 31, v6
	s_cmp_lg_u32 s3, 0
	s_wait_kmcnt 0x0
	s_delay_alu instid0(VALU_DEP_1)
	v_lshl_add_u64 v[8:9], v[6:7], 2, s[4:5]
	v_and_b32_e32 v7, 3, v0
	global_load_b64 v[8:9], v[8:9], off
	s_wait_loadcnt 0x0
	v_subrev_nc_u32_e32 v0, s12, v8
	v_subrev_nc_u32_e32 v14, s12, v9
	s_delay_alu instid0(VALU_DEP_2) | instskip(NEXT) | instid1(VALU_DEP_1)
	v_add_nc_u32_e32 v15, v0, v7
	v_cmp_lt_i32_e64 s2, v15, v14
	s_cbranch_scc0 .LBB116_12
; %bb.7:
	v_mov_b64_e32 v[0:1], 0
	v_mov_b64_e32 v[8:9], 0
	s_and_saveexec_b32 s3, s2
	s_cbranch_execz .LBB116_11
; %bb.8:
	v_mad_u32 v10, v15, 20, 18
	v_mov_b64_e32 v[0:1], 0
	v_mov_b64_e32 v[8:9], 0
	v_dual_mov_b32 v13, 0 :: v_dual_mov_b32 v16, v15
	s_mov_b32 s4, 0
.LBB116_9:                              ; =>This Inner Loop Header: Depth=1
	global_load_b32 v11, v16, s[6:7] scale_offset
	v_subrev_nc_u32_e32 v12, 18, v10
	s_wait_xcnt 0x0
	v_dual_mov_b32 v67, v13 :: v_dual_add_nc_u32 v16, 4, v16
	s_delay_alu instid0(VALU_DEP_2) | instskip(SKIP_1) | instid1(VALU_DEP_3)
	v_lshl_add_u64 v[30:31], v[12:13], 3, s[8:9]
	v_add_nc_u32_e32 v12, -14, v10
	v_cmp_ge_i32_e32 vcc_lo, v16, v14
	s_delay_alu instid0(VALU_DEP_2) | instskip(SKIP_3) | instid1(VALU_DEP_1)
	v_lshl_add_u64 v[38:39], v[12:13], 3, s[8:9]
	s_or_b32 s4, vcc_lo, s4
	s_wait_loadcnt 0x0
	v_subrev_nc_u32_e32 v11, s12, v11
	v_mul_lo_u32 v66, v11, 10
	s_delay_alu instid0(VALU_DEP_1)
	v_dual_mov_b32 v11, v13 :: v_dual_add_nc_u32 v12, 2, v66
	v_lshl_add_u64 v[32:33], v[66:67], 3, s[10:11]
	s_clause 0x1
	global_load_b128 v[18:21], v[30:31], off offset:16
	global_load_b128 v[22:25], v[30:31], off
	global_load_b128 v[26:29], v[32:33], off
	v_lshl_add_u64 v[40:41], v[12:13], 3, s[10:11]
	global_load_b128 v[30:33], v[38:39], off
	global_load_b128 v[34:37], v[40:41], off
	v_add_nc_u32_e32 v12, -12, v10
	s_wait_xcnt 0x1
	s_delay_alu instid0(VALU_DEP_1) | instskip(SKIP_4) | instid1(VALU_DEP_1)
	v_lshl_add_u64 v[38:39], v[12:13], 3, s[8:9]
	v_add_nc_u32_e32 v12, -10, v10
	global_load_b128 v[38:41], v[38:39], off
	v_lshl_add_u64 v[50:51], v[12:13], 3, s[8:9]
	v_add_nc_u32_e32 v12, 4, v66
	v_lshl_add_u64 v[52:53], v[12:13], 3, s[10:11]
	global_load_b128 v[42:45], v[50:51], off
	global_load_b128 v[46:49], v[52:53], off
	v_add_nc_u32_e32 v12, -8, v10
	s_wait_xcnt 0x1
	s_delay_alu instid0(VALU_DEP_1) | instskip(SKIP_4) | instid1(VALU_DEP_1)
	v_lshl_add_u64 v[50:51], v[12:13], 3, s[8:9]
	v_add_nc_u32_e32 v12, -6, v10
	global_load_b128 v[50:53], v[50:51], off
	v_lshl_add_u64 v[62:63], v[12:13], 3, s[8:9]
	v_add_nc_u32_e32 v12, 6, v66
	;; [unrolled: 11-line block ×3, first 2 shown]
	v_lshl_add_u64 v[76:77], v[12:13], 3, s[10:11]
	global_load_b128 v[66:69], v[74:75], off
	global_load_b128 v[70:73], v[76:77], off
	s_wait_xcnt 0x1
	v_lshl_add_u64 v[74:75], v[10:11], 3, s[8:9]
	v_add_nc_u32_e32 v10, 0x50, v10
	global_load_b128 v[74:77], v[74:75], off
	s_wait_loadcnt 0xc
	v_fmac_f64_e32 v[0:1], v[22:23], v[26:27]
	v_fmac_f64_e32 v[8:9], v[24:25], v[26:27]
	s_delay_alu instid0(VALU_DEP_2) | instskip(NEXT) | instid1(VALU_DEP_2)
	v_fmac_f64_e32 v[0:1], v[18:19], v[28:29]
	v_fmac_f64_e32 v[8:9], v[20:21], v[28:29]
	s_wait_loadcnt 0xa
	s_delay_alu instid0(VALU_DEP_2) | instskip(NEXT) | instid1(VALU_DEP_2)
	v_fmac_f64_e32 v[0:1], v[30:31], v[34:35]
	v_fmac_f64_e32 v[8:9], v[32:33], v[34:35]
	s_wait_loadcnt 0x9
	;; [unrolled: 4-line block ×8, first 2 shown]
	s_delay_alu instid0(VALU_DEP_2) | instskip(NEXT) | instid1(VALU_DEP_2)
	v_fmac_f64_e32 v[0:1], v[74:75], v[72:73]
	v_fmac_f64_e32 v[8:9], v[76:77], v[72:73]
	s_and_not1_b32 exec_lo, exec_lo, s4
	s_cbranch_execnz .LBB116_9
; %bb.10:
	s_or_b32 exec_lo, exec_lo, s4
.LBB116_11:
	s_delay_alu instid0(SALU_CYCLE_1)
	s_or_b32 exec_lo, exec_lo, s3
	s_cbranch_execz .LBB116_13
	s_branch .LBB116_18
.LBB116_12:
                                        ; implicit-def: $vgpr0_vgpr1
                                        ; implicit-def: $vgpr8_vgpr9
.LBB116_13:
	v_mov_b64_e32 v[0:1], 0
	v_mov_b64_e32 v[8:9], 0
	s_and_saveexec_b32 s3, s2
	s_cbranch_execz .LBB116_17
; %bb.14:
	v_mad_u32 v12, v15, 20, 19
	v_mov_b64_e32 v[0:1], 0
	v_mov_b64_e32 v[8:9], 0
	v_mov_b32_e32 v11, 0
	s_mov_b32 s2, 0
.LBB116_15:                             ; =>This Inner Loop Header: Depth=1
	global_load_b32 v13, v15, s[6:7] scale_offset
	v_subrev_nc_u32_e32 v10, 19, v12
	v_dual_mov_b32 v41, v11 :: v_dual_add_nc_u32 v20, -9, v12
	v_dual_add_nc_u32 v26, -8, v12 :: v_dual_add_nc_u32 v38, -5, v12
	s_delay_alu instid0(VALU_DEP_3)
	v_lshl_add_u64 v[32:33], v[10:11], 3, s[8:9]
	v_add_nc_u32_e32 v67, -1, v12
	s_clause 0x1
	global_load_b64 v[42:43], v20, s[8:9] scale_offset
	global_load_b128 v[16:19], v[32:33], off
	s_wait_xcnt 0x2
	v_dual_add_nc_u32 v15, 4, v15 :: v_dual_add_nc_u32 v66, -11, v12
	s_delay_alu instid0(VALU_DEP_1) | instskip(SKIP_4) | instid1(VALU_DEP_2)
	v_cmp_ge_i32_e32 vcc_lo, v15, v14
	s_or_b32 s2, vcc_lo, s2
	s_wait_loadcnt 0x2
	v_subrev_nc_u32_e32 v10, s12, v13
	v_add_nc_u32_e32 v13, -7, v12
	v_mul_lo_u32 v40, v10, 10
	s_delay_alu instid0(VALU_DEP_1) | instskip(SKIP_4) | instid1(VALU_DEP_2)
	v_lshl_add_u64 v[24:25], v[40:41], 3, s[10:11]
	global_load_b128 v[20:23], v[24:25], off
	global_load_b64 v[44:45], v26, s[8:9] scale_offset
	v_add_nc_u32_e32 v10, 2, v40
	v_add_nc_u32_e32 v41, -3, v12
	v_lshl_add_u64 v[34:35], v[10:11], 3, s[10:11]
	s_clause 0x1
	global_load_b64 v[46:47], v13, s[8:9] scale_offset
	global_load_b128 v[24:27], v[32:33], off offset:16
	global_load_b128 v[28:31], v[34:35], off
	s_wait_xcnt 0x2
	v_dual_add_nc_u32 v10, -6, v12 :: v_dual_add_nc_u32 v13, -15, v12
	global_load_b64 v[48:49], v10, s[8:9] scale_offset
	s_wait_xcnt 0x0
	v_add_nc_u32_e32 v10, 4, v40
	s_delay_alu instid0(VALU_DEP_1)
	v_lshl_add_u64 v[36:37], v[10:11], 3, s[10:11]
	v_add_nc_u32_e32 v10, -14, v12
	s_clause 0x1
	global_load_b64 v[50:51], v13, s[8:9] scale_offset
	global_load_b64 v[52:53], v38, s[8:9] scale_offset
	global_load_b128 v[32:35], v[36:37], off
	s_wait_xcnt 0x2
	v_add_nc_u32_e32 v13, -4, v12
	s_clause 0x1
	global_load_b64 v[54:55], v10, s[8:9] scale_offset
	global_load_b64 v[56:57], v13, s[8:9] scale_offset
	s_wait_xcnt 0x1
	v_add_nc_u32_e32 v10, 6, v40
	s_wait_xcnt 0x0
	v_add_nc_u32_e32 v13, -13, v12
	s_delay_alu instid0(VALU_DEP_2)
	v_lshl_add_u64 v[58:59], v[10:11], 3, s[10:11]
	v_add_nc_u32_e32 v10, -12, v12
	s_clause 0x1
	global_load_b64 v[60:61], v13, s[8:9] scale_offset
	global_load_b64 v[62:63], v41, s[8:9] scale_offset
	global_load_b128 v[36:39], v[58:59], off
	s_wait_xcnt 0x2
	v_add_nc_u32_e32 v13, -2, v12
	global_load_b64 v[58:59], v10, s[8:9] scale_offset
	s_wait_xcnt 0x0
	v_add_nc_u32_e32 v10, 8, v40
	s_clause 0x1
	global_load_b64 v[40:41], v13, s[8:9] scale_offset
	global_load_b64 v[64:65], v66, s[8:9] scale_offset
	s_wait_loadcnt 0x10
	v_fmac_f64_e32 v[0:1], v[16:17], v[20:21]
	v_lshl_add_u64 v[16:17], v[10:11], 3, s[10:11]
	v_fmac_f64_e32 v[8:9], v[42:43], v[20:21]
	v_add_nc_u32_e32 v10, -10, v12
	global_load_b64 v[66:67], v67, s[8:9] scale_offset
	v_fmac_f64_e32 v[0:1], v[18:19], v[22:23]
	global_load_b128 v[16:19], v[16:17], off
	s_wait_loadcnt 0x11
	v_fmac_f64_e32 v[8:9], v[44:45], v[22:23]
	s_clause 0x1
	global_load_b64 v[20:21], v12, s[8:9] scale_offset
	global_load_b64 v[22:23], v10, s[8:9] scale_offset
	s_wait_xcnt 0x1
	v_add_nc_u32_e32 v12, 0x50, v12
	s_wait_loadcnt 0x10
	v_fmac_f64_e32 v[0:1], v[24:25], v[28:29]
	v_fmac_f64_e32 v[8:9], v[46:47], v[28:29]
	s_delay_alu instid0(VALU_DEP_2) | instskip(SKIP_1) | instid1(VALU_DEP_2)
	v_fmac_f64_e32 v[0:1], v[26:27], v[30:31]
	s_wait_loadcnt 0xf
	v_fmac_f64_e32 v[8:9], v[48:49], v[30:31]
	s_wait_loadcnt 0xc
	s_delay_alu instid0(VALU_DEP_2) | instskip(NEXT) | instid1(VALU_DEP_2)
	v_fmac_f64_e32 v[0:1], v[50:51], v[32:33]
	v_fmac_f64_e32 v[8:9], v[52:53], v[32:33]
	s_wait_loadcnt 0xb
	s_delay_alu instid0(VALU_DEP_2) | instskip(SKIP_1) | instid1(VALU_DEP_2)
	v_fmac_f64_e32 v[0:1], v[54:55], v[34:35]
	s_wait_loadcnt 0xa
	v_fmac_f64_e32 v[8:9], v[56:57], v[34:35]
	s_wait_loadcnt 0x7
	s_delay_alu instid0(VALU_DEP_2) | instskip(NEXT) | instid1(VALU_DEP_2)
	v_fmac_f64_e32 v[0:1], v[60:61], v[36:37]
	v_fmac_f64_e32 v[8:9], v[62:63], v[36:37]
	s_wait_loadcnt 0x6
	;; [unrolled: 9-line block ×3, first 2 shown]
	s_delay_alu instid0(VALU_DEP_2) | instskip(NEXT) | instid1(VALU_DEP_2)
	v_fmac_f64_e32 v[0:1], v[22:23], v[18:19]
	v_fmac_f64_e32 v[8:9], v[20:21], v[18:19]
	s_and_not1_b32 exec_lo, exec_lo, s2
	s_cbranch_execnz .LBB116_15
; %bb.16:
	s_or_b32 exec_lo, exec_lo, s2
.LBB116_17:
	s_delay_alu instid0(SALU_CYCLE_1)
	s_or_b32 exec_lo, exec_lo, s3
.LBB116_18:
	v_mbcnt_lo_u32_b32 v14, -1, 0
	s_delay_alu instid0(VALU_DEP_1) | instskip(NEXT) | instid1(VALU_DEP_1)
	v_xor_b32_e32 v10, 2, v14
	v_cmp_gt_i32_e32 vcc_lo, 32, v10
	v_cndmask_b32_e32 v10, v14, v10, vcc_lo
	s_delay_alu instid0(VALU_DEP_1)
	v_lshlrev_b32_e32 v13, 2, v10
	ds_bpermute_b32 v10, v13, v0
	ds_bpermute_b32 v11, v13, v1
	;; [unrolled: 1-line block ×4, first 2 shown]
	s_wait_dscnt 0x2
	v_add_f64_e32 v[0:1], v[0:1], v[10:11]
	s_wait_dscnt 0x0
	v_dual_add_f64 v[10:11], v[8:9], v[12:13] :: v_dual_bitop2_b32 v8, 1, v14 bitop3:0x14
	s_delay_alu instid0(VALU_DEP_1) | instskip(SKIP_2) | instid1(VALU_DEP_2)
	v_cmp_gt_i32_e32 vcc_lo, 32, v8
	v_cndmask_b32_e32 v8, v14, v8, vcc_lo
	v_cmp_eq_u32_e32 vcc_lo, 3, v7
	v_lshlrev_b32_e32 v13, 2, v8
	ds_bpermute_b32 v8, v13, v0
	ds_bpermute_b32 v9, v13, v1
	;; [unrolled: 1-line block ×4, first 2 shown]
	s_and_b32 exec_lo, exec_lo, vcc_lo
	s_cbranch_execz .LBB116_23
; %bb.19:
	s_wait_dscnt 0x2
	v_add_f64_e32 v[8:9], v[0:1], v[8:9]
	s_wait_dscnt 0x0
	v_add_f64_e32 v[0:1], v[10:11], v[12:13]
	s_load_b64 s[0:1], s[0:1], 0x38
	s_mov_b32 s2, exec_lo
	v_cmpx_eq_f64_e32 0, v[4:5]
	s_xor_b32 s2, exec_lo, s2
	s_cbranch_execz .LBB116_21
; %bb.20:
	s_delay_alu instid0(VALU_DEP_3) | instskip(NEXT) | instid1(VALU_DEP_3)
	v_mul_f64_e32 v[8:9], v[2:3], v[8:9]
	v_dual_mul_f64 v[10:11], v[2:3], v[0:1] :: v_dual_lshlrev_b32 v0, 1, v6
                                        ; implicit-def: $vgpr6
                                        ; implicit-def: $vgpr2_vgpr3
                                        ; implicit-def: $vgpr4_vgpr5
	s_delay_alu instid0(VALU_DEP_1) | instskip(SKIP_1) | instid1(VALU_DEP_1)
	v_ashrrev_i32_e32 v1, 31, v0
	s_wait_kmcnt 0x0
	v_lshl_add_u64 v[0:1], v[0:1], 3, s[0:1]
	global_store_b128 v[0:1], v[8:11], off
                                        ; implicit-def: $vgpr8_vgpr9
                                        ; implicit-def: $vgpr0_vgpr1
.LBB116_21:
	s_wait_xcnt 0x0
	s_and_not1_saveexec_b32 s2, s2
	s_cbranch_execz .LBB116_23
; %bb.22:
	v_lshlrev_b32_e32 v6, 1, v6
	s_delay_alu instid0(VALU_DEP_1) | instskip(SKIP_1) | instid1(VALU_DEP_1)
	v_ashrrev_i32_e32 v7, 31, v6
	s_wait_kmcnt 0x0
	v_lshl_add_u64 v[14:15], v[6:7], 3, s[0:1]
	v_mul_f64_e32 v[6:7], v[2:3], v[8:9]
	v_mul_f64_e32 v[8:9], v[2:3], v[0:1]
	global_load_b128 v[10:13], v[14:15], off
	s_wait_loadcnt 0x0
	v_fmac_f64_e32 v[6:7], v[4:5], v[10:11]
	v_fmac_f64_e32 v[8:9], v[4:5], v[12:13]
	global_store_b128 v[14:15], v[6:9], off
.LBB116_23:
	s_sendmsg sendmsg(MSG_DEALLOC_VGPRS)
	s_endpgm
	.section	.rodata,"a",@progbits
	.p2align	6, 0x0
	.amdhsa_kernel _ZN9rocsparseL19gebsrmvn_2xn_kernelILj128ELj10ELj4EdEEvi20rocsparse_direction_NS_24const_host_device_scalarIT2_EEPKiS6_PKS3_S8_S4_PS3_21rocsparse_index_base_b
		.amdhsa_group_segment_fixed_size 0
		.amdhsa_private_segment_fixed_size 0
		.amdhsa_kernarg_size 72
		.amdhsa_user_sgpr_count 2
		.amdhsa_user_sgpr_dispatch_ptr 0
		.amdhsa_user_sgpr_queue_ptr 0
		.amdhsa_user_sgpr_kernarg_segment_ptr 1
		.amdhsa_user_sgpr_dispatch_id 0
		.amdhsa_user_sgpr_kernarg_preload_length 0
		.amdhsa_user_sgpr_kernarg_preload_offset 0
		.amdhsa_user_sgpr_private_segment_size 0
		.amdhsa_wavefront_size32 1
		.amdhsa_uses_dynamic_stack 0
		.amdhsa_enable_private_segment 0
		.amdhsa_system_sgpr_workgroup_id_x 1
		.amdhsa_system_sgpr_workgroup_id_y 0
		.amdhsa_system_sgpr_workgroup_id_z 0
		.amdhsa_system_sgpr_workgroup_info 0
		.amdhsa_system_vgpr_workitem_id 0
		.amdhsa_next_free_vgpr 78
		.amdhsa_next_free_sgpr 14
		.amdhsa_named_barrier_count 0
		.amdhsa_reserve_vcc 1
		.amdhsa_float_round_mode_32 0
		.amdhsa_float_round_mode_16_64 0
		.amdhsa_float_denorm_mode_32 3
		.amdhsa_float_denorm_mode_16_64 3
		.amdhsa_fp16_overflow 0
		.amdhsa_memory_ordered 1
		.amdhsa_forward_progress 1
		.amdhsa_inst_pref_size 17
		.amdhsa_round_robin_scheduling 0
		.amdhsa_exception_fp_ieee_invalid_op 0
		.amdhsa_exception_fp_denorm_src 0
		.amdhsa_exception_fp_ieee_div_zero 0
		.amdhsa_exception_fp_ieee_overflow 0
		.amdhsa_exception_fp_ieee_underflow 0
		.amdhsa_exception_fp_ieee_inexact 0
		.amdhsa_exception_int_div_zero 0
	.end_amdhsa_kernel
	.section	.text._ZN9rocsparseL19gebsrmvn_2xn_kernelILj128ELj10ELj4EdEEvi20rocsparse_direction_NS_24const_host_device_scalarIT2_EEPKiS6_PKS3_S8_S4_PS3_21rocsparse_index_base_b,"axG",@progbits,_ZN9rocsparseL19gebsrmvn_2xn_kernelILj128ELj10ELj4EdEEvi20rocsparse_direction_NS_24const_host_device_scalarIT2_EEPKiS6_PKS3_S8_S4_PS3_21rocsparse_index_base_b,comdat
.Lfunc_end116:
	.size	_ZN9rocsparseL19gebsrmvn_2xn_kernelILj128ELj10ELj4EdEEvi20rocsparse_direction_NS_24const_host_device_scalarIT2_EEPKiS6_PKS3_S8_S4_PS3_21rocsparse_index_base_b, .Lfunc_end116-_ZN9rocsparseL19gebsrmvn_2xn_kernelILj128ELj10ELj4EdEEvi20rocsparse_direction_NS_24const_host_device_scalarIT2_EEPKiS6_PKS3_S8_S4_PS3_21rocsparse_index_base_b
                                        ; -- End function
	.set _ZN9rocsparseL19gebsrmvn_2xn_kernelILj128ELj10ELj4EdEEvi20rocsparse_direction_NS_24const_host_device_scalarIT2_EEPKiS6_PKS3_S8_S4_PS3_21rocsparse_index_base_b.num_vgpr, 78
	.set _ZN9rocsparseL19gebsrmvn_2xn_kernelILj128ELj10ELj4EdEEvi20rocsparse_direction_NS_24const_host_device_scalarIT2_EEPKiS6_PKS3_S8_S4_PS3_21rocsparse_index_base_b.num_agpr, 0
	.set _ZN9rocsparseL19gebsrmvn_2xn_kernelILj128ELj10ELj4EdEEvi20rocsparse_direction_NS_24const_host_device_scalarIT2_EEPKiS6_PKS3_S8_S4_PS3_21rocsparse_index_base_b.numbered_sgpr, 14
	.set _ZN9rocsparseL19gebsrmvn_2xn_kernelILj128ELj10ELj4EdEEvi20rocsparse_direction_NS_24const_host_device_scalarIT2_EEPKiS6_PKS3_S8_S4_PS3_21rocsparse_index_base_b.num_named_barrier, 0
	.set _ZN9rocsparseL19gebsrmvn_2xn_kernelILj128ELj10ELj4EdEEvi20rocsparse_direction_NS_24const_host_device_scalarIT2_EEPKiS6_PKS3_S8_S4_PS3_21rocsparse_index_base_b.private_seg_size, 0
	.set _ZN9rocsparseL19gebsrmvn_2xn_kernelILj128ELj10ELj4EdEEvi20rocsparse_direction_NS_24const_host_device_scalarIT2_EEPKiS6_PKS3_S8_S4_PS3_21rocsparse_index_base_b.uses_vcc, 1
	.set _ZN9rocsparseL19gebsrmvn_2xn_kernelILj128ELj10ELj4EdEEvi20rocsparse_direction_NS_24const_host_device_scalarIT2_EEPKiS6_PKS3_S8_S4_PS3_21rocsparse_index_base_b.uses_flat_scratch, 0
	.set _ZN9rocsparseL19gebsrmvn_2xn_kernelILj128ELj10ELj4EdEEvi20rocsparse_direction_NS_24const_host_device_scalarIT2_EEPKiS6_PKS3_S8_S4_PS3_21rocsparse_index_base_b.has_dyn_sized_stack, 0
	.set _ZN9rocsparseL19gebsrmvn_2xn_kernelILj128ELj10ELj4EdEEvi20rocsparse_direction_NS_24const_host_device_scalarIT2_EEPKiS6_PKS3_S8_S4_PS3_21rocsparse_index_base_b.has_recursion, 0
	.set _ZN9rocsparseL19gebsrmvn_2xn_kernelILj128ELj10ELj4EdEEvi20rocsparse_direction_NS_24const_host_device_scalarIT2_EEPKiS6_PKS3_S8_S4_PS3_21rocsparse_index_base_b.has_indirect_call, 0
	.section	.AMDGPU.csdata,"",@progbits
; Kernel info:
; codeLenInByte = 2064
; TotalNumSgprs: 16
; NumVgprs: 78
; ScratchSize: 0
; MemoryBound: 0
; FloatMode: 240
; IeeeMode: 1
; LDSByteSize: 0 bytes/workgroup (compile time only)
; SGPRBlocks: 0
; VGPRBlocks: 4
; NumSGPRsForWavesPerEU: 16
; NumVGPRsForWavesPerEU: 78
; NamedBarCnt: 0
; Occupancy: 12
; WaveLimiterHint : 1
; COMPUTE_PGM_RSRC2:SCRATCH_EN: 0
; COMPUTE_PGM_RSRC2:USER_SGPR: 2
; COMPUTE_PGM_RSRC2:TRAP_HANDLER: 0
; COMPUTE_PGM_RSRC2:TGID_X_EN: 1
; COMPUTE_PGM_RSRC2:TGID_Y_EN: 0
; COMPUTE_PGM_RSRC2:TGID_Z_EN: 0
; COMPUTE_PGM_RSRC2:TIDIG_COMP_CNT: 0
	.section	.text._ZN9rocsparseL19gebsrmvn_2xn_kernelILj128ELj10ELj8EdEEvi20rocsparse_direction_NS_24const_host_device_scalarIT2_EEPKiS6_PKS3_S8_S4_PS3_21rocsparse_index_base_b,"axG",@progbits,_ZN9rocsparseL19gebsrmvn_2xn_kernelILj128ELj10ELj8EdEEvi20rocsparse_direction_NS_24const_host_device_scalarIT2_EEPKiS6_PKS3_S8_S4_PS3_21rocsparse_index_base_b,comdat
	.globl	_ZN9rocsparseL19gebsrmvn_2xn_kernelILj128ELj10ELj8EdEEvi20rocsparse_direction_NS_24const_host_device_scalarIT2_EEPKiS6_PKS3_S8_S4_PS3_21rocsparse_index_base_b ; -- Begin function _ZN9rocsparseL19gebsrmvn_2xn_kernelILj128ELj10ELj8EdEEvi20rocsparse_direction_NS_24const_host_device_scalarIT2_EEPKiS6_PKS3_S8_S4_PS3_21rocsparse_index_base_b
	.p2align	8
	.type	_ZN9rocsparseL19gebsrmvn_2xn_kernelILj128ELj10ELj8EdEEvi20rocsparse_direction_NS_24const_host_device_scalarIT2_EEPKiS6_PKS3_S8_S4_PS3_21rocsparse_index_base_b,@function
_ZN9rocsparseL19gebsrmvn_2xn_kernelILj128ELj10ELj8EdEEvi20rocsparse_direction_NS_24const_host_device_scalarIT2_EEPKiS6_PKS3_S8_S4_PS3_21rocsparse_index_base_b: ; @_ZN9rocsparseL19gebsrmvn_2xn_kernelILj128ELj10ELj8EdEEvi20rocsparse_direction_NS_24const_host_device_scalarIT2_EEPKiS6_PKS3_S8_S4_PS3_21rocsparse_index_base_b
; %bb.0:
	s_clause 0x2
	s_load_b64 s[12:13], s[0:1], 0x40
	s_load_b64 s[4:5], s[0:1], 0x8
	;; [unrolled: 1-line block ×3, first 2 shown]
	s_wait_kmcnt 0x0
	s_bitcmp1_b32 s13, 0
	v_mov_b64_e32 v[2:3], s[4:5]
	s_cselect_b32 s6, -1, 0
	s_delay_alu instid0(SALU_CYCLE_1)
	s_and_b32 vcc_lo, exec_lo, s6
	s_xor_b32 s6, s6, -1
	s_cbranch_vccnz .LBB117_2
; %bb.1:
	v_mov_b32_e32 v1, 0
	flat_load_b64 v[2:3], v1, s[4:5]
.LBB117_2:
	v_mov_b64_e32 v[4:5], s[2:3]
	s_and_not1_b32 vcc_lo, exec_lo, s6
	s_cbranch_vccnz .LBB117_4
; %bb.3:
	s_wait_xcnt 0x0
	v_mov_b32_e32 v1, 0
	flat_load_b64 v[4:5], v1, s[2:3]
.LBB117_4:
	s_wait_loadcnt_dscnt 0x0
	v_cmp_neq_f64_e32 vcc_lo, 0, v[2:3]
	s_delay_alu instid0(VALU_DEP_2) | instskip(SKIP_1) | instid1(SALU_CYCLE_1)
	v_cmp_neq_f64_e64 s2, 1.0, v[4:5]
	s_or_b32 s2, vcc_lo, s2
	s_and_saveexec_b32 s3, s2
	s_cbranch_execz .LBB117_23
; %bb.5:
	s_load_b64 s[2:3], s[0:1], 0x0
	s_bfe_u32 s4, ttmp6, 0x4000c
	s_and_b32 s5, ttmp6, 15
	s_add_co_i32 s4, s4, 1
	s_getreg_b32 s6, hwreg(HW_REG_IB_STS2, 6, 4)
	s_mul_i32 s4, ttmp9, s4
	v_lshrrev_b32_e32 v1, 3, v0
	s_add_co_i32 s5, s5, s4
	s_cmp_eq_u32 s6, 0
	s_cselect_b32 s4, ttmp9, s5
	s_delay_alu instid0(VALU_DEP_1) | instid1(SALU_CYCLE_1)
	v_lshl_or_b32 v6, s4, 4, v1
	s_wait_kmcnt 0x0
	s_delay_alu instid0(VALU_DEP_1)
	v_cmp_gt_i32_e32 vcc_lo, s2, v6
	s_and_b32 exec_lo, exec_lo, vcc_lo
	s_cbranch_execz .LBB117_23
; %bb.6:
	s_load_b256 s[4:11], s[0:1], 0x10
	v_ashrrev_i32_e32 v7, 31, v6
	s_cmp_lg_u32 s3, 0
	s_wait_kmcnt 0x0
	s_delay_alu instid0(VALU_DEP_1)
	v_lshl_add_u64 v[8:9], v[6:7], 2, s[4:5]
	v_and_b32_e32 v7, 7, v0
	global_load_b64 v[8:9], v[8:9], off
	s_wait_loadcnt 0x0
	v_subrev_nc_u32_e32 v0, s12, v8
	v_subrev_nc_u32_e32 v14, s12, v9
	s_delay_alu instid0(VALU_DEP_2) | instskip(NEXT) | instid1(VALU_DEP_1)
	v_add_nc_u32_e32 v15, v0, v7
	v_cmp_lt_i32_e64 s2, v15, v14
	s_cbranch_scc0 .LBB117_12
; %bb.7:
	v_mov_b64_e32 v[0:1], 0
	v_mov_b64_e32 v[8:9], 0
	s_and_saveexec_b32 s3, s2
	s_cbranch_execz .LBB117_11
; %bb.8:
	v_mad_u32 v10, v15, 20, 18
	v_mov_b64_e32 v[0:1], 0
	v_mov_b64_e32 v[8:9], 0
	v_dual_mov_b32 v13, 0 :: v_dual_mov_b32 v16, v15
	s_mov_b32 s4, 0
.LBB117_9:                              ; =>This Inner Loop Header: Depth=1
	global_load_b32 v11, v16, s[6:7] scale_offset
	v_subrev_nc_u32_e32 v12, 18, v10
	s_wait_xcnt 0x0
	v_dual_mov_b32 v67, v13 :: v_dual_add_nc_u32 v16, 8, v16
	s_delay_alu instid0(VALU_DEP_2) | instskip(SKIP_1) | instid1(VALU_DEP_3)
	v_lshl_add_u64 v[30:31], v[12:13], 3, s[8:9]
	v_add_nc_u32_e32 v12, -14, v10
	v_cmp_ge_i32_e32 vcc_lo, v16, v14
	s_delay_alu instid0(VALU_DEP_2) | instskip(SKIP_3) | instid1(VALU_DEP_1)
	v_lshl_add_u64 v[38:39], v[12:13], 3, s[8:9]
	s_or_b32 s4, vcc_lo, s4
	s_wait_loadcnt 0x0
	v_subrev_nc_u32_e32 v11, s12, v11
	v_mul_lo_u32 v66, v11, 10
	s_delay_alu instid0(VALU_DEP_1)
	v_dual_mov_b32 v11, v13 :: v_dual_add_nc_u32 v12, 2, v66
	v_lshl_add_u64 v[32:33], v[66:67], 3, s[10:11]
	s_clause 0x1
	global_load_b128 v[18:21], v[30:31], off offset:16
	global_load_b128 v[22:25], v[30:31], off
	global_load_b128 v[26:29], v[32:33], off
	v_lshl_add_u64 v[40:41], v[12:13], 3, s[10:11]
	global_load_b128 v[30:33], v[38:39], off
	global_load_b128 v[34:37], v[40:41], off
	v_add_nc_u32_e32 v12, -12, v10
	s_wait_xcnt 0x1
	s_delay_alu instid0(VALU_DEP_1) | instskip(SKIP_4) | instid1(VALU_DEP_1)
	v_lshl_add_u64 v[38:39], v[12:13], 3, s[8:9]
	v_add_nc_u32_e32 v12, -10, v10
	global_load_b128 v[38:41], v[38:39], off
	v_lshl_add_u64 v[50:51], v[12:13], 3, s[8:9]
	v_add_nc_u32_e32 v12, 4, v66
	v_lshl_add_u64 v[52:53], v[12:13], 3, s[10:11]
	global_load_b128 v[42:45], v[50:51], off
	global_load_b128 v[46:49], v[52:53], off
	v_add_nc_u32_e32 v12, -8, v10
	s_wait_xcnt 0x1
	s_delay_alu instid0(VALU_DEP_1) | instskip(SKIP_4) | instid1(VALU_DEP_1)
	v_lshl_add_u64 v[50:51], v[12:13], 3, s[8:9]
	v_add_nc_u32_e32 v12, -6, v10
	global_load_b128 v[50:53], v[50:51], off
	v_lshl_add_u64 v[62:63], v[12:13], 3, s[8:9]
	v_add_nc_u32_e32 v12, 6, v66
	;; [unrolled: 11-line block ×3, first 2 shown]
	v_lshl_add_u64 v[76:77], v[12:13], 3, s[10:11]
	global_load_b128 v[66:69], v[74:75], off
	global_load_b128 v[70:73], v[76:77], off
	s_wait_xcnt 0x1
	v_lshl_add_u64 v[74:75], v[10:11], 3, s[8:9]
	v_add_nc_u32_e32 v10, 0xa0, v10
	global_load_b128 v[74:77], v[74:75], off
	s_wait_loadcnt 0xc
	v_fmac_f64_e32 v[0:1], v[22:23], v[26:27]
	v_fmac_f64_e32 v[8:9], v[24:25], v[26:27]
	s_delay_alu instid0(VALU_DEP_2) | instskip(NEXT) | instid1(VALU_DEP_2)
	v_fmac_f64_e32 v[0:1], v[18:19], v[28:29]
	v_fmac_f64_e32 v[8:9], v[20:21], v[28:29]
	s_wait_loadcnt 0xa
	s_delay_alu instid0(VALU_DEP_2) | instskip(NEXT) | instid1(VALU_DEP_2)
	v_fmac_f64_e32 v[0:1], v[30:31], v[34:35]
	v_fmac_f64_e32 v[8:9], v[32:33], v[34:35]
	s_wait_loadcnt 0x9
	;; [unrolled: 4-line block ×8, first 2 shown]
	s_delay_alu instid0(VALU_DEP_2) | instskip(NEXT) | instid1(VALU_DEP_2)
	v_fmac_f64_e32 v[0:1], v[74:75], v[72:73]
	v_fmac_f64_e32 v[8:9], v[76:77], v[72:73]
	s_and_not1_b32 exec_lo, exec_lo, s4
	s_cbranch_execnz .LBB117_9
; %bb.10:
	s_or_b32 exec_lo, exec_lo, s4
.LBB117_11:
	s_delay_alu instid0(SALU_CYCLE_1)
	s_or_b32 exec_lo, exec_lo, s3
	s_cbranch_execz .LBB117_13
	s_branch .LBB117_18
.LBB117_12:
                                        ; implicit-def: $vgpr0_vgpr1
                                        ; implicit-def: $vgpr8_vgpr9
.LBB117_13:
	v_mov_b64_e32 v[0:1], 0
	v_mov_b64_e32 v[8:9], 0
	s_and_saveexec_b32 s3, s2
	s_cbranch_execz .LBB117_17
; %bb.14:
	v_mad_u32 v12, v15, 20, 19
	v_mov_b64_e32 v[0:1], 0
	v_mov_b64_e32 v[8:9], 0
	v_mov_b32_e32 v11, 0
	s_mov_b32 s2, 0
.LBB117_15:                             ; =>This Inner Loop Header: Depth=1
	global_load_b32 v13, v15, s[6:7] scale_offset
	v_subrev_nc_u32_e32 v10, 19, v12
	v_dual_mov_b32 v41, v11 :: v_dual_add_nc_u32 v20, -9, v12
	v_dual_add_nc_u32 v26, -8, v12 :: v_dual_add_nc_u32 v38, -5, v12
	s_delay_alu instid0(VALU_DEP_3)
	v_lshl_add_u64 v[32:33], v[10:11], 3, s[8:9]
	v_add_nc_u32_e32 v67, -1, v12
	s_clause 0x1
	global_load_b64 v[42:43], v20, s[8:9] scale_offset
	global_load_b128 v[16:19], v[32:33], off
	s_wait_xcnt 0x2
	v_dual_add_nc_u32 v15, 8, v15 :: v_dual_add_nc_u32 v66, -11, v12
	s_delay_alu instid0(VALU_DEP_1) | instskip(SKIP_4) | instid1(VALU_DEP_2)
	v_cmp_ge_i32_e32 vcc_lo, v15, v14
	s_or_b32 s2, vcc_lo, s2
	s_wait_loadcnt 0x2
	v_subrev_nc_u32_e32 v10, s12, v13
	v_add_nc_u32_e32 v13, -7, v12
	v_mul_lo_u32 v40, v10, 10
	s_delay_alu instid0(VALU_DEP_1) | instskip(SKIP_4) | instid1(VALU_DEP_2)
	v_lshl_add_u64 v[24:25], v[40:41], 3, s[10:11]
	global_load_b128 v[20:23], v[24:25], off
	global_load_b64 v[44:45], v26, s[8:9] scale_offset
	v_add_nc_u32_e32 v10, 2, v40
	v_add_nc_u32_e32 v41, -3, v12
	v_lshl_add_u64 v[34:35], v[10:11], 3, s[10:11]
	s_clause 0x1
	global_load_b64 v[46:47], v13, s[8:9] scale_offset
	global_load_b128 v[24:27], v[32:33], off offset:16
	global_load_b128 v[28:31], v[34:35], off
	s_wait_xcnt 0x2
	v_dual_add_nc_u32 v10, -6, v12 :: v_dual_add_nc_u32 v13, -15, v12
	global_load_b64 v[48:49], v10, s[8:9] scale_offset
	s_wait_xcnt 0x0
	v_add_nc_u32_e32 v10, 4, v40
	s_delay_alu instid0(VALU_DEP_1)
	v_lshl_add_u64 v[36:37], v[10:11], 3, s[10:11]
	v_add_nc_u32_e32 v10, -14, v12
	s_clause 0x1
	global_load_b64 v[50:51], v13, s[8:9] scale_offset
	global_load_b64 v[52:53], v38, s[8:9] scale_offset
	global_load_b128 v[32:35], v[36:37], off
	s_wait_xcnt 0x2
	v_add_nc_u32_e32 v13, -4, v12
	s_clause 0x1
	global_load_b64 v[54:55], v10, s[8:9] scale_offset
	global_load_b64 v[56:57], v13, s[8:9] scale_offset
	s_wait_xcnt 0x1
	v_add_nc_u32_e32 v10, 6, v40
	s_wait_xcnt 0x0
	v_add_nc_u32_e32 v13, -13, v12
	s_delay_alu instid0(VALU_DEP_2)
	v_lshl_add_u64 v[58:59], v[10:11], 3, s[10:11]
	v_add_nc_u32_e32 v10, -12, v12
	s_clause 0x1
	global_load_b64 v[60:61], v13, s[8:9] scale_offset
	global_load_b64 v[62:63], v41, s[8:9] scale_offset
	global_load_b128 v[36:39], v[58:59], off
	s_wait_xcnt 0x2
	v_add_nc_u32_e32 v13, -2, v12
	global_load_b64 v[58:59], v10, s[8:9] scale_offset
	s_wait_xcnt 0x0
	v_add_nc_u32_e32 v10, 8, v40
	s_clause 0x1
	global_load_b64 v[40:41], v13, s[8:9] scale_offset
	global_load_b64 v[64:65], v66, s[8:9] scale_offset
	s_wait_loadcnt 0x10
	v_fmac_f64_e32 v[0:1], v[16:17], v[20:21]
	v_lshl_add_u64 v[16:17], v[10:11], 3, s[10:11]
	v_fmac_f64_e32 v[8:9], v[42:43], v[20:21]
	v_add_nc_u32_e32 v10, -10, v12
	global_load_b64 v[66:67], v67, s[8:9] scale_offset
	v_fmac_f64_e32 v[0:1], v[18:19], v[22:23]
	global_load_b128 v[16:19], v[16:17], off
	s_wait_loadcnt 0x11
	v_fmac_f64_e32 v[8:9], v[44:45], v[22:23]
	s_clause 0x1
	global_load_b64 v[20:21], v12, s[8:9] scale_offset
	global_load_b64 v[22:23], v10, s[8:9] scale_offset
	s_wait_xcnt 0x1
	v_add_nc_u32_e32 v12, 0xa0, v12
	s_wait_loadcnt 0x10
	v_fmac_f64_e32 v[0:1], v[24:25], v[28:29]
	v_fmac_f64_e32 v[8:9], v[46:47], v[28:29]
	s_delay_alu instid0(VALU_DEP_2) | instskip(SKIP_1) | instid1(VALU_DEP_2)
	v_fmac_f64_e32 v[0:1], v[26:27], v[30:31]
	s_wait_loadcnt 0xf
	v_fmac_f64_e32 v[8:9], v[48:49], v[30:31]
	s_wait_loadcnt 0xc
	s_delay_alu instid0(VALU_DEP_2) | instskip(NEXT) | instid1(VALU_DEP_2)
	v_fmac_f64_e32 v[0:1], v[50:51], v[32:33]
	v_fmac_f64_e32 v[8:9], v[52:53], v[32:33]
	s_wait_loadcnt 0xb
	s_delay_alu instid0(VALU_DEP_2) | instskip(SKIP_1) | instid1(VALU_DEP_2)
	v_fmac_f64_e32 v[0:1], v[54:55], v[34:35]
	s_wait_loadcnt 0xa
	v_fmac_f64_e32 v[8:9], v[56:57], v[34:35]
	s_wait_loadcnt 0x7
	s_delay_alu instid0(VALU_DEP_2) | instskip(NEXT) | instid1(VALU_DEP_2)
	v_fmac_f64_e32 v[0:1], v[60:61], v[36:37]
	v_fmac_f64_e32 v[8:9], v[62:63], v[36:37]
	s_wait_loadcnt 0x6
	;; [unrolled: 9-line block ×3, first 2 shown]
	s_delay_alu instid0(VALU_DEP_2) | instskip(NEXT) | instid1(VALU_DEP_2)
	v_fmac_f64_e32 v[0:1], v[22:23], v[18:19]
	v_fmac_f64_e32 v[8:9], v[20:21], v[18:19]
	s_and_not1_b32 exec_lo, exec_lo, s2
	s_cbranch_execnz .LBB117_15
; %bb.16:
	s_or_b32 exec_lo, exec_lo, s2
.LBB117_17:
	s_delay_alu instid0(SALU_CYCLE_1)
	s_or_b32 exec_lo, exec_lo, s3
.LBB117_18:
	v_mbcnt_lo_u32_b32 v14, -1, 0
	s_delay_alu instid0(VALU_DEP_1) | instskip(NEXT) | instid1(VALU_DEP_1)
	v_xor_b32_e32 v10, 4, v14
	v_cmp_gt_i32_e32 vcc_lo, 32, v10
	v_cndmask_b32_e32 v10, v14, v10, vcc_lo
	s_delay_alu instid0(VALU_DEP_1)
	v_lshlrev_b32_e32 v13, 2, v10
	ds_bpermute_b32 v10, v13, v0
	ds_bpermute_b32 v11, v13, v1
	s_wait_dscnt 0x0
	v_add_f64_e32 v[0:1], v[0:1], v[10:11]
	v_xor_b32_e32 v10, 2, v14
	s_delay_alu instid0(VALU_DEP_1)
	v_cmp_gt_i32_e32 vcc_lo, 32, v10
	v_cndmask_b32_e32 v10, v14, v10, vcc_lo
	ds_bpermute_b32 v12, v13, v8
	ds_bpermute_b32 v13, v13, v9
	s_wait_dscnt 0x0
	v_dual_add_f64 v[8:9], v[8:9], v[12:13] :: v_dual_lshlrev_b32 v13, 2, v10
	ds_bpermute_b32 v10, v13, v0
	ds_bpermute_b32 v11, v13, v1
	s_wait_dscnt 0x0
	v_add_f64_e32 v[0:1], v[0:1], v[10:11]
	ds_bpermute_b32 v12, v13, v8
	ds_bpermute_b32 v13, v13, v9
	s_wait_dscnt 0x0
	v_dual_add_f64 v[10:11], v[8:9], v[12:13] :: v_dual_bitop2_b32 v8, 1, v14 bitop3:0x14
	s_delay_alu instid0(VALU_DEP_1) | instskip(SKIP_2) | instid1(VALU_DEP_2)
	v_cmp_gt_i32_e32 vcc_lo, 32, v8
	v_cndmask_b32_e32 v8, v14, v8, vcc_lo
	v_cmp_eq_u32_e32 vcc_lo, 7, v7
	v_lshlrev_b32_e32 v13, 2, v8
	ds_bpermute_b32 v8, v13, v0
	ds_bpermute_b32 v9, v13, v1
	;; [unrolled: 1-line block ×4, first 2 shown]
	s_and_b32 exec_lo, exec_lo, vcc_lo
	s_cbranch_execz .LBB117_23
; %bb.19:
	s_wait_dscnt 0x2
	v_add_f64_e32 v[8:9], v[0:1], v[8:9]
	s_wait_dscnt 0x0
	v_add_f64_e32 v[0:1], v[10:11], v[12:13]
	s_load_b64 s[0:1], s[0:1], 0x38
	s_mov_b32 s2, exec_lo
	v_cmpx_eq_f64_e32 0, v[4:5]
	s_xor_b32 s2, exec_lo, s2
	s_cbranch_execz .LBB117_21
; %bb.20:
	s_delay_alu instid0(VALU_DEP_3) | instskip(NEXT) | instid1(VALU_DEP_3)
	v_mul_f64_e32 v[8:9], v[2:3], v[8:9]
	v_dual_mul_f64 v[10:11], v[2:3], v[0:1] :: v_dual_lshlrev_b32 v0, 1, v6
                                        ; implicit-def: $vgpr6
                                        ; implicit-def: $vgpr2_vgpr3
                                        ; implicit-def: $vgpr4_vgpr5
	s_delay_alu instid0(VALU_DEP_1) | instskip(SKIP_1) | instid1(VALU_DEP_1)
	v_ashrrev_i32_e32 v1, 31, v0
	s_wait_kmcnt 0x0
	v_lshl_add_u64 v[0:1], v[0:1], 3, s[0:1]
	global_store_b128 v[0:1], v[8:11], off
                                        ; implicit-def: $vgpr8_vgpr9
                                        ; implicit-def: $vgpr0_vgpr1
.LBB117_21:
	s_wait_xcnt 0x0
	s_and_not1_saveexec_b32 s2, s2
	s_cbranch_execz .LBB117_23
; %bb.22:
	v_lshlrev_b32_e32 v6, 1, v6
	s_delay_alu instid0(VALU_DEP_1) | instskip(SKIP_1) | instid1(VALU_DEP_1)
	v_ashrrev_i32_e32 v7, 31, v6
	s_wait_kmcnt 0x0
	v_lshl_add_u64 v[14:15], v[6:7], 3, s[0:1]
	v_mul_f64_e32 v[6:7], v[2:3], v[8:9]
	v_mul_f64_e32 v[8:9], v[2:3], v[0:1]
	global_load_b128 v[10:13], v[14:15], off
	s_wait_loadcnt 0x0
	v_fmac_f64_e32 v[6:7], v[4:5], v[10:11]
	v_fmac_f64_e32 v[8:9], v[4:5], v[12:13]
	global_store_b128 v[14:15], v[6:9], off
.LBB117_23:
	s_sendmsg sendmsg(MSG_DEALLOC_VGPRS)
	s_endpgm
	.section	.rodata,"a",@progbits
	.p2align	6, 0x0
	.amdhsa_kernel _ZN9rocsparseL19gebsrmvn_2xn_kernelILj128ELj10ELj8EdEEvi20rocsparse_direction_NS_24const_host_device_scalarIT2_EEPKiS6_PKS3_S8_S4_PS3_21rocsparse_index_base_b
		.amdhsa_group_segment_fixed_size 0
		.amdhsa_private_segment_fixed_size 0
		.amdhsa_kernarg_size 72
		.amdhsa_user_sgpr_count 2
		.amdhsa_user_sgpr_dispatch_ptr 0
		.amdhsa_user_sgpr_queue_ptr 0
		.amdhsa_user_sgpr_kernarg_segment_ptr 1
		.amdhsa_user_sgpr_dispatch_id 0
		.amdhsa_user_sgpr_kernarg_preload_length 0
		.amdhsa_user_sgpr_kernarg_preload_offset 0
		.amdhsa_user_sgpr_private_segment_size 0
		.amdhsa_wavefront_size32 1
		.amdhsa_uses_dynamic_stack 0
		.amdhsa_enable_private_segment 0
		.amdhsa_system_sgpr_workgroup_id_x 1
		.amdhsa_system_sgpr_workgroup_id_y 0
		.amdhsa_system_sgpr_workgroup_id_z 0
		.amdhsa_system_sgpr_workgroup_info 0
		.amdhsa_system_vgpr_workitem_id 0
		.amdhsa_next_free_vgpr 78
		.amdhsa_next_free_sgpr 14
		.amdhsa_named_barrier_count 0
		.amdhsa_reserve_vcc 1
		.amdhsa_float_round_mode_32 0
		.amdhsa_float_round_mode_16_64 0
		.amdhsa_float_denorm_mode_32 3
		.amdhsa_float_denorm_mode_16_64 3
		.amdhsa_fp16_overflow 0
		.amdhsa_memory_ordered 1
		.amdhsa_forward_progress 1
		.amdhsa_inst_pref_size 17
		.amdhsa_round_robin_scheduling 0
		.amdhsa_exception_fp_ieee_invalid_op 0
		.amdhsa_exception_fp_denorm_src 0
		.amdhsa_exception_fp_ieee_div_zero 0
		.amdhsa_exception_fp_ieee_overflow 0
		.amdhsa_exception_fp_ieee_underflow 0
		.amdhsa_exception_fp_ieee_inexact 0
		.amdhsa_exception_int_div_zero 0
	.end_amdhsa_kernel
	.section	.text._ZN9rocsparseL19gebsrmvn_2xn_kernelILj128ELj10ELj8EdEEvi20rocsparse_direction_NS_24const_host_device_scalarIT2_EEPKiS6_PKS3_S8_S4_PS3_21rocsparse_index_base_b,"axG",@progbits,_ZN9rocsparseL19gebsrmvn_2xn_kernelILj128ELj10ELj8EdEEvi20rocsparse_direction_NS_24const_host_device_scalarIT2_EEPKiS6_PKS3_S8_S4_PS3_21rocsparse_index_base_b,comdat
.Lfunc_end117:
	.size	_ZN9rocsparseL19gebsrmvn_2xn_kernelILj128ELj10ELj8EdEEvi20rocsparse_direction_NS_24const_host_device_scalarIT2_EEPKiS6_PKS3_S8_S4_PS3_21rocsparse_index_base_b, .Lfunc_end117-_ZN9rocsparseL19gebsrmvn_2xn_kernelILj128ELj10ELj8EdEEvi20rocsparse_direction_NS_24const_host_device_scalarIT2_EEPKiS6_PKS3_S8_S4_PS3_21rocsparse_index_base_b
                                        ; -- End function
	.set _ZN9rocsparseL19gebsrmvn_2xn_kernelILj128ELj10ELj8EdEEvi20rocsparse_direction_NS_24const_host_device_scalarIT2_EEPKiS6_PKS3_S8_S4_PS3_21rocsparse_index_base_b.num_vgpr, 78
	.set _ZN9rocsparseL19gebsrmvn_2xn_kernelILj128ELj10ELj8EdEEvi20rocsparse_direction_NS_24const_host_device_scalarIT2_EEPKiS6_PKS3_S8_S4_PS3_21rocsparse_index_base_b.num_agpr, 0
	.set _ZN9rocsparseL19gebsrmvn_2xn_kernelILj128ELj10ELj8EdEEvi20rocsparse_direction_NS_24const_host_device_scalarIT2_EEPKiS6_PKS3_S8_S4_PS3_21rocsparse_index_base_b.numbered_sgpr, 14
	.set _ZN9rocsparseL19gebsrmvn_2xn_kernelILj128ELj10ELj8EdEEvi20rocsparse_direction_NS_24const_host_device_scalarIT2_EEPKiS6_PKS3_S8_S4_PS3_21rocsparse_index_base_b.num_named_barrier, 0
	.set _ZN9rocsparseL19gebsrmvn_2xn_kernelILj128ELj10ELj8EdEEvi20rocsparse_direction_NS_24const_host_device_scalarIT2_EEPKiS6_PKS3_S8_S4_PS3_21rocsparse_index_base_b.private_seg_size, 0
	.set _ZN9rocsparseL19gebsrmvn_2xn_kernelILj128ELj10ELj8EdEEvi20rocsparse_direction_NS_24const_host_device_scalarIT2_EEPKiS6_PKS3_S8_S4_PS3_21rocsparse_index_base_b.uses_vcc, 1
	.set _ZN9rocsparseL19gebsrmvn_2xn_kernelILj128ELj10ELj8EdEEvi20rocsparse_direction_NS_24const_host_device_scalarIT2_EEPKiS6_PKS3_S8_S4_PS3_21rocsparse_index_base_b.uses_flat_scratch, 0
	.set _ZN9rocsparseL19gebsrmvn_2xn_kernelILj128ELj10ELj8EdEEvi20rocsparse_direction_NS_24const_host_device_scalarIT2_EEPKiS6_PKS3_S8_S4_PS3_21rocsparse_index_base_b.has_dyn_sized_stack, 0
	.set _ZN9rocsparseL19gebsrmvn_2xn_kernelILj128ELj10ELj8EdEEvi20rocsparse_direction_NS_24const_host_device_scalarIT2_EEPKiS6_PKS3_S8_S4_PS3_21rocsparse_index_base_b.has_recursion, 0
	.set _ZN9rocsparseL19gebsrmvn_2xn_kernelILj128ELj10ELj8EdEEvi20rocsparse_direction_NS_24const_host_device_scalarIT2_EEPKiS6_PKS3_S8_S4_PS3_21rocsparse_index_base_b.has_indirect_call, 0
	.section	.AMDGPU.csdata,"",@progbits
; Kernel info:
; codeLenInByte = 2136
; TotalNumSgprs: 16
; NumVgprs: 78
; ScratchSize: 0
; MemoryBound: 0
; FloatMode: 240
; IeeeMode: 1
; LDSByteSize: 0 bytes/workgroup (compile time only)
; SGPRBlocks: 0
; VGPRBlocks: 4
; NumSGPRsForWavesPerEU: 16
; NumVGPRsForWavesPerEU: 78
; NamedBarCnt: 0
; Occupancy: 12
; WaveLimiterHint : 1
; COMPUTE_PGM_RSRC2:SCRATCH_EN: 0
; COMPUTE_PGM_RSRC2:USER_SGPR: 2
; COMPUTE_PGM_RSRC2:TRAP_HANDLER: 0
; COMPUTE_PGM_RSRC2:TGID_X_EN: 1
; COMPUTE_PGM_RSRC2:TGID_Y_EN: 0
; COMPUTE_PGM_RSRC2:TGID_Z_EN: 0
; COMPUTE_PGM_RSRC2:TIDIG_COMP_CNT: 0
	.section	.text._ZN9rocsparseL19gebsrmvn_2xn_kernelILj128ELj10ELj16EdEEvi20rocsparse_direction_NS_24const_host_device_scalarIT2_EEPKiS6_PKS3_S8_S4_PS3_21rocsparse_index_base_b,"axG",@progbits,_ZN9rocsparseL19gebsrmvn_2xn_kernelILj128ELj10ELj16EdEEvi20rocsparse_direction_NS_24const_host_device_scalarIT2_EEPKiS6_PKS3_S8_S4_PS3_21rocsparse_index_base_b,comdat
	.globl	_ZN9rocsparseL19gebsrmvn_2xn_kernelILj128ELj10ELj16EdEEvi20rocsparse_direction_NS_24const_host_device_scalarIT2_EEPKiS6_PKS3_S8_S4_PS3_21rocsparse_index_base_b ; -- Begin function _ZN9rocsparseL19gebsrmvn_2xn_kernelILj128ELj10ELj16EdEEvi20rocsparse_direction_NS_24const_host_device_scalarIT2_EEPKiS6_PKS3_S8_S4_PS3_21rocsparse_index_base_b
	.p2align	8
	.type	_ZN9rocsparseL19gebsrmvn_2xn_kernelILj128ELj10ELj16EdEEvi20rocsparse_direction_NS_24const_host_device_scalarIT2_EEPKiS6_PKS3_S8_S4_PS3_21rocsparse_index_base_b,@function
_ZN9rocsparseL19gebsrmvn_2xn_kernelILj128ELj10ELj16EdEEvi20rocsparse_direction_NS_24const_host_device_scalarIT2_EEPKiS6_PKS3_S8_S4_PS3_21rocsparse_index_base_b: ; @_ZN9rocsparseL19gebsrmvn_2xn_kernelILj128ELj10ELj16EdEEvi20rocsparse_direction_NS_24const_host_device_scalarIT2_EEPKiS6_PKS3_S8_S4_PS3_21rocsparse_index_base_b
; %bb.0:
	s_clause 0x2
	s_load_b64 s[12:13], s[0:1], 0x40
	s_load_b64 s[4:5], s[0:1], 0x8
	s_load_b64 s[2:3], s[0:1], 0x30
	s_wait_kmcnt 0x0
	s_bitcmp1_b32 s13, 0
	v_mov_b64_e32 v[2:3], s[4:5]
	s_cselect_b32 s6, -1, 0
	s_delay_alu instid0(SALU_CYCLE_1)
	s_and_b32 vcc_lo, exec_lo, s6
	s_xor_b32 s6, s6, -1
	s_cbranch_vccnz .LBB118_2
; %bb.1:
	v_mov_b32_e32 v1, 0
	flat_load_b64 v[2:3], v1, s[4:5]
.LBB118_2:
	v_mov_b64_e32 v[4:5], s[2:3]
	s_and_not1_b32 vcc_lo, exec_lo, s6
	s_cbranch_vccnz .LBB118_4
; %bb.3:
	s_wait_xcnt 0x0
	v_mov_b32_e32 v1, 0
	flat_load_b64 v[4:5], v1, s[2:3]
.LBB118_4:
	s_wait_loadcnt_dscnt 0x0
	v_cmp_neq_f64_e32 vcc_lo, 0, v[2:3]
	s_delay_alu instid0(VALU_DEP_2) | instskip(SKIP_1) | instid1(SALU_CYCLE_1)
	v_cmp_neq_f64_e64 s2, 1.0, v[4:5]
	s_or_b32 s2, vcc_lo, s2
	s_and_saveexec_b32 s3, s2
	s_cbranch_execz .LBB118_23
; %bb.5:
	s_load_b64 s[2:3], s[0:1], 0x0
	s_bfe_u32 s4, ttmp6, 0x4000c
	s_and_b32 s5, ttmp6, 15
	s_add_co_i32 s4, s4, 1
	s_getreg_b32 s6, hwreg(HW_REG_IB_STS2, 6, 4)
	s_mul_i32 s4, ttmp9, s4
	v_lshrrev_b32_e32 v1, 4, v0
	s_add_co_i32 s5, s5, s4
	s_cmp_eq_u32 s6, 0
	s_cselect_b32 s4, ttmp9, s5
	s_delay_alu instid0(VALU_DEP_1) | instid1(SALU_CYCLE_1)
	v_lshl_or_b32 v6, s4, 3, v1
	s_wait_kmcnt 0x0
	s_delay_alu instid0(VALU_DEP_1)
	v_cmp_gt_i32_e32 vcc_lo, s2, v6
	s_and_b32 exec_lo, exec_lo, vcc_lo
	s_cbranch_execz .LBB118_23
; %bb.6:
	s_load_b256 s[4:11], s[0:1], 0x10
	v_ashrrev_i32_e32 v7, 31, v6
	s_cmp_lg_u32 s3, 0
	s_wait_kmcnt 0x0
	s_delay_alu instid0(VALU_DEP_1)
	v_lshl_add_u64 v[8:9], v[6:7], 2, s[4:5]
	v_and_b32_e32 v7, 15, v0
	global_load_b64 v[8:9], v[8:9], off
	s_wait_loadcnt 0x0
	v_subrev_nc_u32_e32 v0, s12, v8
	v_subrev_nc_u32_e32 v14, s12, v9
	s_delay_alu instid0(VALU_DEP_2) | instskip(NEXT) | instid1(VALU_DEP_1)
	v_add_nc_u32_e32 v15, v0, v7
	v_cmp_lt_i32_e64 s2, v15, v14
	s_cbranch_scc0 .LBB118_12
; %bb.7:
	v_mov_b64_e32 v[0:1], 0
	v_mov_b64_e32 v[8:9], 0
	s_and_saveexec_b32 s3, s2
	s_cbranch_execz .LBB118_11
; %bb.8:
	v_mad_u32 v10, v15, 20, 18
	v_mov_b64_e32 v[0:1], 0
	v_mov_b64_e32 v[8:9], 0
	v_dual_mov_b32 v13, 0 :: v_dual_mov_b32 v16, v15
	s_mov_b32 s4, 0
.LBB118_9:                              ; =>This Inner Loop Header: Depth=1
	global_load_b32 v11, v16, s[6:7] scale_offset
	v_subrev_nc_u32_e32 v12, 18, v10
	s_wait_xcnt 0x0
	v_dual_mov_b32 v67, v13 :: v_dual_add_nc_u32 v16, 16, v16
	s_delay_alu instid0(VALU_DEP_2) | instskip(SKIP_1) | instid1(VALU_DEP_3)
	v_lshl_add_u64 v[30:31], v[12:13], 3, s[8:9]
	v_add_nc_u32_e32 v12, -14, v10
	v_cmp_ge_i32_e32 vcc_lo, v16, v14
	s_delay_alu instid0(VALU_DEP_2) | instskip(SKIP_3) | instid1(VALU_DEP_1)
	v_lshl_add_u64 v[38:39], v[12:13], 3, s[8:9]
	s_or_b32 s4, vcc_lo, s4
	s_wait_loadcnt 0x0
	v_subrev_nc_u32_e32 v11, s12, v11
	v_mul_lo_u32 v66, v11, 10
	s_delay_alu instid0(VALU_DEP_1)
	v_dual_mov_b32 v11, v13 :: v_dual_add_nc_u32 v12, 2, v66
	v_lshl_add_u64 v[32:33], v[66:67], 3, s[10:11]
	s_clause 0x1
	global_load_b128 v[18:21], v[30:31], off offset:16
	global_load_b128 v[22:25], v[30:31], off
	global_load_b128 v[26:29], v[32:33], off
	v_lshl_add_u64 v[40:41], v[12:13], 3, s[10:11]
	global_load_b128 v[30:33], v[38:39], off
	global_load_b128 v[34:37], v[40:41], off
	v_add_nc_u32_e32 v12, -12, v10
	s_wait_xcnt 0x1
	s_delay_alu instid0(VALU_DEP_1) | instskip(SKIP_4) | instid1(VALU_DEP_1)
	v_lshl_add_u64 v[38:39], v[12:13], 3, s[8:9]
	v_add_nc_u32_e32 v12, -10, v10
	global_load_b128 v[38:41], v[38:39], off
	v_lshl_add_u64 v[50:51], v[12:13], 3, s[8:9]
	v_add_nc_u32_e32 v12, 4, v66
	v_lshl_add_u64 v[52:53], v[12:13], 3, s[10:11]
	global_load_b128 v[42:45], v[50:51], off
	global_load_b128 v[46:49], v[52:53], off
	v_add_nc_u32_e32 v12, -8, v10
	s_wait_xcnt 0x1
	s_delay_alu instid0(VALU_DEP_1) | instskip(SKIP_4) | instid1(VALU_DEP_1)
	v_lshl_add_u64 v[50:51], v[12:13], 3, s[8:9]
	v_add_nc_u32_e32 v12, -6, v10
	global_load_b128 v[50:53], v[50:51], off
	v_lshl_add_u64 v[62:63], v[12:13], 3, s[8:9]
	v_add_nc_u32_e32 v12, 6, v66
	;; [unrolled: 11-line block ×3, first 2 shown]
	v_lshl_add_u64 v[76:77], v[12:13], 3, s[10:11]
	global_load_b128 v[66:69], v[74:75], off
	global_load_b128 v[70:73], v[76:77], off
	s_wait_xcnt 0x1
	v_lshl_add_u64 v[74:75], v[10:11], 3, s[8:9]
	v_add_nc_u32_e32 v10, 0x140, v10
	global_load_b128 v[74:77], v[74:75], off
	s_wait_loadcnt 0xc
	v_fmac_f64_e32 v[0:1], v[22:23], v[26:27]
	v_fmac_f64_e32 v[8:9], v[24:25], v[26:27]
	s_delay_alu instid0(VALU_DEP_2) | instskip(NEXT) | instid1(VALU_DEP_2)
	v_fmac_f64_e32 v[0:1], v[18:19], v[28:29]
	v_fmac_f64_e32 v[8:9], v[20:21], v[28:29]
	s_wait_loadcnt 0xa
	s_delay_alu instid0(VALU_DEP_2) | instskip(NEXT) | instid1(VALU_DEP_2)
	v_fmac_f64_e32 v[0:1], v[30:31], v[34:35]
	v_fmac_f64_e32 v[8:9], v[32:33], v[34:35]
	s_wait_loadcnt 0x9
	;; [unrolled: 4-line block ×8, first 2 shown]
	s_delay_alu instid0(VALU_DEP_2) | instskip(NEXT) | instid1(VALU_DEP_2)
	v_fmac_f64_e32 v[0:1], v[74:75], v[72:73]
	v_fmac_f64_e32 v[8:9], v[76:77], v[72:73]
	s_and_not1_b32 exec_lo, exec_lo, s4
	s_cbranch_execnz .LBB118_9
; %bb.10:
	s_or_b32 exec_lo, exec_lo, s4
.LBB118_11:
	s_delay_alu instid0(SALU_CYCLE_1)
	s_or_b32 exec_lo, exec_lo, s3
	s_cbranch_execz .LBB118_13
	s_branch .LBB118_18
.LBB118_12:
                                        ; implicit-def: $vgpr0_vgpr1
                                        ; implicit-def: $vgpr8_vgpr9
.LBB118_13:
	v_mov_b64_e32 v[0:1], 0
	v_mov_b64_e32 v[8:9], 0
	s_and_saveexec_b32 s3, s2
	s_cbranch_execz .LBB118_17
; %bb.14:
	v_mad_u32 v12, v15, 20, 19
	v_mov_b64_e32 v[0:1], 0
	v_mov_b64_e32 v[8:9], 0
	v_mov_b32_e32 v11, 0
	s_mov_b32 s2, 0
.LBB118_15:                             ; =>This Inner Loop Header: Depth=1
	global_load_b32 v13, v15, s[6:7] scale_offset
	v_subrev_nc_u32_e32 v10, 19, v12
	v_dual_mov_b32 v41, v11 :: v_dual_add_nc_u32 v20, -9, v12
	v_dual_add_nc_u32 v26, -8, v12 :: v_dual_add_nc_u32 v38, -5, v12
	s_delay_alu instid0(VALU_DEP_3)
	v_lshl_add_u64 v[32:33], v[10:11], 3, s[8:9]
	v_add_nc_u32_e32 v67, -1, v12
	s_clause 0x1
	global_load_b64 v[42:43], v20, s[8:9] scale_offset
	global_load_b128 v[16:19], v[32:33], off
	s_wait_xcnt 0x2
	v_dual_add_nc_u32 v15, 16, v15 :: v_dual_add_nc_u32 v66, -11, v12
	s_delay_alu instid0(VALU_DEP_1) | instskip(SKIP_4) | instid1(VALU_DEP_2)
	v_cmp_ge_i32_e32 vcc_lo, v15, v14
	s_or_b32 s2, vcc_lo, s2
	s_wait_loadcnt 0x2
	v_subrev_nc_u32_e32 v10, s12, v13
	v_add_nc_u32_e32 v13, -7, v12
	v_mul_lo_u32 v40, v10, 10
	s_delay_alu instid0(VALU_DEP_1) | instskip(SKIP_4) | instid1(VALU_DEP_2)
	v_lshl_add_u64 v[24:25], v[40:41], 3, s[10:11]
	global_load_b128 v[20:23], v[24:25], off
	global_load_b64 v[44:45], v26, s[8:9] scale_offset
	v_add_nc_u32_e32 v10, 2, v40
	v_add_nc_u32_e32 v41, -3, v12
	v_lshl_add_u64 v[34:35], v[10:11], 3, s[10:11]
	s_clause 0x1
	global_load_b64 v[46:47], v13, s[8:9] scale_offset
	global_load_b128 v[24:27], v[32:33], off offset:16
	global_load_b128 v[28:31], v[34:35], off
	s_wait_xcnt 0x2
	v_dual_add_nc_u32 v10, -6, v12 :: v_dual_add_nc_u32 v13, -15, v12
	global_load_b64 v[48:49], v10, s[8:9] scale_offset
	s_wait_xcnt 0x0
	v_add_nc_u32_e32 v10, 4, v40
	s_delay_alu instid0(VALU_DEP_1)
	v_lshl_add_u64 v[36:37], v[10:11], 3, s[10:11]
	v_add_nc_u32_e32 v10, -14, v12
	s_clause 0x1
	global_load_b64 v[50:51], v13, s[8:9] scale_offset
	global_load_b64 v[52:53], v38, s[8:9] scale_offset
	global_load_b128 v[32:35], v[36:37], off
	s_wait_xcnt 0x2
	v_add_nc_u32_e32 v13, -4, v12
	s_clause 0x1
	global_load_b64 v[54:55], v10, s[8:9] scale_offset
	global_load_b64 v[56:57], v13, s[8:9] scale_offset
	s_wait_xcnt 0x1
	v_add_nc_u32_e32 v10, 6, v40
	s_wait_xcnt 0x0
	v_add_nc_u32_e32 v13, -13, v12
	s_delay_alu instid0(VALU_DEP_2)
	v_lshl_add_u64 v[58:59], v[10:11], 3, s[10:11]
	v_add_nc_u32_e32 v10, -12, v12
	s_clause 0x1
	global_load_b64 v[60:61], v13, s[8:9] scale_offset
	global_load_b64 v[62:63], v41, s[8:9] scale_offset
	global_load_b128 v[36:39], v[58:59], off
	s_wait_xcnt 0x2
	v_add_nc_u32_e32 v13, -2, v12
	global_load_b64 v[58:59], v10, s[8:9] scale_offset
	s_wait_xcnt 0x0
	v_add_nc_u32_e32 v10, 8, v40
	s_clause 0x1
	global_load_b64 v[40:41], v13, s[8:9] scale_offset
	global_load_b64 v[64:65], v66, s[8:9] scale_offset
	s_wait_loadcnt 0x10
	v_fmac_f64_e32 v[0:1], v[16:17], v[20:21]
	v_lshl_add_u64 v[16:17], v[10:11], 3, s[10:11]
	v_fmac_f64_e32 v[8:9], v[42:43], v[20:21]
	v_add_nc_u32_e32 v10, -10, v12
	global_load_b64 v[66:67], v67, s[8:9] scale_offset
	v_fmac_f64_e32 v[0:1], v[18:19], v[22:23]
	global_load_b128 v[16:19], v[16:17], off
	s_wait_loadcnt 0x11
	v_fmac_f64_e32 v[8:9], v[44:45], v[22:23]
	s_clause 0x1
	global_load_b64 v[20:21], v12, s[8:9] scale_offset
	global_load_b64 v[22:23], v10, s[8:9] scale_offset
	s_wait_xcnt 0x1
	v_add_nc_u32_e32 v12, 0x140, v12
	s_wait_loadcnt 0x10
	v_fmac_f64_e32 v[0:1], v[24:25], v[28:29]
	v_fmac_f64_e32 v[8:9], v[46:47], v[28:29]
	s_delay_alu instid0(VALU_DEP_2) | instskip(SKIP_1) | instid1(VALU_DEP_2)
	v_fmac_f64_e32 v[0:1], v[26:27], v[30:31]
	s_wait_loadcnt 0xf
	v_fmac_f64_e32 v[8:9], v[48:49], v[30:31]
	s_wait_loadcnt 0xc
	s_delay_alu instid0(VALU_DEP_2) | instskip(NEXT) | instid1(VALU_DEP_2)
	v_fmac_f64_e32 v[0:1], v[50:51], v[32:33]
	v_fmac_f64_e32 v[8:9], v[52:53], v[32:33]
	s_wait_loadcnt 0xb
	s_delay_alu instid0(VALU_DEP_2) | instskip(SKIP_1) | instid1(VALU_DEP_2)
	v_fmac_f64_e32 v[0:1], v[54:55], v[34:35]
	s_wait_loadcnt 0xa
	v_fmac_f64_e32 v[8:9], v[56:57], v[34:35]
	s_wait_loadcnt 0x7
	s_delay_alu instid0(VALU_DEP_2) | instskip(NEXT) | instid1(VALU_DEP_2)
	v_fmac_f64_e32 v[0:1], v[60:61], v[36:37]
	v_fmac_f64_e32 v[8:9], v[62:63], v[36:37]
	s_wait_loadcnt 0x6
	;; [unrolled: 9-line block ×3, first 2 shown]
	s_delay_alu instid0(VALU_DEP_2) | instskip(NEXT) | instid1(VALU_DEP_2)
	v_fmac_f64_e32 v[0:1], v[22:23], v[18:19]
	v_fmac_f64_e32 v[8:9], v[20:21], v[18:19]
	s_and_not1_b32 exec_lo, exec_lo, s2
	s_cbranch_execnz .LBB118_15
; %bb.16:
	s_or_b32 exec_lo, exec_lo, s2
.LBB118_17:
	s_delay_alu instid0(SALU_CYCLE_1)
	s_or_b32 exec_lo, exec_lo, s3
.LBB118_18:
	v_mbcnt_lo_u32_b32 v14, -1, 0
	s_delay_alu instid0(VALU_DEP_1) | instskip(NEXT) | instid1(VALU_DEP_1)
	v_xor_b32_e32 v10, 8, v14
	v_cmp_gt_i32_e32 vcc_lo, 32, v10
	v_cndmask_b32_e32 v10, v14, v10, vcc_lo
	s_delay_alu instid0(VALU_DEP_1)
	v_lshlrev_b32_e32 v13, 2, v10
	ds_bpermute_b32 v10, v13, v0
	ds_bpermute_b32 v11, v13, v1
	s_wait_dscnt 0x0
	v_add_f64_e32 v[0:1], v[0:1], v[10:11]
	v_xor_b32_e32 v10, 4, v14
	s_delay_alu instid0(VALU_DEP_1)
	v_cmp_gt_i32_e32 vcc_lo, 32, v10
	v_cndmask_b32_e32 v10, v14, v10, vcc_lo
	ds_bpermute_b32 v12, v13, v8
	ds_bpermute_b32 v13, v13, v9
	s_wait_dscnt 0x0
	v_dual_add_f64 v[8:9], v[8:9], v[12:13] :: v_dual_lshlrev_b32 v13, 2, v10
	ds_bpermute_b32 v10, v13, v0
	ds_bpermute_b32 v11, v13, v1
	s_wait_dscnt 0x0
	v_add_f64_e32 v[0:1], v[0:1], v[10:11]
	v_xor_b32_e32 v10, 2, v14
	s_delay_alu instid0(VALU_DEP_1)
	v_cmp_gt_i32_e32 vcc_lo, 32, v10
	v_cndmask_b32_e32 v10, v14, v10, vcc_lo
	ds_bpermute_b32 v12, v13, v8
	ds_bpermute_b32 v13, v13, v9
	s_wait_dscnt 0x0
	v_dual_add_f64 v[8:9], v[8:9], v[12:13] :: v_dual_lshlrev_b32 v13, 2, v10
	ds_bpermute_b32 v10, v13, v0
	ds_bpermute_b32 v11, v13, v1
	s_wait_dscnt 0x0
	v_add_f64_e32 v[0:1], v[0:1], v[10:11]
	ds_bpermute_b32 v12, v13, v8
	ds_bpermute_b32 v13, v13, v9
	s_wait_dscnt 0x0
	v_dual_add_f64 v[10:11], v[8:9], v[12:13] :: v_dual_bitop2_b32 v8, 1, v14 bitop3:0x14
	s_delay_alu instid0(VALU_DEP_1) | instskip(SKIP_2) | instid1(VALU_DEP_2)
	v_cmp_gt_i32_e32 vcc_lo, 32, v8
	v_cndmask_b32_e32 v8, v14, v8, vcc_lo
	v_cmp_eq_u32_e32 vcc_lo, 15, v7
	v_lshlrev_b32_e32 v13, 2, v8
	ds_bpermute_b32 v8, v13, v0
	ds_bpermute_b32 v9, v13, v1
	;; [unrolled: 1-line block ×4, first 2 shown]
	s_and_b32 exec_lo, exec_lo, vcc_lo
	s_cbranch_execz .LBB118_23
; %bb.19:
	s_wait_dscnt 0x2
	v_add_f64_e32 v[8:9], v[0:1], v[8:9]
	s_wait_dscnt 0x0
	v_add_f64_e32 v[0:1], v[10:11], v[12:13]
	s_load_b64 s[0:1], s[0:1], 0x38
	s_mov_b32 s2, exec_lo
	v_cmpx_eq_f64_e32 0, v[4:5]
	s_xor_b32 s2, exec_lo, s2
	s_cbranch_execz .LBB118_21
; %bb.20:
	s_delay_alu instid0(VALU_DEP_3) | instskip(NEXT) | instid1(VALU_DEP_3)
	v_mul_f64_e32 v[8:9], v[2:3], v[8:9]
	v_dual_mul_f64 v[10:11], v[2:3], v[0:1] :: v_dual_lshlrev_b32 v0, 1, v6
                                        ; implicit-def: $vgpr6
                                        ; implicit-def: $vgpr2_vgpr3
                                        ; implicit-def: $vgpr4_vgpr5
	s_delay_alu instid0(VALU_DEP_1) | instskip(SKIP_1) | instid1(VALU_DEP_1)
	v_ashrrev_i32_e32 v1, 31, v0
	s_wait_kmcnt 0x0
	v_lshl_add_u64 v[0:1], v[0:1], 3, s[0:1]
	global_store_b128 v[0:1], v[8:11], off
                                        ; implicit-def: $vgpr8_vgpr9
                                        ; implicit-def: $vgpr0_vgpr1
.LBB118_21:
	s_wait_xcnt 0x0
	s_and_not1_saveexec_b32 s2, s2
	s_cbranch_execz .LBB118_23
; %bb.22:
	v_lshlrev_b32_e32 v6, 1, v6
	s_delay_alu instid0(VALU_DEP_1) | instskip(SKIP_1) | instid1(VALU_DEP_1)
	v_ashrrev_i32_e32 v7, 31, v6
	s_wait_kmcnt 0x0
	v_lshl_add_u64 v[14:15], v[6:7], 3, s[0:1]
	v_mul_f64_e32 v[6:7], v[2:3], v[8:9]
	v_mul_f64_e32 v[8:9], v[2:3], v[0:1]
	global_load_b128 v[10:13], v[14:15], off
	s_wait_loadcnt 0x0
	v_fmac_f64_e32 v[6:7], v[4:5], v[10:11]
	v_fmac_f64_e32 v[8:9], v[4:5], v[12:13]
	global_store_b128 v[14:15], v[6:9], off
.LBB118_23:
	s_sendmsg sendmsg(MSG_DEALLOC_VGPRS)
	s_endpgm
	.section	.rodata,"a",@progbits
	.p2align	6, 0x0
	.amdhsa_kernel _ZN9rocsparseL19gebsrmvn_2xn_kernelILj128ELj10ELj16EdEEvi20rocsparse_direction_NS_24const_host_device_scalarIT2_EEPKiS6_PKS3_S8_S4_PS3_21rocsparse_index_base_b
		.amdhsa_group_segment_fixed_size 0
		.amdhsa_private_segment_fixed_size 0
		.amdhsa_kernarg_size 72
		.amdhsa_user_sgpr_count 2
		.amdhsa_user_sgpr_dispatch_ptr 0
		.amdhsa_user_sgpr_queue_ptr 0
		.amdhsa_user_sgpr_kernarg_segment_ptr 1
		.amdhsa_user_sgpr_dispatch_id 0
		.amdhsa_user_sgpr_kernarg_preload_length 0
		.amdhsa_user_sgpr_kernarg_preload_offset 0
		.amdhsa_user_sgpr_private_segment_size 0
		.amdhsa_wavefront_size32 1
		.amdhsa_uses_dynamic_stack 0
		.amdhsa_enable_private_segment 0
		.amdhsa_system_sgpr_workgroup_id_x 1
		.amdhsa_system_sgpr_workgroup_id_y 0
		.amdhsa_system_sgpr_workgroup_id_z 0
		.amdhsa_system_sgpr_workgroup_info 0
		.amdhsa_system_vgpr_workitem_id 0
		.amdhsa_next_free_vgpr 78
		.amdhsa_next_free_sgpr 14
		.amdhsa_named_barrier_count 0
		.amdhsa_reserve_vcc 1
		.amdhsa_float_round_mode_32 0
		.amdhsa_float_round_mode_16_64 0
		.amdhsa_float_denorm_mode_32 3
		.amdhsa_float_denorm_mode_16_64 3
		.amdhsa_fp16_overflow 0
		.amdhsa_memory_ordered 1
		.amdhsa_forward_progress 1
		.amdhsa_inst_pref_size 18
		.amdhsa_round_robin_scheduling 0
		.amdhsa_exception_fp_ieee_invalid_op 0
		.amdhsa_exception_fp_denorm_src 0
		.amdhsa_exception_fp_ieee_div_zero 0
		.amdhsa_exception_fp_ieee_overflow 0
		.amdhsa_exception_fp_ieee_underflow 0
		.amdhsa_exception_fp_ieee_inexact 0
		.amdhsa_exception_int_div_zero 0
	.end_amdhsa_kernel
	.section	.text._ZN9rocsparseL19gebsrmvn_2xn_kernelILj128ELj10ELj16EdEEvi20rocsparse_direction_NS_24const_host_device_scalarIT2_EEPKiS6_PKS3_S8_S4_PS3_21rocsparse_index_base_b,"axG",@progbits,_ZN9rocsparseL19gebsrmvn_2xn_kernelILj128ELj10ELj16EdEEvi20rocsparse_direction_NS_24const_host_device_scalarIT2_EEPKiS6_PKS3_S8_S4_PS3_21rocsparse_index_base_b,comdat
.Lfunc_end118:
	.size	_ZN9rocsparseL19gebsrmvn_2xn_kernelILj128ELj10ELj16EdEEvi20rocsparse_direction_NS_24const_host_device_scalarIT2_EEPKiS6_PKS3_S8_S4_PS3_21rocsparse_index_base_b, .Lfunc_end118-_ZN9rocsparseL19gebsrmvn_2xn_kernelILj128ELj10ELj16EdEEvi20rocsparse_direction_NS_24const_host_device_scalarIT2_EEPKiS6_PKS3_S8_S4_PS3_21rocsparse_index_base_b
                                        ; -- End function
	.set _ZN9rocsparseL19gebsrmvn_2xn_kernelILj128ELj10ELj16EdEEvi20rocsparse_direction_NS_24const_host_device_scalarIT2_EEPKiS6_PKS3_S8_S4_PS3_21rocsparse_index_base_b.num_vgpr, 78
	.set _ZN9rocsparseL19gebsrmvn_2xn_kernelILj128ELj10ELj16EdEEvi20rocsparse_direction_NS_24const_host_device_scalarIT2_EEPKiS6_PKS3_S8_S4_PS3_21rocsparse_index_base_b.num_agpr, 0
	.set _ZN9rocsparseL19gebsrmvn_2xn_kernelILj128ELj10ELj16EdEEvi20rocsparse_direction_NS_24const_host_device_scalarIT2_EEPKiS6_PKS3_S8_S4_PS3_21rocsparse_index_base_b.numbered_sgpr, 14
	.set _ZN9rocsparseL19gebsrmvn_2xn_kernelILj128ELj10ELj16EdEEvi20rocsparse_direction_NS_24const_host_device_scalarIT2_EEPKiS6_PKS3_S8_S4_PS3_21rocsparse_index_base_b.num_named_barrier, 0
	.set _ZN9rocsparseL19gebsrmvn_2xn_kernelILj128ELj10ELj16EdEEvi20rocsparse_direction_NS_24const_host_device_scalarIT2_EEPKiS6_PKS3_S8_S4_PS3_21rocsparse_index_base_b.private_seg_size, 0
	.set _ZN9rocsparseL19gebsrmvn_2xn_kernelILj128ELj10ELj16EdEEvi20rocsparse_direction_NS_24const_host_device_scalarIT2_EEPKiS6_PKS3_S8_S4_PS3_21rocsparse_index_base_b.uses_vcc, 1
	.set _ZN9rocsparseL19gebsrmvn_2xn_kernelILj128ELj10ELj16EdEEvi20rocsparse_direction_NS_24const_host_device_scalarIT2_EEPKiS6_PKS3_S8_S4_PS3_21rocsparse_index_base_b.uses_flat_scratch, 0
	.set _ZN9rocsparseL19gebsrmvn_2xn_kernelILj128ELj10ELj16EdEEvi20rocsparse_direction_NS_24const_host_device_scalarIT2_EEPKiS6_PKS3_S8_S4_PS3_21rocsparse_index_base_b.has_dyn_sized_stack, 0
	.set _ZN9rocsparseL19gebsrmvn_2xn_kernelILj128ELj10ELj16EdEEvi20rocsparse_direction_NS_24const_host_device_scalarIT2_EEPKiS6_PKS3_S8_S4_PS3_21rocsparse_index_base_b.has_recursion, 0
	.set _ZN9rocsparseL19gebsrmvn_2xn_kernelILj128ELj10ELj16EdEEvi20rocsparse_direction_NS_24const_host_device_scalarIT2_EEPKiS6_PKS3_S8_S4_PS3_21rocsparse_index_base_b.has_indirect_call, 0
	.section	.AMDGPU.csdata,"",@progbits
; Kernel info:
; codeLenInByte = 2208
; TotalNumSgprs: 16
; NumVgprs: 78
; ScratchSize: 0
; MemoryBound: 0
; FloatMode: 240
; IeeeMode: 1
; LDSByteSize: 0 bytes/workgroup (compile time only)
; SGPRBlocks: 0
; VGPRBlocks: 4
; NumSGPRsForWavesPerEU: 16
; NumVGPRsForWavesPerEU: 78
; NamedBarCnt: 0
; Occupancy: 12
; WaveLimiterHint : 1
; COMPUTE_PGM_RSRC2:SCRATCH_EN: 0
; COMPUTE_PGM_RSRC2:USER_SGPR: 2
; COMPUTE_PGM_RSRC2:TRAP_HANDLER: 0
; COMPUTE_PGM_RSRC2:TGID_X_EN: 1
; COMPUTE_PGM_RSRC2:TGID_Y_EN: 0
; COMPUTE_PGM_RSRC2:TGID_Z_EN: 0
; COMPUTE_PGM_RSRC2:TIDIG_COMP_CNT: 0
	.section	.text._ZN9rocsparseL19gebsrmvn_2xn_kernelILj128ELj10ELj32EdEEvi20rocsparse_direction_NS_24const_host_device_scalarIT2_EEPKiS6_PKS3_S8_S4_PS3_21rocsparse_index_base_b,"axG",@progbits,_ZN9rocsparseL19gebsrmvn_2xn_kernelILj128ELj10ELj32EdEEvi20rocsparse_direction_NS_24const_host_device_scalarIT2_EEPKiS6_PKS3_S8_S4_PS3_21rocsparse_index_base_b,comdat
	.globl	_ZN9rocsparseL19gebsrmvn_2xn_kernelILj128ELj10ELj32EdEEvi20rocsparse_direction_NS_24const_host_device_scalarIT2_EEPKiS6_PKS3_S8_S4_PS3_21rocsparse_index_base_b ; -- Begin function _ZN9rocsparseL19gebsrmvn_2xn_kernelILj128ELj10ELj32EdEEvi20rocsparse_direction_NS_24const_host_device_scalarIT2_EEPKiS6_PKS3_S8_S4_PS3_21rocsparse_index_base_b
	.p2align	8
	.type	_ZN9rocsparseL19gebsrmvn_2xn_kernelILj128ELj10ELj32EdEEvi20rocsparse_direction_NS_24const_host_device_scalarIT2_EEPKiS6_PKS3_S8_S4_PS3_21rocsparse_index_base_b,@function
_ZN9rocsparseL19gebsrmvn_2xn_kernelILj128ELj10ELj32EdEEvi20rocsparse_direction_NS_24const_host_device_scalarIT2_EEPKiS6_PKS3_S8_S4_PS3_21rocsparse_index_base_b: ; @_ZN9rocsparseL19gebsrmvn_2xn_kernelILj128ELj10ELj32EdEEvi20rocsparse_direction_NS_24const_host_device_scalarIT2_EEPKiS6_PKS3_S8_S4_PS3_21rocsparse_index_base_b
; %bb.0:
	s_clause 0x2
	s_load_b64 s[12:13], s[0:1], 0x40
	s_load_b64 s[4:5], s[0:1], 0x8
	;; [unrolled: 1-line block ×3, first 2 shown]
	s_wait_kmcnt 0x0
	s_bitcmp1_b32 s13, 0
	v_mov_b64_e32 v[2:3], s[4:5]
	s_cselect_b32 s6, -1, 0
	s_delay_alu instid0(SALU_CYCLE_1)
	s_and_b32 vcc_lo, exec_lo, s6
	s_xor_b32 s6, s6, -1
	s_cbranch_vccnz .LBB119_2
; %bb.1:
	v_mov_b32_e32 v1, 0
	flat_load_b64 v[2:3], v1, s[4:5]
.LBB119_2:
	v_mov_b64_e32 v[4:5], s[2:3]
	s_and_not1_b32 vcc_lo, exec_lo, s6
	s_cbranch_vccnz .LBB119_4
; %bb.3:
	s_wait_xcnt 0x0
	v_mov_b32_e32 v1, 0
	flat_load_b64 v[4:5], v1, s[2:3]
.LBB119_4:
	s_wait_loadcnt_dscnt 0x0
	v_cmp_neq_f64_e32 vcc_lo, 0, v[2:3]
	s_delay_alu instid0(VALU_DEP_2) | instskip(SKIP_1) | instid1(SALU_CYCLE_1)
	v_cmp_neq_f64_e64 s2, 1.0, v[4:5]
	s_or_b32 s2, vcc_lo, s2
	s_and_saveexec_b32 s3, s2
	s_cbranch_execz .LBB119_23
; %bb.5:
	s_load_b64 s[2:3], s[0:1], 0x0
	s_bfe_u32 s4, ttmp6, 0x4000c
	s_and_b32 s5, ttmp6, 15
	s_add_co_i32 s4, s4, 1
	s_getreg_b32 s6, hwreg(HW_REG_IB_STS2, 6, 4)
	s_mul_i32 s4, ttmp9, s4
	v_lshrrev_b32_e32 v1, 5, v0
	s_add_co_i32 s5, s5, s4
	s_cmp_eq_u32 s6, 0
	s_cselect_b32 s4, ttmp9, s5
	s_delay_alu instid0(VALU_DEP_1) | instid1(SALU_CYCLE_1)
	v_lshl_or_b32 v6, s4, 2, v1
	s_wait_kmcnt 0x0
	s_delay_alu instid0(VALU_DEP_1)
	v_cmp_gt_i32_e32 vcc_lo, s2, v6
	s_and_b32 exec_lo, exec_lo, vcc_lo
	s_cbranch_execz .LBB119_23
; %bb.6:
	s_load_b256 s[4:11], s[0:1], 0x10
	v_ashrrev_i32_e32 v7, 31, v6
	s_cmp_lg_u32 s3, 0
	s_wait_kmcnt 0x0
	s_delay_alu instid0(VALU_DEP_1)
	v_lshl_add_u64 v[8:9], v[6:7], 2, s[4:5]
	v_and_b32_e32 v7, 31, v0
	global_load_b64 v[8:9], v[8:9], off
	s_wait_loadcnt 0x0
	v_subrev_nc_u32_e32 v0, s12, v8
	v_subrev_nc_u32_e32 v14, s12, v9
	s_delay_alu instid0(VALU_DEP_2) | instskip(NEXT) | instid1(VALU_DEP_1)
	v_add_nc_u32_e32 v15, v0, v7
	v_cmp_lt_i32_e64 s2, v15, v14
	s_cbranch_scc0 .LBB119_12
; %bb.7:
	v_mov_b64_e32 v[0:1], 0
	v_mov_b64_e32 v[8:9], 0
	s_and_saveexec_b32 s3, s2
	s_cbranch_execz .LBB119_11
; %bb.8:
	v_mad_u32 v10, v15, 20, 18
	v_mov_b64_e32 v[0:1], 0
	v_mov_b64_e32 v[8:9], 0
	v_dual_mov_b32 v13, 0 :: v_dual_mov_b32 v16, v15
	s_mov_b32 s4, 0
.LBB119_9:                              ; =>This Inner Loop Header: Depth=1
	global_load_b32 v11, v16, s[6:7] scale_offset
	v_subrev_nc_u32_e32 v12, 18, v10
	s_wait_xcnt 0x0
	v_dual_mov_b32 v67, v13 :: v_dual_add_nc_u32 v16, 32, v16
	s_delay_alu instid0(VALU_DEP_2) | instskip(SKIP_1) | instid1(VALU_DEP_3)
	v_lshl_add_u64 v[30:31], v[12:13], 3, s[8:9]
	v_add_nc_u32_e32 v12, -14, v10
	v_cmp_ge_i32_e32 vcc_lo, v16, v14
	s_delay_alu instid0(VALU_DEP_2) | instskip(SKIP_3) | instid1(VALU_DEP_1)
	v_lshl_add_u64 v[38:39], v[12:13], 3, s[8:9]
	s_or_b32 s4, vcc_lo, s4
	s_wait_loadcnt 0x0
	v_subrev_nc_u32_e32 v11, s12, v11
	v_mul_lo_u32 v66, v11, 10
	s_delay_alu instid0(VALU_DEP_1)
	v_dual_mov_b32 v11, v13 :: v_dual_add_nc_u32 v12, 2, v66
	v_lshl_add_u64 v[32:33], v[66:67], 3, s[10:11]
	s_clause 0x1
	global_load_b128 v[18:21], v[30:31], off offset:16
	global_load_b128 v[22:25], v[30:31], off
	global_load_b128 v[26:29], v[32:33], off
	v_lshl_add_u64 v[40:41], v[12:13], 3, s[10:11]
	global_load_b128 v[30:33], v[38:39], off
	global_load_b128 v[34:37], v[40:41], off
	v_add_nc_u32_e32 v12, -12, v10
	s_wait_xcnt 0x1
	s_delay_alu instid0(VALU_DEP_1) | instskip(SKIP_4) | instid1(VALU_DEP_1)
	v_lshl_add_u64 v[38:39], v[12:13], 3, s[8:9]
	v_add_nc_u32_e32 v12, -10, v10
	global_load_b128 v[38:41], v[38:39], off
	v_lshl_add_u64 v[50:51], v[12:13], 3, s[8:9]
	v_add_nc_u32_e32 v12, 4, v66
	v_lshl_add_u64 v[52:53], v[12:13], 3, s[10:11]
	global_load_b128 v[42:45], v[50:51], off
	global_load_b128 v[46:49], v[52:53], off
	v_add_nc_u32_e32 v12, -8, v10
	s_wait_xcnt 0x1
	s_delay_alu instid0(VALU_DEP_1) | instskip(SKIP_4) | instid1(VALU_DEP_1)
	v_lshl_add_u64 v[50:51], v[12:13], 3, s[8:9]
	v_add_nc_u32_e32 v12, -6, v10
	global_load_b128 v[50:53], v[50:51], off
	v_lshl_add_u64 v[62:63], v[12:13], 3, s[8:9]
	v_add_nc_u32_e32 v12, 6, v66
	;; [unrolled: 11-line block ×3, first 2 shown]
	v_lshl_add_u64 v[76:77], v[12:13], 3, s[10:11]
	global_load_b128 v[66:69], v[74:75], off
	global_load_b128 v[70:73], v[76:77], off
	s_wait_xcnt 0x1
	v_lshl_add_u64 v[74:75], v[10:11], 3, s[8:9]
	v_add_nc_u32_e32 v10, 0x280, v10
	global_load_b128 v[74:77], v[74:75], off
	s_wait_loadcnt 0xc
	v_fmac_f64_e32 v[0:1], v[22:23], v[26:27]
	v_fmac_f64_e32 v[8:9], v[24:25], v[26:27]
	s_delay_alu instid0(VALU_DEP_2) | instskip(NEXT) | instid1(VALU_DEP_2)
	v_fmac_f64_e32 v[0:1], v[18:19], v[28:29]
	v_fmac_f64_e32 v[8:9], v[20:21], v[28:29]
	s_wait_loadcnt 0xa
	s_delay_alu instid0(VALU_DEP_2) | instskip(NEXT) | instid1(VALU_DEP_2)
	v_fmac_f64_e32 v[0:1], v[30:31], v[34:35]
	v_fmac_f64_e32 v[8:9], v[32:33], v[34:35]
	s_wait_loadcnt 0x9
	;; [unrolled: 4-line block ×8, first 2 shown]
	s_delay_alu instid0(VALU_DEP_2) | instskip(NEXT) | instid1(VALU_DEP_2)
	v_fmac_f64_e32 v[0:1], v[74:75], v[72:73]
	v_fmac_f64_e32 v[8:9], v[76:77], v[72:73]
	s_and_not1_b32 exec_lo, exec_lo, s4
	s_cbranch_execnz .LBB119_9
; %bb.10:
	s_or_b32 exec_lo, exec_lo, s4
.LBB119_11:
	s_delay_alu instid0(SALU_CYCLE_1)
	s_or_b32 exec_lo, exec_lo, s3
	s_cbranch_execz .LBB119_13
	s_branch .LBB119_18
.LBB119_12:
                                        ; implicit-def: $vgpr0_vgpr1
                                        ; implicit-def: $vgpr8_vgpr9
.LBB119_13:
	v_mov_b64_e32 v[0:1], 0
	v_mov_b64_e32 v[8:9], 0
	s_and_saveexec_b32 s3, s2
	s_cbranch_execz .LBB119_17
; %bb.14:
	v_mad_u32 v12, v15, 20, 19
	v_mov_b64_e32 v[0:1], 0
	v_mov_b64_e32 v[8:9], 0
	v_mov_b32_e32 v11, 0
	s_mov_b32 s2, 0
.LBB119_15:                             ; =>This Inner Loop Header: Depth=1
	global_load_b32 v13, v15, s[6:7] scale_offset
	v_subrev_nc_u32_e32 v10, 19, v12
	v_dual_mov_b32 v41, v11 :: v_dual_add_nc_u32 v20, -9, v12
	v_dual_add_nc_u32 v26, -8, v12 :: v_dual_add_nc_u32 v38, -5, v12
	s_delay_alu instid0(VALU_DEP_3)
	v_lshl_add_u64 v[32:33], v[10:11], 3, s[8:9]
	v_add_nc_u32_e32 v67, -1, v12
	s_clause 0x1
	global_load_b64 v[42:43], v20, s[8:9] scale_offset
	global_load_b128 v[16:19], v[32:33], off
	s_wait_xcnt 0x2
	v_dual_add_nc_u32 v15, 32, v15 :: v_dual_add_nc_u32 v66, -11, v12
	s_delay_alu instid0(VALU_DEP_1) | instskip(SKIP_4) | instid1(VALU_DEP_2)
	v_cmp_ge_i32_e32 vcc_lo, v15, v14
	s_or_b32 s2, vcc_lo, s2
	s_wait_loadcnt 0x2
	v_subrev_nc_u32_e32 v10, s12, v13
	v_add_nc_u32_e32 v13, -7, v12
	v_mul_lo_u32 v40, v10, 10
	s_delay_alu instid0(VALU_DEP_1) | instskip(SKIP_4) | instid1(VALU_DEP_2)
	v_lshl_add_u64 v[24:25], v[40:41], 3, s[10:11]
	global_load_b128 v[20:23], v[24:25], off
	global_load_b64 v[44:45], v26, s[8:9] scale_offset
	v_add_nc_u32_e32 v10, 2, v40
	v_add_nc_u32_e32 v41, -3, v12
	v_lshl_add_u64 v[34:35], v[10:11], 3, s[10:11]
	s_clause 0x1
	global_load_b64 v[46:47], v13, s[8:9] scale_offset
	global_load_b128 v[24:27], v[32:33], off offset:16
	global_load_b128 v[28:31], v[34:35], off
	s_wait_xcnt 0x2
	v_dual_add_nc_u32 v10, -6, v12 :: v_dual_add_nc_u32 v13, -15, v12
	global_load_b64 v[48:49], v10, s[8:9] scale_offset
	s_wait_xcnt 0x0
	v_add_nc_u32_e32 v10, 4, v40
	s_delay_alu instid0(VALU_DEP_1)
	v_lshl_add_u64 v[36:37], v[10:11], 3, s[10:11]
	v_add_nc_u32_e32 v10, -14, v12
	s_clause 0x1
	global_load_b64 v[50:51], v13, s[8:9] scale_offset
	global_load_b64 v[52:53], v38, s[8:9] scale_offset
	global_load_b128 v[32:35], v[36:37], off
	s_wait_xcnt 0x2
	v_add_nc_u32_e32 v13, -4, v12
	s_clause 0x1
	global_load_b64 v[54:55], v10, s[8:9] scale_offset
	global_load_b64 v[56:57], v13, s[8:9] scale_offset
	s_wait_xcnt 0x1
	v_add_nc_u32_e32 v10, 6, v40
	s_wait_xcnt 0x0
	v_add_nc_u32_e32 v13, -13, v12
	s_delay_alu instid0(VALU_DEP_2)
	v_lshl_add_u64 v[58:59], v[10:11], 3, s[10:11]
	v_add_nc_u32_e32 v10, -12, v12
	s_clause 0x1
	global_load_b64 v[60:61], v13, s[8:9] scale_offset
	global_load_b64 v[62:63], v41, s[8:9] scale_offset
	global_load_b128 v[36:39], v[58:59], off
	s_wait_xcnt 0x2
	v_add_nc_u32_e32 v13, -2, v12
	global_load_b64 v[58:59], v10, s[8:9] scale_offset
	s_wait_xcnt 0x0
	v_add_nc_u32_e32 v10, 8, v40
	s_clause 0x1
	global_load_b64 v[40:41], v13, s[8:9] scale_offset
	global_load_b64 v[64:65], v66, s[8:9] scale_offset
	s_wait_loadcnt 0x10
	v_fmac_f64_e32 v[0:1], v[16:17], v[20:21]
	v_lshl_add_u64 v[16:17], v[10:11], 3, s[10:11]
	v_fmac_f64_e32 v[8:9], v[42:43], v[20:21]
	v_add_nc_u32_e32 v10, -10, v12
	global_load_b64 v[66:67], v67, s[8:9] scale_offset
	v_fmac_f64_e32 v[0:1], v[18:19], v[22:23]
	global_load_b128 v[16:19], v[16:17], off
	s_wait_loadcnt 0x11
	v_fmac_f64_e32 v[8:9], v[44:45], v[22:23]
	s_clause 0x1
	global_load_b64 v[20:21], v12, s[8:9] scale_offset
	global_load_b64 v[22:23], v10, s[8:9] scale_offset
	s_wait_xcnt 0x1
	v_add_nc_u32_e32 v12, 0x280, v12
	s_wait_loadcnt 0x10
	v_fmac_f64_e32 v[0:1], v[24:25], v[28:29]
	v_fmac_f64_e32 v[8:9], v[46:47], v[28:29]
	s_delay_alu instid0(VALU_DEP_2) | instskip(SKIP_1) | instid1(VALU_DEP_2)
	v_fmac_f64_e32 v[0:1], v[26:27], v[30:31]
	s_wait_loadcnt 0xf
	v_fmac_f64_e32 v[8:9], v[48:49], v[30:31]
	s_wait_loadcnt 0xc
	s_delay_alu instid0(VALU_DEP_2) | instskip(NEXT) | instid1(VALU_DEP_2)
	v_fmac_f64_e32 v[0:1], v[50:51], v[32:33]
	v_fmac_f64_e32 v[8:9], v[52:53], v[32:33]
	s_wait_loadcnt 0xb
	s_delay_alu instid0(VALU_DEP_2) | instskip(SKIP_1) | instid1(VALU_DEP_2)
	v_fmac_f64_e32 v[0:1], v[54:55], v[34:35]
	s_wait_loadcnt 0xa
	v_fmac_f64_e32 v[8:9], v[56:57], v[34:35]
	s_wait_loadcnt 0x7
	s_delay_alu instid0(VALU_DEP_2) | instskip(NEXT) | instid1(VALU_DEP_2)
	v_fmac_f64_e32 v[0:1], v[60:61], v[36:37]
	v_fmac_f64_e32 v[8:9], v[62:63], v[36:37]
	s_wait_loadcnt 0x6
	;; [unrolled: 9-line block ×3, first 2 shown]
	s_delay_alu instid0(VALU_DEP_2) | instskip(NEXT) | instid1(VALU_DEP_2)
	v_fmac_f64_e32 v[0:1], v[22:23], v[18:19]
	v_fmac_f64_e32 v[8:9], v[20:21], v[18:19]
	s_and_not1_b32 exec_lo, exec_lo, s2
	s_cbranch_execnz .LBB119_15
; %bb.16:
	s_or_b32 exec_lo, exec_lo, s2
.LBB119_17:
	s_delay_alu instid0(SALU_CYCLE_1)
	s_or_b32 exec_lo, exec_lo, s3
.LBB119_18:
	v_mbcnt_lo_u32_b32 v14, -1, 0
	s_delay_alu instid0(VALU_DEP_1) | instskip(NEXT) | instid1(VALU_DEP_1)
	v_xor_b32_e32 v10, 16, v14
	v_cmp_gt_i32_e32 vcc_lo, 32, v10
	v_cndmask_b32_e32 v10, v14, v10, vcc_lo
	s_delay_alu instid0(VALU_DEP_1)
	v_lshlrev_b32_e32 v13, 2, v10
	ds_bpermute_b32 v10, v13, v0
	ds_bpermute_b32 v11, v13, v1
	s_wait_dscnt 0x0
	v_add_f64_e32 v[0:1], v[0:1], v[10:11]
	v_xor_b32_e32 v10, 8, v14
	s_delay_alu instid0(VALU_DEP_1)
	v_cmp_gt_i32_e32 vcc_lo, 32, v10
	v_cndmask_b32_e32 v10, v14, v10, vcc_lo
	ds_bpermute_b32 v12, v13, v8
	ds_bpermute_b32 v13, v13, v9
	s_wait_dscnt 0x0
	v_dual_add_f64 v[8:9], v[8:9], v[12:13] :: v_dual_lshlrev_b32 v13, 2, v10
	ds_bpermute_b32 v10, v13, v0
	ds_bpermute_b32 v11, v13, v1
	s_wait_dscnt 0x0
	v_add_f64_e32 v[0:1], v[0:1], v[10:11]
	v_xor_b32_e32 v10, 4, v14
	s_delay_alu instid0(VALU_DEP_1)
	v_cmp_gt_i32_e32 vcc_lo, 32, v10
	v_cndmask_b32_e32 v10, v14, v10, vcc_lo
	ds_bpermute_b32 v12, v13, v8
	ds_bpermute_b32 v13, v13, v9
	s_wait_dscnt 0x0
	v_dual_add_f64 v[8:9], v[8:9], v[12:13] :: v_dual_lshlrev_b32 v13, 2, v10
	;; [unrolled: 12-line block ×3, first 2 shown]
	ds_bpermute_b32 v10, v13, v0
	ds_bpermute_b32 v11, v13, v1
	s_wait_dscnt 0x0
	v_add_f64_e32 v[0:1], v[0:1], v[10:11]
	ds_bpermute_b32 v12, v13, v8
	ds_bpermute_b32 v13, v13, v9
	s_wait_dscnt 0x0
	v_dual_add_f64 v[10:11], v[8:9], v[12:13] :: v_dual_bitop2_b32 v8, 1, v14 bitop3:0x14
	s_delay_alu instid0(VALU_DEP_1) | instskip(SKIP_2) | instid1(VALU_DEP_2)
	v_cmp_gt_i32_e32 vcc_lo, 32, v8
	v_cndmask_b32_e32 v8, v14, v8, vcc_lo
	v_cmp_eq_u32_e32 vcc_lo, 31, v7
	v_lshlrev_b32_e32 v13, 2, v8
	ds_bpermute_b32 v8, v13, v0
	ds_bpermute_b32 v9, v13, v1
	;; [unrolled: 1-line block ×4, first 2 shown]
	s_and_b32 exec_lo, exec_lo, vcc_lo
	s_cbranch_execz .LBB119_23
; %bb.19:
	s_wait_dscnt 0x2
	v_add_f64_e32 v[8:9], v[0:1], v[8:9]
	s_wait_dscnt 0x0
	v_add_f64_e32 v[0:1], v[10:11], v[12:13]
	s_load_b64 s[0:1], s[0:1], 0x38
	s_mov_b32 s2, exec_lo
	v_cmpx_eq_f64_e32 0, v[4:5]
	s_xor_b32 s2, exec_lo, s2
	s_cbranch_execz .LBB119_21
; %bb.20:
	s_delay_alu instid0(VALU_DEP_3) | instskip(NEXT) | instid1(VALU_DEP_3)
	v_mul_f64_e32 v[8:9], v[2:3], v[8:9]
	v_dual_mul_f64 v[10:11], v[2:3], v[0:1] :: v_dual_lshlrev_b32 v0, 1, v6
                                        ; implicit-def: $vgpr6
                                        ; implicit-def: $vgpr2_vgpr3
                                        ; implicit-def: $vgpr4_vgpr5
	s_delay_alu instid0(VALU_DEP_1) | instskip(SKIP_1) | instid1(VALU_DEP_1)
	v_ashrrev_i32_e32 v1, 31, v0
	s_wait_kmcnt 0x0
	v_lshl_add_u64 v[0:1], v[0:1], 3, s[0:1]
	global_store_b128 v[0:1], v[8:11], off
                                        ; implicit-def: $vgpr8_vgpr9
                                        ; implicit-def: $vgpr0_vgpr1
.LBB119_21:
	s_wait_xcnt 0x0
	s_and_not1_saveexec_b32 s2, s2
	s_cbranch_execz .LBB119_23
; %bb.22:
	v_lshlrev_b32_e32 v6, 1, v6
	s_delay_alu instid0(VALU_DEP_1) | instskip(SKIP_1) | instid1(VALU_DEP_1)
	v_ashrrev_i32_e32 v7, 31, v6
	s_wait_kmcnt 0x0
	v_lshl_add_u64 v[14:15], v[6:7], 3, s[0:1]
	v_mul_f64_e32 v[6:7], v[2:3], v[8:9]
	v_mul_f64_e32 v[8:9], v[2:3], v[0:1]
	global_load_b128 v[10:13], v[14:15], off
	s_wait_loadcnt 0x0
	v_fmac_f64_e32 v[6:7], v[4:5], v[10:11]
	v_fmac_f64_e32 v[8:9], v[4:5], v[12:13]
	global_store_b128 v[14:15], v[6:9], off
.LBB119_23:
	s_sendmsg sendmsg(MSG_DEALLOC_VGPRS)
	s_endpgm
	.section	.rodata,"a",@progbits
	.p2align	6, 0x0
	.amdhsa_kernel _ZN9rocsparseL19gebsrmvn_2xn_kernelILj128ELj10ELj32EdEEvi20rocsparse_direction_NS_24const_host_device_scalarIT2_EEPKiS6_PKS3_S8_S4_PS3_21rocsparse_index_base_b
		.amdhsa_group_segment_fixed_size 0
		.amdhsa_private_segment_fixed_size 0
		.amdhsa_kernarg_size 72
		.amdhsa_user_sgpr_count 2
		.amdhsa_user_sgpr_dispatch_ptr 0
		.amdhsa_user_sgpr_queue_ptr 0
		.amdhsa_user_sgpr_kernarg_segment_ptr 1
		.amdhsa_user_sgpr_dispatch_id 0
		.amdhsa_user_sgpr_kernarg_preload_length 0
		.amdhsa_user_sgpr_kernarg_preload_offset 0
		.amdhsa_user_sgpr_private_segment_size 0
		.amdhsa_wavefront_size32 1
		.amdhsa_uses_dynamic_stack 0
		.amdhsa_enable_private_segment 0
		.amdhsa_system_sgpr_workgroup_id_x 1
		.amdhsa_system_sgpr_workgroup_id_y 0
		.amdhsa_system_sgpr_workgroup_id_z 0
		.amdhsa_system_sgpr_workgroup_info 0
		.amdhsa_system_vgpr_workitem_id 0
		.amdhsa_next_free_vgpr 78
		.amdhsa_next_free_sgpr 14
		.amdhsa_named_barrier_count 0
		.amdhsa_reserve_vcc 1
		.amdhsa_float_round_mode_32 0
		.amdhsa_float_round_mode_16_64 0
		.amdhsa_float_denorm_mode_32 3
		.amdhsa_float_denorm_mode_16_64 3
		.amdhsa_fp16_overflow 0
		.amdhsa_memory_ordered 1
		.amdhsa_forward_progress 1
		.amdhsa_inst_pref_size 18
		.amdhsa_round_robin_scheduling 0
		.amdhsa_exception_fp_ieee_invalid_op 0
		.amdhsa_exception_fp_denorm_src 0
		.amdhsa_exception_fp_ieee_div_zero 0
		.amdhsa_exception_fp_ieee_overflow 0
		.amdhsa_exception_fp_ieee_underflow 0
		.amdhsa_exception_fp_ieee_inexact 0
		.amdhsa_exception_int_div_zero 0
	.end_amdhsa_kernel
	.section	.text._ZN9rocsparseL19gebsrmvn_2xn_kernelILj128ELj10ELj32EdEEvi20rocsparse_direction_NS_24const_host_device_scalarIT2_EEPKiS6_PKS3_S8_S4_PS3_21rocsparse_index_base_b,"axG",@progbits,_ZN9rocsparseL19gebsrmvn_2xn_kernelILj128ELj10ELj32EdEEvi20rocsparse_direction_NS_24const_host_device_scalarIT2_EEPKiS6_PKS3_S8_S4_PS3_21rocsparse_index_base_b,comdat
.Lfunc_end119:
	.size	_ZN9rocsparseL19gebsrmvn_2xn_kernelILj128ELj10ELj32EdEEvi20rocsparse_direction_NS_24const_host_device_scalarIT2_EEPKiS6_PKS3_S8_S4_PS3_21rocsparse_index_base_b, .Lfunc_end119-_ZN9rocsparseL19gebsrmvn_2xn_kernelILj128ELj10ELj32EdEEvi20rocsparse_direction_NS_24const_host_device_scalarIT2_EEPKiS6_PKS3_S8_S4_PS3_21rocsparse_index_base_b
                                        ; -- End function
	.set _ZN9rocsparseL19gebsrmvn_2xn_kernelILj128ELj10ELj32EdEEvi20rocsparse_direction_NS_24const_host_device_scalarIT2_EEPKiS6_PKS3_S8_S4_PS3_21rocsparse_index_base_b.num_vgpr, 78
	.set _ZN9rocsparseL19gebsrmvn_2xn_kernelILj128ELj10ELj32EdEEvi20rocsparse_direction_NS_24const_host_device_scalarIT2_EEPKiS6_PKS3_S8_S4_PS3_21rocsparse_index_base_b.num_agpr, 0
	.set _ZN9rocsparseL19gebsrmvn_2xn_kernelILj128ELj10ELj32EdEEvi20rocsparse_direction_NS_24const_host_device_scalarIT2_EEPKiS6_PKS3_S8_S4_PS3_21rocsparse_index_base_b.numbered_sgpr, 14
	.set _ZN9rocsparseL19gebsrmvn_2xn_kernelILj128ELj10ELj32EdEEvi20rocsparse_direction_NS_24const_host_device_scalarIT2_EEPKiS6_PKS3_S8_S4_PS3_21rocsparse_index_base_b.num_named_barrier, 0
	.set _ZN9rocsparseL19gebsrmvn_2xn_kernelILj128ELj10ELj32EdEEvi20rocsparse_direction_NS_24const_host_device_scalarIT2_EEPKiS6_PKS3_S8_S4_PS3_21rocsparse_index_base_b.private_seg_size, 0
	.set _ZN9rocsparseL19gebsrmvn_2xn_kernelILj128ELj10ELj32EdEEvi20rocsparse_direction_NS_24const_host_device_scalarIT2_EEPKiS6_PKS3_S8_S4_PS3_21rocsparse_index_base_b.uses_vcc, 1
	.set _ZN9rocsparseL19gebsrmvn_2xn_kernelILj128ELj10ELj32EdEEvi20rocsparse_direction_NS_24const_host_device_scalarIT2_EEPKiS6_PKS3_S8_S4_PS3_21rocsparse_index_base_b.uses_flat_scratch, 0
	.set _ZN9rocsparseL19gebsrmvn_2xn_kernelILj128ELj10ELj32EdEEvi20rocsparse_direction_NS_24const_host_device_scalarIT2_EEPKiS6_PKS3_S8_S4_PS3_21rocsparse_index_base_b.has_dyn_sized_stack, 0
	.set _ZN9rocsparseL19gebsrmvn_2xn_kernelILj128ELj10ELj32EdEEvi20rocsparse_direction_NS_24const_host_device_scalarIT2_EEPKiS6_PKS3_S8_S4_PS3_21rocsparse_index_base_b.has_recursion, 0
	.set _ZN9rocsparseL19gebsrmvn_2xn_kernelILj128ELj10ELj32EdEEvi20rocsparse_direction_NS_24const_host_device_scalarIT2_EEPKiS6_PKS3_S8_S4_PS3_21rocsparse_index_base_b.has_indirect_call, 0
	.section	.AMDGPU.csdata,"",@progbits
; Kernel info:
; codeLenInByte = 2280
; TotalNumSgprs: 16
; NumVgprs: 78
; ScratchSize: 0
; MemoryBound: 0
; FloatMode: 240
; IeeeMode: 1
; LDSByteSize: 0 bytes/workgroup (compile time only)
; SGPRBlocks: 0
; VGPRBlocks: 4
; NumSGPRsForWavesPerEU: 16
; NumVGPRsForWavesPerEU: 78
; NamedBarCnt: 0
; Occupancy: 12
; WaveLimiterHint : 1
; COMPUTE_PGM_RSRC2:SCRATCH_EN: 0
; COMPUTE_PGM_RSRC2:USER_SGPR: 2
; COMPUTE_PGM_RSRC2:TRAP_HANDLER: 0
; COMPUTE_PGM_RSRC2:TGID_X_EN: 1
; COMPUTE_PGM_RSRC2:TGID_Y_EN: 0
; COMPUTE_PGM_RSRC2:TGID_Z_EN: 0
; COMPUTE_PGM_RSRC2:TIDIG_COMP_CNT: 0
	.section	.text._ZN9rocsparseL19gebsrmvn_2xn_kernelILj128ELj10ELj64EdEEvi20rocsparse_direction_NS_24const_host_device_scalarIT2_EEPKiS6_PKS3_S8_S4_PS3_21rocsparse_index_base_b,"axG",@progbits,_ZN9rocsparseL19gebsrmvn_2xn_kernelILj128ELj10ELj64EdEEvi20rocsparse_direction_NS_24const_host_device_scalarIT2_EEPKiS6_PKS3_S8_S4_PS3_21rocsparse_index_base_b,comdat
	.globl	_ZN9rocsparseL19gebsrmvn_2xn_kernelILj128ELj10ELj64EdEEvi20rocsparse_direction_NS_24const_host_device_scalarIT2_EEPKiS6_PKS3_S8_S4_PS3_21rocsparse_index_base_b ; -- Begin function _ZN9rocsparseL19gebsrmvn_2xn_kernelILj128ELj10ELj64EdEEvi20rocsparse_direction_NS_24const_host_device_scalarIT2_EEPKiS6_PKS3_S8_S4_PS3_21rocsparse_index_base_b
	.p2align	8
	.type	_ZN9rocsparseL19gebsrmvn_2xn_kernelILj128ELj10ELj64EdEEvi20rocsparse_direction_NS_24const_host_device_scalarIT2_EEPKiS6_PKS3_S8_S4_PS3_21rocsparse_index_base_b,@function
_ZN9rocsparseL19gebsrmvn_2xn_kernelILj128ELj10ELj64EdEEvi20rocsparse_direction_NS_24const_host_device_scalarIT2_EEPKiS6_PKS3_S8_S4_PS3_21rocsparse_index_base_b: ; @_ZN9rocsparseL19gebsrmvn_2xn_kernelILj128ELj10ELj64EdEEvi20rocsparse_direction_NS_24const_host_device_scalarIT2_EEPKiS6_PKS3_S8_S4_PS3_21rocsparse_index_base_b
; %bb.0:
	s_clause 0x2
	s_load_b64 s[12:13], s[0:1], 0x40
	s_load_b64 s[4:5], s[0:1], 0x8
	;; [unrolled: 1-line block ×3, first 2 shown]
	s_wait_kmcnt 0x0
	s_bitcmp1_b32 s13, 0
	v_mov_b64_e32 v[2:3], s[4:5]
	s_cselect_b32 s6, -1, 0
	s_delay_alu instid0(SALU_CYCLE_1)
	s_and_b32 vcc_lo, exec_lo, s6
	s_xor_b32 s6, s6, -1
	s_cbranch_vccnz .LBB120_2
; %bb.1:
	v_mov_b32_e32 v1, 0
	flat_load_b64 v[2:3], v1, s[4:5]
.LBB120_2:
	v_mov_b64_e32 v[4:5], s[2:3]
	s_and_not1_b32 vcc_lo, exec_lo, s6
	s_cbranch_vccnz .LBB120_4
; %bb.3:
	s_wait_xcnt 0x0
	v_mov_b32_e32 v1, 0
	flat_load_b64 v[4:5], v1, s[2:3]
.LBB120_4:
	s_wait_loadcnt_dscnt 0x0
	v_cmp_neq_f64_e32 vcc_lo, 0, v[2:3]
	s_delay_alu instid0(VALU_DEP_2) | instskip(SKIP_1) | instid1(SALU_CYCLE_1)
	v_cmp_neq_f64_e64 s2, 1.0, v[4:5]
	s_or_b32 s2, vcc_lo, s2
	s_and_saveexec_b32 s3, s2
	s_cbranch_execz .LBB120_23
; %bb.5:
	s_load_b64 s[2:3], s[0:1], 0x0
	s_bfe_u32 s4, ttmp6, 0x4000c
	s_and_b32 s5, ttmp6, 15
	s_add_co_i32 s4, s4, 1
	s_getreg_b32 s6, hwreg(HW_REG_IB_STS2, 6, 4)
	s_mul_i32 s4, ttmp9, s4
	v_lshrrev_b32_e32 v1, 6, v0
	s_add_co_i32 s5, s5, s4
	s_cmp_eq_u32 s6, 0
	s_cselect_b32 s4, ttmp9, s5
	s_delay_alu instid0(VALU_DEP_1) | instid1(SALU_CYCLE_1)
	v_lshl_or_b32 v6, s4, 1, v1
	s_wait_kmcnt 0x0
	s_delay_alu instid0(VALU_DEP_1)
	v_cmp_gt_i32_e32 vcc_lo, s2, v6
	s_and_b32 exec_lo, exec_lo, vcc_lo
	s_cbranch_execz .LBB120_23
; %bb.6:
	s_load_b256 s[4:11], s[0:1], 0x10
	v_ashrrev_i32_e32 v7, 31, v6
	s_cmp_lg_u32 s3, 0
	s_wait_kmcnt 0x0
	s_delay_alu instid0(VALU_DEP_1)
	v_lshl_add_u64 v[8:9], v[6:7], 2, s[4:5]
	v_and_b32_e32 v7, 63, v0
	global_load_b64 v[8:9], v[8:9], off
	s_wait_loadcnt 0x0
	v_subrev_nc_u32_e32 v0, s12, v8
	v_subrev_nc_u32_e32 v14, s12, v9
	s_delay_alu instid0(VALU_DEP_2) | instskip(NEXT) | instid1(VALU_DEP_1)
	v_add_nc_u32_e32 v15, v0, v7
	v_cmp_lt_i32_e64 s2, v15, v14
	s_cbranch_scc0 .LBB120_12
; %bb.7:
	v_mov_b64_e32 v[0:1], 0
	v_mov_b64_e32 v[8:9], 0
	s_and_saveexec_b32 s3, s2
	s_cbranch_execz .LBB120_11
; %bb.8:
	v_mad_u32 v10, v15, 20, 18
	v_mov_b64_e32 v[0:1], 0
	v_mov_b64_e32 v[8:9], 0
	v_dual_mov_b32 v13, 0 :: v_dual_mov_b32 v16, v15
	s_mov_b32 s4, 0
.LBB120_9:                              ; =>This Inner Loop Header: Depth=1
	global_load_b32 v11, v16, s[6:7] scale_offset
	v_subrev_nc_u32_e32 v12, 18, v10
	s_wait_xcnt 0x0
	v_dual_mov_b32 v67, v13 :: v_dual_add_nc_u32 v16, 64, v16
	s_delay_alu instid0(VALU_DEP_2) | instskip(SKIP_1) | instid1(VALU_DEP_3)
	v_lshl_add_u64 v[30:31], v[12:13], 3, s[8:9]
	v_add_nc_u32_e32 v12, -14, v10
	v_cmp_ge_i32_e32 vcc_lo, v16, v14
	s_delay_alu instid0(VALU_DEP_2) | instskip(SKIP_3) | instid1(VALU_DEP_1)
	v_lshl_add_u64 v[38:39], v[12:13], 3, s[8:9]
	s_or_b32 s4, vcc_lo, s4
	s_wait_loadcnt 0x0
	v_subrev_nc_u32_e32 v11, s12, v11
	v_mul_lo_u32 v66, v11, 10
	s_delay_alu instid0(VALU_DEP_1)
	v_dual_mov_b32 v11, v13 :: v_dual_add_nc_u32 v12, 2, v66
	v_lshl_add_u64 v[32:33], v[66:67], 3, s[10:11]
	s_clause 0x1
	global_load_b128 v[18:21], v[30:31], off offset:16
	global_load_b128 v[22:25], v[30:31], off
	global_load_b128 v[26:29], v[32:33], off
	v_lshl_add_u64 v[40:41], v[12:13], 3, s[10:11]
	global_load_b128 v[30:33], v[38:39], off
	global_load_b128 v[34:37], v[40:41], off
	v_add_nc_u32_e32 v12, -12, v10
	s_wait_xcnt 0x1
	s_delay_alu instid0(VALU_DEP_1) | instskip(SKIP_4) | instid1(VALU_DEP_1)
	v_lshl_add_u64 v[38:39], v[12:13], 3, s[8:9]
	v_add_nc_u32_e32 v12, -10, v10
	global_load_b128 v[38:41], v[38:39], off
	v_lshl_add_u64 v[50:51], v[12:13], 3, s[8:9]
	v_add_nc_u32_e32 v12, 4, v66
	v_lshl_add_u64 v[52:53], v[12:13], 3, s[10:11]
	global_load_b128 v[42:45], v[50:51], off
	global_load_b128 v[46:49], v[52:53], off
	v_add_nc_u32_e32 v12, -8, v10
	s_wait_xcnt 0x1
	s_delay_alu instid0(VALU_DEP_1) | instskip(SKIP_4) | instid1(VALU_DEP_1)
	v_lshl_add_u64 v[50:51], v[12:13], 3, s[8:9]
	v_add_nc_u32_e32 v12, -6, v10
	global_load_b128 v[50:53], v[50:51], off
	v_lshl_add_u64 v[62:63], v[12:13], 3, s[8:9]
	v_add_nc_u32_e32 v12, 6, v66
	;; [unrolled: 11-line block ×3, first 2 shown]
	v_lshl_add_u64 v[76:77], v[12:13], 3, s[10:11]
	global_load_b128 v[66:69], v[74:75], off
	global_load_b128 v[70:73], v[76:77], off
	s_wait_xcnt 0x1
	v_lshl_add_u64 v[74:75], v[10:11], 3, s[8:9]
	v_add_nc_u32_e32 v10, 0x500, v10
	global_load_b128 v[74:77], v[74:75], off
	s_wait_loadcnt 0xc
	v_fmac_f64_e32 v[0:1], v[22:23], v[26:27]
	v_fmac_f64_e32 v[8:9], v[24:25], v[26:27]
	s_delay_alu instid0(VALU_DEP_2) | instskip(NEXT) | instid1(VALU_DEP_2)
	v_fmac_f64_e32 v[0:1], v[18:19], v[28:29]
	v_fmac_f64_e32 v[8:9], v[20:21], v[28:29]
	s_wait_loadcnt 0xa
	s_delay_alu instid0(VALU_DEP_2) | instskip(NEXT) | instid1(VALU_DEP_2)
	v_fmac_f64_e32 v[0:1], v[30:31], v[34:35]
	v_fmac_f64_e32 v[8:9], v[32:33], v[34:35]
	s_wait_loadcnt 0x9
	;; [unrolled: 4-line block ×8, first 2 shown]
	s_delay_alu instid0(VALU_DEP_2) | instskip(NEXT) | instid1(VALU_DEP_2)
	v_fmac_f64_e32 v[0:1], v[74:75], v[72:73]
	v_fmac_f64_e32 v[8:9], v[76:77], v[72:73]
	s_and_not1_b32 exec_lo, exec_lo, s4
	s_cbranch_execnz .LBB120_9
; %bb.10:
	s_or_b32 exec_lo, exec_lo, s4
.LBB120_11:
	s_delay_alu instid0(SALU_CYCLE_1)
	s_or_b32 exec_lo, exec_lo, s3
	s_cbranch_execz .LBB120_13
	s_branch .LBB120_18
.LBB120_12:
                                        ; implicit-def: $vgpr0_vgpr1
                                        ; implicit-def: $vgpr8_vgpr9
.LBB120_13:
	v_mov_b64_e32 v[0:1], 0
	v_mov_b64_e32 v[8:9], 0
	s_and_saveexec_b32 s3, s2
	s_cbranch_execz .LBB120_17
; %bb.14:
	v_mad_u32 v12, v15, 20, 19
	v_mov_b64_e32 v[0:1], 0
	v_mov_b64_e32 v[8:9], 0
	v_mov_b32_e32 v11, 0
	s_mov_b32 s2, 0
.LBB120_15:                             ; =>This Inner Loop Header: Depth=1
	global_load_b32 v13, v15, s[6:7] scale_offset
	v_subrev_nc_u32_e32 v10, 19, v12
	v_dual_mov_b32 v41, v11 :: v_dual_add_nc_u32 v20, -9, v12
	v_dual_add_nc_u32 v26, -8, v12 :: v_dual_add_nc_u32 v38, -5, v12
	s_delay_alu instid0(VALU_DEP_3)
	v_lshl_add_u64 v[32:33], v[10:11], 3, s[8:9]
	v_add_nc_u32_e32 v67, -1, v12
	s_clause 0x1
	global_load_b64 v[42:43], v20, s[8:9] scale_offset
	global_load_b128 v[16:19], v[32:33], off
	s_wait_xcnt 0x2
	v_dual_add_nc_u32 v15, 64, v15 :: v_dual_add_nc_u32 v66, -11, v12
	s_delay_alu instid0(VALU_DEP_1) | instskip(SKIP_4) | instid1(VALU_DEP_2)
	v_cmp_ge_i32_e32 vcc_lo, v15, v14
	s_or_b32 s2, vcc_lo, s2
	s_wait_loadcnt 0x2
	v_subrev_nc_u32_e32 v10, s12, v13
	v_add_nc_u32_e32 v13, -7, v12
	v_mul_lo_u32 v40, v10, 10
	s_delay_alu instid0(VALU_DEP_1) | instskip(SKIP_4) | instid1(VALU_DEP_2)
	v_lshl_add_u64 v[24:25], v[40:41], 3, s[10:11]
	global_load_b128 v[20:23], v[24:25], off
	global_load_b64 v[44:45], v26, s[8:9] scale_offset
	v_add_nc_u32_e32 v10, 2, v40
	v_add_nc_u32_e32 v41, -3, v12
	v_lshl_add_u64 v[34:35], v[10:11], 3, s[10:11]
	s_clause 0x1
	global_load_b64 v[46:47], v13, s[8:9] scale_offset
	global_load_b128 v[24:27], v[32:33], off offset:16
	global_load_b128 v[28:31], v[34:35], off
	s_wait_xcnt 0x2
	v_dual_add_nc_u32 v10, -6, v12 :: v_dual_add_nc_u32 v13, -15, v12
	global_load_b64 v[48:49], v10, s[8:9] scale_offset
	s_wait_xcnt 0x0
	v_add_nc_u32_e32 v10, 4, v40
	s_delay_alu instid0(VALU_DEP_1)
	v_lshl_add_u64 v[36:37], v[10:11], 3, s[10:11]
	v_add_nc_u32_e32 v10, -14, v12
	s_clause 0x1
	global_load_b64 v[50:51], v13, s[8:9] scale_offset
	global_load_b64 v[52:53], v38, s[8:9] scale_offset
	global_load_b128 v[32:35], v[36:37], off
	s_wait_xcnt 0x2
	v_add_nc_u32_e32 v13, -4, v12
	s_clause 0x1
	global_load_b64 v[54:55], v10, s[8:9] scale_offset
	global_load_b64 v[56:57], v13, s[8:9] scale_offset
	s_wait_xcnt 0x1
	v_add_nc_u32_e32 v10, 6, v40
	s_wait_xcnt 0x0
	v_add_nc_u32_e32 v13, -13, v12
	s_delay_alu instid0(VALU_DEP_2)
	v_lshl_add_u64 v[58:59], v[10:11], 3, s[10:11]
	v_add_nc_u32_e32 v10, -12, v12
	s_clause 0x1
	global_load_b64 v[60:61], v13, s[8:9] scale_offset
	global_load_b64 v[62:63], v41, s[8:9] scale_offset
	global_load_b128 v[36:39], v[58:59], off
	s_wait_xcnt 0x2
	v_add_nc_u32_e32 v13, -2, v12
	global_load_b64 v[58:59], v10, s[8:9] scale_offset
	s_wait_xcnt 0x0
	v_add_nc_u32_e32 v10, 8, v40
	s_clause 0x1
	global_load_b64 v[40:41], v13, s[8:9] scale_offset
	global_load_b64 v[64:65], v66, s[8:9] scale_offset
	s_wait_loadcnt 0x10
	v_fmac_f64_e32 v[0:1], v[16:17], v[20:21]
	v_lshl_add_u64 v[16:17], v[10:11], 3, s[10:11]
	v_fmac_f64_e32 v[8:9], v[42:43], v[20:21]
	v_add_nc_u32_e32 v10, -10, v12
	global_load_b64 v[66:67], v67, s[8:9] scale_offset
	v_fmac_f64_e32 v[0:1], v[18:19], v[22:23]
	global_load_b128 v[16:19], v[16:17], off
	s_wait_loadcnt 0x11
	v_fmac_f64_e32 v[8:9], v[44:45], v[22:23]
	s_clause 0x1
	global_load_b64 v[20:21], v12, s[8:9] scale_offset
	global_load_b64 v[22:23], v10, s[8:9] scale_offset
	s_wait_xcnt 0x1
	v_add_nc_u32_e32 v12, 0x500, v12
	s_wait_loadcnt 0x10
	v_fmac_f64_e32 v[0:1], v[24:25], v[28:29]
	v_fmac_f64_e32 v[8:9], v[46:47], v[28:29]
	s_delay_alu instid0(VALU_DEP_2) | instskip(SKIP_1) | instid1(VALU_DEP_2)
	v_fmac_f64_e32 v[0:1], v[26:27], v[30:31]
	s_wait_loadcnt 0xf
	v_fmac_f64_e32 v[8:9], v[48:49], v[30:31]
	s_wait_loadcnt 0xc
	s_delay_alu instid0(VALU_DEP_2) | instskip(NEXT) | instid1(VALU_DEP_2)
	v_fmac_f64_e32 v[0:1], v[50:51], v[32:33]
	v_fmac_f64_e32 v[8:9], v[52:53], v[32:33]
	s_wait_loadcnt 0xb
	s_delay_alu instid0(VALU_DEP_2) | instskip(SKIP_1) | instid1(VALU_DEP_2)
	v_fmac_f64_e32 v[0:1], v[54:55], v[34:35]
	s_wait_loadcnt 0xa
	v_fmac_f64_e32 v[8:9], v[56:57], v[34:35]
	s_wait_loadcnt 0x7
	s_delay_alu instid0(VALU_DEP_2) | instskip(NEXT) | instid1(VALU_DEP_2)
	v_fmac_f64_e32 v[0:1], v[60:61], v[36:37]
	v_fmac_f64_e32 v[8:9], v[62:63], v[36:37]
	s_wait_loadcnt 0x6
	;; [unrolled: 9-line block ×3, first 2 shown]
	s_delay_alu instid0(VALU_DEP_2) | instskip(NEXT) | instid1(VALU_DEP_2)
	v_fmac_f64_e32 v[0:1], v[22:23], v[18:19]
	v_fmac_f64_e32 v[8:9], v[20:21], v[18:19]
	s_and_not1_b32 exec_lo, exec_lo, s2
	s_cbranch_execnz .LBB120_15
; %bb.16:
	s_or_b32 exec_lo, exec_lo, s2
.LBB120_17:
	s_delay_alu instid0(SALU_CYCLE_1)
	s_or_b32 exec_lo, exec_lo, s3
.LBB120_18:
	v_mbcnt_lo_u32_b32 v14, -1, 0
	s_delay_alu instid0(VALU_DEP_1) | instskip(NEXT) | instid1(VALU_DEP_1)
	v_or_b32_e32 v10, 32, v14
	v_cmp_gt_i32_e32 vcc_lo, 32, v10
	v_cndmask_b32_e32 v10, v14, v10, vcc_lo
	s_delay_alu instid0(VALU_DEP_1)
	v_lshlrev_b32_e32 v13, 2, v10
	ds_bpermute_b32 v10, v13, v0
	ds_bpermute_b32 v11, v13, v1
	s_wait_dscnt 0x0
	v_add_f64_e32 v[0:1], v[0:1], v[10:11]
	v_xor_b32_e32 v10, 16, v14
	s_delay_alu instid0(VALU_DEP_1)
	v_cmp_gt_i32_e32 vcc_lo, 32, v10
	v_cndmask_b32_e32 v10, v14, v10, vcc_lo
	ds_bpermute_b32 v12, v13, v8
	ds_bpermute_b32 v13, v13, v9
	s_wait_dscnt 0x0
	v_dual_add_f64 v[8:9], v[8:9], v[12:13] :: v_dual_lshlrev_b32 v13, 2, v10
	ds_bpermute_b32 v10, v13, v0
	ds_bpermute_b32 v11, v13, v1
	s_wait_dscnt 0x0
	v_add_f64_e32 v[0:1], v[0:1], v[10:11]
	v_xor_b32_e32 v10, 8, v14
	s_delay_alu instid0(VALU_DEP_1)
	v_cmp_gt_i32_e32 vcc_lo, 32, v10
	v_cndmask_b32_e32 v10, v14, v10, vcc_lo
	ds_bpermute_b32 v12, v13, v8
	ds_bpermute_b32 v13, v13, v9
	s_wait_dscnt 0x0
	v_dual_add_f64 v[8:9], v[8:9], v[12:13] :: v_dual_lshlrev_b32 v13, 2, v10
	;; [unrolled: 12-line block ×4, first 2 shown]
	ds_bpermute_b32 v10, v13, v0
	ds_bpermute_b32 v11, v13, v1
	s_wait_dscnt 0x0
	v_add_f64_e32 v[0:1], v[0:1], v[10:11]
	ds_bpermute_b32 v12, v13, v8
	ds_bpermute_b32 v13, v13, v9
	s_wait_dscnt 0x0
	v_dual_add_f64 v[10:11], v[8:9], v[12:13] :: v_dual_bitop2_b32 v8, 1, v14 bitop3:0x14
	s_delay_alu instid0(VALU_DEP_1) | instskip(SKIP_2) | instid1(VALU_DEP_2)
	v_cmp_gt_i32_e32 vcc_lo, 32, v8
	v_cndmask_b32_e32 v8, v14, v8, vcc_lo
	v_cmp_eq_u32_e32 vcc_lo, 63, v7
	v_lshlrev_b32_e32 v13, 2, v8
	ds_bpermute_b32 v8, v13, v0
	ds_bpermute_b32 v9, v13, v1
	;; [unrolled: 1-line block ×4, first 2 shown]
	s_and_b32 exec_lo, exec_lo, vcc_lo
	s_cbranch_execz .LBB120_23
; %bb.19:
	s_wait_dscnt 0x2
	v_add_f64_e32 v[8:9], v[0:1], v[8:9]
	s_wait_dscnt 0x0
	v_add_f64_e32 v[0:1], v[10:11], v[12:13]
	s_load_b64 s[0:1], s[0:1], 0x38
	s_mov_b32 s2, exec_lo
	v_cmpx_eq_f64_e32 0, v[4:5]
	s_xor_b32 s2, exec_lo, s2
	s_cbranch_execz .LBB120_21
; %bb.20:
	s_delay_alu instid0(VALU_DEP_3) | instskip(NEXT) | instid1(VALU_DEP_3)
	v_mul_f64_e32 v[8:9], v[2:3], v[8:9]
	v_dual_mul_f64 v[10:11], v[2:3], v[0:1] :: v_dual_lshlrev_b32 v0, 1, v6
                                        ; implicit-def: $vgpr6
                                        ; implicit-def: $vgpr2_vgpr3
                                        ; implicit-def: $vgpr4_vgpr5
	s_delay_alu instid0(VALU_DEP_1) | instskip(SKIP_1) | instid1(VALU_DEP_1)
	v_ashrrev_i32_e32 v1, 31, v0
	s_wait_kmcnt 0x0
	v_lshl_add_u64 v[0:1], v[0:1], 3, s[0:1]
	global_store_b128 v[0:1], v[8:11], off
                                        ; implicit-def: $vgpr8_vgpr9
                                        ; implicit-def: $vgpr0_vgpr1
.LBB120_21:
	s_wait_xcnt 0x0
	s_and_not1_saveexec_b32 s2, s2
	s_cbranch_execz .LBB120_23
; %bb.22:
	v_lshlrev_b32_e32 v6, 1, v6
	s_delay_alu instid0(VALU_DEP_1) | instskip(SKIP_1) | instid1(VALU_DEP_1)
	v_ashrrev_i32_e32 v7, 31, v6
	s_wait_kmcnt 0x0
	v_lshl_add_u64 v[14:15], v[6:7], 3, s[0:1]
	v_mul_f64_e32 v[6:7], v[2:3], v[8:9]
	v_mul_f64_e32 v[8:9], v[2:3], v[0:1]
	global_load_b128 v[10:13], v[14:15], off
	s_wait_loadcnt 0x0
	v_fmac_f64_e32 v[6:7], v[4:5], v[10:11]
	v_fmac_f64_e32 v[8:9], v[4:5], v[12:13]
	global_store_b128 v[14:15], v[6:9], off
.LBB120_23:
	s_sendmsg sendmsg(MSG_DEALLOC_VGPRS)
	s_endpgm
	.section	.rodata,"a",@progbits
	.p2align	6, 0x0
	.amdhsa_kernel _ZN9rocsparseL19gebsrmvn_2xn_kernelILj128ELj10ELj64EdEEvi20rocsparse_direction_NS_24const_host_device_scalarIT2_EEPKiS6_PKS3_S8_S4_PS3_21rocsparse_index_base_b
		.amdhsa_group_segment_fixed_size 0
		.amdhsa_private_segment_fixed_size 0
		.amdhsa_kernarg_size 72
		.amdhsa_user_sgpr_count 2
		.amdhsa_user_sgpr_dispatch_ptr 0
		.amdhsa_user_sgpr_queue_ptr 0
		.amdhsa_user_sgpr_kernarg_segment_ptr 1
		.amdhsa_user_sgpr_dispatch_id 0
		.amdhsa_user_sgpr_kernarg_preload_length 0
		.amdhsa_user_sgpr_kernarg_preload_offset 0
		.amdhsa_user_sgpr_private_segment_size 0
		.amdhsa_wavefront_size32 1
		.amdhsa_uses_dynamic_stack 0
		.amdhsa_enable_private_segment 0
		.amdhsa_system_sgpr_workgroup_id_x 1
		.amdhsa_system_sgpr_workgroup_id_y 0
		.amdhsa_system_sgpr_workgroup_id_z 0
		.amdhsa_system_sgpr_workgroup_info 0
		.amdhsa_system_vgpr_workitem_id 0
		.amdhsa_next_free_vgpr 78
		.amdhsa_next_free_sgpr 14
		.amdhsa_named_barrier_count 0
		.amdhsa_reserve_vcc 1
		.amdhsa_float_round_mode_32 0
		.amdhsa_float_round_mode_16_64 0
		.amdhsa_float_denorm_mode_32 3
		.amdhsa_float_denorm_mode_16_64 3
		.amdhsa_fp16_overflow 0
		.amdhsa_memory_ordered 1
		.amdhsa_forward_progress 1
		.amdhsa_inst_pref_size 19
		.amdhsa_round_robin_scheduling 0
		.amdhsa_exception_fp_ieee_invalid_op 0
		.amdhsa_exception_fp_denorm_src 0
		.amdhsa_exception_fp_ieee_div_zero 0
		.amdhsa_exception_fp_ieee_overflow 0
		.amdhsa_exception_fp_ieee_underflow 0
		.amdhsa_exception_fp_ieee_inexact 0
		.amdhsa_exception_int_div_zero 0
	.end_amdhsa_kernel
	.section	.text._ZN9rocsparseL19gebsrmvn_2xn_kernelILj128ELj10ELj64EdEEvi20rocsparse_direction_NS_24const_host_device_scalarIT2_EEPKiS6_PKS3_S8_S4_PS3_21rocsparse_index_base_b,"axG",@progbits,_ZN9rocsparseL19gebsrmvn_2xn_kernelILj128ELj10ELj64EdEEvi20rocsparse_direction_NS_24const_host_device_scalarIT2_EEPKiS6_PKS3_S8_S4_PS3_21rocsparse_index_base_b,comdat
.Lfunc_end120:
	.size	_ZN9rocsparseL19gebsrmvn_2xn_kernelILj128ELj10ELj64EdEEvi20rocsparse_direction_NS_24const_host_device_scalarIT2_EEPKiS6_PKS3_S8_S4_PS3_21rocsparse_index_base_b, .Lfunc_end120-_ZN9rocsparseL19gebsrmvn_2xn_kernelILj128ELj10ELj64EdEEvi20rocsparse_direction_NS_24const_host_device_scalarIT2_EEPKiS6_PKS3_S8_S4_PS3_21rocsparse_index_base_b
                                        ; -- End function
	.set _ZN9rocsparseL19gebsrmvn_2xn_kernelILj128ELj10ELj64EdEEvi20rocsparse_direction_NS_24const_host_device_scalarIT2_EEPKiS6_PKS3_S8_S4_PS3_21rocsparse_index_base_b.num_vgpr, 78
	.set _ZN9rocsparseL19gebsrmvn_2xn_kernelILj128ELj10ELj64EdEEvi20rocsparse_direction_NS_24const_host_device_scalarIT2_EEPKiS6_PKS3_S8_S4_PS3_21rocsparse_index_base_b.num_agpr, 0
	.set _ZN9rocsparseL19gebsrmvn_2xn_kernelILj128ELj10ELj64EdEEvi20rocsparse_direction_NS_24const_host_device_scalarIT2_EEPKiS6_PKS3_S8_S4_PS3_21rocsparse_index_base_b.numbered_sgpr, 14
	.set _ZN9rocsparseL19gebsrmvn_2xn_kernelILj128ELj10ELj64EdEEvi20rocsparse_direction_NS_24const_host_device_scalarIT2_EEPKiS6_PKS3_S8_S4_PS3_21rocsparse_index_base_b.num_named_barrier, 0
	.set _ZN9rocsparseL19gebsrmvn_2xn_kernelILj128ELj10ELj64EdEEvi20rocsparse_direction_NS_24const_host_device_scalarIT2_EEPKiS6_PKS3_S8_S4_PS3_21rocsparse_index_base_b.private_seg_size, 0
	.set _ZN9rocsparseL19gebsrmvn_2xn_kernelILj128ELj10ELj64EdEEvi20rocsparse_direction_NS_24const_host_device_scalarIT2_EEPKiS6_PKS3_S8_S4_PS3_21rocsparse_index_base_b.uses_vcc, 1
	.set _ZN9rocsparseL19gebsrmvn_2xn_kernelILj128ELj10ELj64EdEEvi20rocsparse_direction_NS_24const_host_device_scalarIT2_EEPKiS6_PKS3_S8_S4_PS3_21rocsparse_index_base_b.uses_flat_scratch, 0
	.set _ZN9rocsparseL19gebsrmvn_2xn_kernelILj128ELj10ELj64EdEEvi20rocsparse_direction_NS_24const_host_device_scalarIT2_EEPKiS6_PKS3_S8_S4_PS3_21rocsparse_index_base_b.has_dyn_sized_stack, 0
	.set _ZN9rocsparseL19gebsrmvn_2xn_kernelILj128ELj10ELj64EdEEvi20rocsparse_direction_NS_24const_host_device_scalarIT2_EEPKiS6_PKS3_S8_S4_PS3_21rocsparse_index_base_b.has_recursion, 0
	.set _ZN9rocsparseL19gebsrmvn_2xn_kernelILj128ELj10ELj64EdEEvi20rocsparse_direction_NS_24const_host_device_scalarIT2_EEPKiS6_PKS3_S8_S4_PS3_21rocsparse_index_base_b.has_indirect_call, 0
	.section	.AMDGPU.csdata,"",@progbits
; Kernel info:
; codeLenInByte = 2352
; TotalNumSgprs: 16
; NumVgprs: 78
; ScratchSize: 0
; MemoryBound: 0
; FloatMode: 240
; IeeeMode: 1
; LDSByteSize: 0 bytes/workgroup (compile time only)
; SGPRBlocks: 0
; VGPRBlocks: 4
; NumSGPRsForWavesPerEU: 16
; NumVGPRsForWavesPerEU: 78
; NamedBarCnt: 0
; Occupancy: 12
; WaveLimiterHint : 1
; COMPUTE_PGM_RSRC2:SCRATCH_EN: 0
; COMPUTE_PGM_RSRC2:USER_SGPR: 2
; COMPUTE_PGM_RSRC2:TRAP_HANDLER: 0
; COMPUTE_PGM_RSRC2:TGID_X_EN: 1
; COMPUTE_PGM_RSRC2:TGID_Y_EN: 0
; COMPUTE_PGM_RSRC2:TGID_Z_EN: 0
; COMPUTE_PGM_RSRC2:TIDIG_COMP_CNT: 0
	.section	.text._ZN9rocsparseL19gebsrmvn_2xn_kernelILj128ELj11ELj4EdEEvi20rocsparse_direction_NS_24const_host_device_scalarIT2_EEPKiS6_PKS3_S8_S4_PS3_21rocsparse_index_base_b,"axG",@progbits,_ZN9rocsparseL19gebsrmvn_2xn_kernelILj128ELj11ELj4EdEEvi20rocsparse_direction_NS_24const_host_device_scalarIT2_EEPKiS6_PKS3_S8_S4_PS3_21rocsparse_index_base_b,comdat
	.globl	_ZN9rocsparseL19gebsrmvn_2xn_kernelILj128ELj11ELj4EdEEvi20rocsparse_direction_NS_24const_host_device_scalarIT2_EEPKiS6_PKS3_S8_S4_PS3_21rocsparse_index_base_b ; -- Begin function _ZN9rocsparseL19gebsrmvn_2xn_kernelILj128ELj11ELj4EdEEvi20rocsparse_direction_NS_24const_host_device_scalarIT2_EEPKiS6_PKS3_S8_S4_PS3_21rocsparse_index_base_b
	.p2align	8
	.type	_ZN9rocsparseL19gebsrmvn_2xn_kernelILj128ELj11ELj4EdEEvi20rocsparse_direction_NS_24const_host_device_scalarIT2_EEPKiS6_PKS3_S8_S4_PS3_21rocsparse_index_base_b,@function
_ZN9rocsparseL19gebsrmvn_2xn_kernelILj128ELj11ELj4EdEEvi20rocsparse_direction_NS_24const_host_device_scalarIT2_EEPKiS6_PKS3_S8_S4_PS3_21rocsparse_index_base_b: ; @_ZN9rocsparseL19gebsrmvn_2xn_kernelILj128ELj11ELj4EdEEvi20rocsparse_direction_NS_24const_host_device_scalarIT2_EEPKiS6_PKS3_S8_S4_PS3_21rocsparse_index_base_b
; %bb.0:
	s_clause 0x2
	s_load_b64 s[12:13], s[0:1], 0x40
	s_load_b64 s[4:5], s[0:1], 0x8
	;; [unrolled: 1-line block ×3, first 2 shown]
	s_wait_kmcnt 0x0
	s_bitcmp1_b32 s13, 0
	v_mov_b64_e32 v[2:3], s[4:5]
	s_cselect_b32 s6, -1, 0
	s_delay_alu instid0(SALU_CYCLE_1)
	s_and_b32 vcc_lo, exec_lo, s6
	s_xor_b32 s6, s6, -1
	s_cbranch_vccnz .LBB121_2
; %bb.1:
	v_mov_b32_e32 v1, 0
	flat_load_b64 v[2:3], v1, s[4:5]
.LBB121_2:
	v_mov_b64_e32 v[4:5], s[2:3]
	s_and_not1_b32 vcc_lo, exec_lo, s6
	s_cbranch_vccnz .LBB121_4
; %bb.3:
	s_wait_xcnt 0x0
	v_mov_b32_e32 v1, 0
	flat_load_b64 v[4:5], v1, s[2:3]
.LBB121_4:
	s_wait_loadcnt_dscnt 0x0
	v_cmp_neq_f64_e32 vcc_lo, 0, v[2:3]
	s_delay_alu instid0(VALU_DEP_2) | instskip(SKIP_1) | instid1(SALU_CYCLE_1)
	v_cmp_neq_f64_e64 s2, 1.0, v[4:5]
	s_or_b32 s2, vcc_lo, s2
	s_and_saveexec_b32 s3, s2
	s_cbranch_execz .LBB121_23
; %bb.5:
	s_load_b64 s[2:3], s[0:1], 0x0
	s_bfe_u32 s4, ttmp6, 0x4000c
	s_and_b32 s5, ttmp6, 15
	s_add_co_i32 s4, s4, 1
	s_getreg_b32 s6, hwreg(HW_REG_IB_STS2, 6, 4)
	s_mul_i32 s4, ttmp9, s4
	v_lshrrev_b32_e32 v1, 2, v0
	s_add_co_i32 s5, s5, s4
	s_cmp_eq_u32 s6, 0
	s_cselect_b32 s4, ttmp9, s5
	s_delay_alu instid0(VALU_DEP_1) | instid1(SALU_CYCLE_1)
	v_lshl_or_b32 v6, s4, 5, v1
	s_wait_kmcnt 0x0
	s_delay_alu instid0(VALU_DEP_1)
	v_cmp_gt_i32_e32 vcc_lo, s2, v6
	s_and_b32 exec_lo, exec_lo, vcc_lo
	s_cbranch_execz .LBB121_23
; %bb.6:
	s_load_b256 s[4:11], s[0:1], 0x10
	v_ashrrev_i32_e32 v7, 31, v6
	s_cmp_lg_u32 s3, 0
	s_wait_kmcnt 0x0
	s_delay_alu instid0(VALU_DEP_1)
	v_lshl_add_u64 v[8:9], v[6:7], 2, s[4:5]
	v_and_b32_e32 v7, 3, v0
	global_load_b64 v[8:9], v[8:9], off
	s_wait_loadcnt 0x0
	v_subrev_nc_u32_e32 v0, s12, v8
	v_subrev_nc_u32_e32 v14, s12, v9
	s_delay_alu instid0(VALU_DEP_2) | instskip(NEXT) | instid1(VALU_DEP_1)
	v_add_nc_u32_e32 v15, v0, v7
	v_cmp_lt_i32_e64 s2, v15, v14
	s_cbranch_scc0 .LBB121_12
; %bb.7:
	v_mov_b64_e32 v[0:1], 0
	v_mov_b64_e32 v[8:9], 0
	s_and_saveexec_b32 s3, s2
	s_cbranch_execz .LBB121_11
; %bb.8:
	v_mad_u32 v10, v15, 22, 20
	v_mov_b64_e32 v[0:1], 0
	v_mov_b64_e32 v[8:9], 0
	v_dual_mov_b32 v13, 0 :: v_dual_mov_b32 v16, v15
	s_mov_b32 s4, 0
.LBB121_9:                              ; =>This Inner Loop Header: Depth=1
	global_load_b32 v11, v16, s[6:7] scale_offset
	v_subrev_nc_u32_e32 v12, 20, v10
	s_wait_xcnt 0x0
	v_add_nc_u32_e32 v16, 4, v16
	s_delay_alu instid0(VALU_DEP_2) | instskip(SKIP_1) | instid1(VALU_DEP_3)
	v_lshl_add_u64 v[22:23], v[12:13], 3, s[8:9]
	v_subrev_nc_u32_e32 v12, 18, v10
	v_cmp_ge_i32_e32 vcc_lo, v16, v14
	s_delay_alu instid0(VALU_DEP_2) | instskip(SKIP_2) | instid1(VALU_DEP_1)
	v_lshl_add_u64 v[26:27], v[12:13], 3, s[8:9]
	v_add_nc_u32_e32 v12, -16, v10
	s_or_b32 s4, vcc_lo, s4
	v_lshl_add_u64 v[30:31], v[12:13], 3, s[8:9]
	v_add_nc_u32_e32 v12, -14, v10
	s_delay_alu instid0(VALU_DEP_1) | instskip(SKIP_1) | instid1(VALU_DEP_1)
	v_lshl_add_u64 v[34:35], v[12:13], 3, s[8:9]
	v_add_nc_u32_e32 v12, -12, v10
	v_lshl_add_u64 v[38:39], v[12:13], 3, s[8:9]
	v_add_nc_u32_e32 v12, -10, v10
	s_delay_alu instid0(VALU_DEP_1) | instskip(SKIP_1) | instid1(VALU_DEP_1)
	v_lshl_add_u64 v[42:43], v[12:13], 3, s[8:9]
	v_add_nc_u32_e32 v12, -8, v10
	;; [unrolled: 5-line block ×3, first 2 shown]
	v_lshl_add_u64 v[54:55], v[12:13], 3, s[8:9]
	v_add_nc_u32_e32 v12, -2, v10
	s_delay_alu instid0(VALU_DEP_1) | instskip(SKIP_2) | instid1(VALU_DEP_1)
	v_lshl_add_u64 v[58:59], v[12:13], 3, s[8:9]
	s_wait_loadcnt 0x0
	v_subrev_nc_u32_e32 v11, s12, v11
	v_mul_lo_u32 v17, v11, 11
	global_load_b128 v[18:21], v[22:23], off
	global_load_b64 v[62:63], v17, s[10:11] scale_offset
	v_add_nc_u32_e32 v11, 1, v17
	global_load_b128 v[22:25], v[26:27], off
	global_load_b64 v[64:65], v11, s[10:11] scale_offset
	s_wait_xcnt 0x0
	v_add_nc_u32_e32 v11, 2, v17
	global_load_b128 v[26:29], v[30:31], off
	global_load_b64 v[66:67], v11, s[10:11] scale_offset
	s_wait_xcnt 0x0
	;; [unrolled: 4-line block ×9, first 2 shown]
	v_mov_b32_e32 v11, v13
	s_delay_alu instid0(VALU_DEP_1)
	v_lshl_add_u64 v[82:83], v[10:11], 3, s[8:9]
	v_add_nc_u32_e32 v11, 10, v17
	v_add_nc_u32_e32 v10, 0x58, v10
	global_load_b128 v[58:61], v[82:83], off
	global_load_b64 v[84:85], v11, s[10:11] scale_offset
	s_wait_loadcnt 0x14
	v_fmac_f64_e32 v[0:1], v[18:19], v[62:63]
	v_fmac_f64_e32 v[8:9], v[20:21], v[62:63]
	s_wait_loadcnt 0x12
	s_delay_alu instid0(VALU_DEP_2) | instskip(NEXT) | instid1(VALU_DEP_2)
	v_fmac_f64_e32 v[0:1], v[22:23], v[64:65]
	v_fmac_f64_e32 v[8:9], v[24:25], v[64:65]
	s_wait_loadcnt 0x10
	s_delay_alu instid0(VALU_DEP_2) | instskip(NEXT) | instid1(VALU_DEP_2)
	v_fmac_f64_e32 v[0:1], v[26:27], v[66:67]
	v_fmac_f64_e32 v[8:9], v[28:29], v[66:67]
	s_wait_loadcnt 0xe
	s_delay_alu instid0(VALU_DEP_2) | instskip(NEXT) | instid1(VALU_DEP_2)
	v_fmac_f64_e32 v[0:1], v[30:31], v[68:69]
	v_fmac_f64_e32 v[8:9], v[32:33], v[68:69]
	s_wait_loadcnt 0xc
	s_delay_alu instid0(VALU_DEP_2) | instskip(NEXT) | instid1(VALU_DEP_2)
	v_fmac_f64_e32 v[0:1], v[34:35], v[70:71]
	v_fmac_f64_e32 v[8:9], v[36:37], v[70:71]
	s_wait_loadcnt 0xa
	s_delay_alu instid0(VALU_DEP_2) | instskip(NEXT) | instid1(VALU_DEP_2)
	v_fmac_f64_e32 v[0:1], v[38:39], v[72:73]
	v_fmac_f64_e32 v[8:9], v[40:41], v[72:73]
	s_wait_loadcnt 0x8
	s_delay_alu instid0(VALU_DEP_2) | instskip(NEXT) | instid1(VALU_DEP_2)
	v_fmac_f64_e32 v[0:1], v[42:43], v[74:75]
	v_fmac_f64_e32 v[8:9], v[44:45], v[74:75]
	s_wait_loadcnt 0x6
	s_delay_alu instid0(VALU_DEP_2) | instskip(NEXT) | instid1(VALU_DEP_2)
	v_fmac_f64_e32 v[0:1], v[46:47], v[76:77]
	v_fmac_f64_e32 v[8:9], v[48:49], v[76:77]
	s_wait_loadcnt 0x4
	s_delay_alu instid0(VALU_DEP_2) | instskip(NEXT) | instid1(VALU_DEP_2)
	v_fmac_f64_e32 v[0:1], v[50:51], v[78:79]
	v_fmac_f64_e32 v[8:9], v[52:53], v[78:79]
	s_wait_loadcnt 0x2
	s_delay_alu instid0(VALU_DEP_2) | instskip(NEXT) | instid1(VALU_DEP_2)
	v_fmac_f64_e32 v[0:1], v[54:55], v[80:81]
	v_fmac_f64_e32 v[8:9], v[56:57], v[80:81]
	s_wait_loadcnt 0x0
	s_delay_alu instid0(VALU_DEP_2) | instskip(NEXT) | instid1(VALU_DEP_2)
	v_fmac_f64_e32 v[0:1], v[58:59], v[84:85]
	v_fmac_f64_e32 v[8:9], v[60:61], v[84:85]
	s_and_not1_b32 exec_lo, exec_lo, s4
	s_cbranch_execnz .LBB121_9
; %bb.10:
	s_or_b32 exec_lo, exec_lo, s4
.LBB121_11:
	s_delay_alu instid0(SALU_CYCLE_1)
	s_or_b32 exec_lo, exec_lo, s3
	s_cbranch_execz .LBB121_13
	s_branch .LBB121_18
.LBB121_12:
                                        ; implicit-def: $vgpr0_vgpr1
                                        ; implicit-def: $vgpr8_vgpr9
.LBB121_13:
	v_mov_b64_e32 v[0:1], 0
	v_mov_b64_e32 v[8:9], 0
	s_and_saveexec_b32 s3, s2
	s_cbranch_execz .LBB121_17
; %bb.14:
	v_mad_u32 v12, v15, 22, 21
	v_mov_b64_e32 v[0:1], 0
	v_mov_b64_e32 v[8:9], 0
	v_mov_b32_e32 v11, 0
	s_mov_b32 s2, 0
.LBB121_15:                             ; =>This Inner Loop Header: Depth=1
	global_load_b32 v10, v15, s[6:7] scale_offset
	s_wait_xcnt 0x0
	v_dual_add_nc_u32 v26, -10, v12 :: v_dual_add_nc_u32 v15, 4, v15
	v_dual_add_nc_u32 v34, -8, v12 :: v_dual_add_nc_u32 v40, -7, v12
	v_dual_add_nc_u32 v46, -6, v12 :: v_dual_add_nc_u32 v58, -4, v12
	s_delay_alu instid0(VALU_DEP_3) | instskip(SKIP_4) | instid1(VALU_DEP_1)
	v_cmp_ge_i32_e32 vcc_lo, v15, v14
	v_add_nc_u32_e32 v70, -2, v12
	s_or_b32 s2, vcc_lo, s2
	s_wait_loadcnt 0x0
	v_subrev_nc_u32_e32 v10, s12, v10
	v_mul_lo_u32 v13, v10, 11
	v_subrev_nc_u32_e32 v10, 21, v12
	v_dual_add_nc_u32 v52, -5, v12 :: v_dual_add_nc_u32 v64, -3, v12
	v_add_nc_u32_e32 v76, -1, v12
	s_delay_alu instid0(VALU_DEP_3)
	v_lshl_add_u64 v[20:21], v[10:11], 3, s[8:9]
	v_add_nc_u32_e32 v10, -9, v12
	s_clause 0x1
	global_load_b128 v[16:19], v[20:21], off
	global_load_b64 v[22:23], v26, s[8:9] scale_offset
	global_load_b64 v[24:25], v13, s[10:11] scale_offset
	v_add_nc_u32_e32 v28, 1, v13
	global_load_b64 v[20:21], v10, s[8:9] scale_offset
	global_load_b64 v[26:27], v28, s[10:11] scale_offset
	s_wait_xcnt 0x1
	v_subrev_nc_u32_e32 v10, 19, v12
	v_add_nc_u32_e32 v35, 2, v13
	s_clause 0x1
	global_load_b64 v[28:29], v10, s[8:9] scale_offset
	global_load_b64 v[30:31], v34, s[8:9] scale_offset
	global_load_b64 v[32:33], v35, s[10:11] scale_offset
	s_wait_xcnt 0x2
	v_subrev_nc_u32_e32 v10, 18, v12
	v_add_nc_u32_e32 v41, 3, v13
	s_clause 0x1
	global_load_b64 v[34:35], v10, s[8:9] scale_offset
	;; [unrolled: 7-line block ×3, first 2 shown]
	global_load_b64 v[42:43], v46, s[8:9] scale_offset
	global_load_b64 v[44:45], v47, s[10:11] scale_offset
	s_wait_xcnt 0x2
	v_dual_add_nc_u32 v10, -16, v12 :: v_dual_add_nc_u32 v53, 5, v13
	s_clause 0x1
	global_load_b64 v[46:47], v10, s[8:9] scale_offset
	global_load_b64 v[48:49], v52, s[8:9] scale_offset
	global_load_b64 v[50:51], v53, s[10:11] scale_offset
	s_wait_xcnt 0x2
	v_dual_add_nc_u32 v10, -15, v12 :: v_dual_add_nc_u32 v59, 6, v13
	s_clause 0x1
	global_load_b64 v[52:53], v10, s[8:9] scale_offset
	;; [unrolled: 6-line block ×6, first 2 shown]
	global_load_b64 v[78:79], v10, s[8:9] scale_offset
	global_load_b64 v[80:81], v13, s[10:11] scale_offset
	s_wait_xcnt 0x2
	v_add_nc_u32_e32 v12, 0x58, v12
	s_wait_loadcnt 0x1d
	v_fmac_f64_e32 v[0:1], v[16:17], v[24:25]
	v_fmac_f64_e32 v[8:9], v[22:23], v[24:25]
	s_wait_loadcnt 0x1b
	s_delay_alu instid0(VALU_DEP_2) | instskip(NEXT) | instid1(VALU_DEP_2)
	v_fmac_f64_e32 v[0:1], v[18:19], v[26:27]
	v_fmac_f64_e32 v[8:9], v[20:21], v[26:27]
	s_wait_loadcnt 0x18
	s_delay_alu instid0(VALU_DEP_2) | instskip(NEXT) | instid1(VALU_DEP_2)
	;; [unrolled: 4-line block ×10, first 2 shown]
	v_fmac_f64_e32 v[0:1], v[78:79], v[80:81]
	v_fmac_f64_e32 v[8:9], v[76:77], v[80:81]
	s_and_not1_b32 exec_lo, exec_lo, s2
	s_cbranch_execnz .LBB121_15
; %bb.16:
	s_or_b32 exec_lo, exec_lo, s2
.LBB121_17:
	s_delay_alu instid0(SALU_CYCLE_1)
	s_or_b32 exec_lo, exec_lo, s3
.LBB121_18:
	v_mbcnt_lo_u32_b32 v14, -1, 0
	s_delay_alu instid0(VALU_DEP_1) | instskip(NEXT) | instid1(VALU_DEP_1)
	v_xor_b32_e32 v10, 2, v14
	v_cmp_gt_i32_e32 vcc_lo, 32, v10
	v_cndmask_b32_e32 v10, v14, v10, vcc_lo
	s_delay_alu instid0(VALU_DEP_1)
	v_lshlrev_b32_e32 v13, 2, v10
	ds_bpermute_b32 v10, v13, v0
	ds_bpermute_b32 v11, v13, v1
	ds_bpermute_b32 v12, v13, v8
	ds_bpermute_b32 v13, v13, v9
	s_wait_dscnt 0x2
	v_add_f64_e32 v[0:1], v[0:1], v[10:11]
	s_wait_dscnt 0x0
	v_dual_add_f64 v[10:11], v[8:9], v[12:13] :: v_dual_bitop2_b32 v8, 1, v14 bitop3:0x14
	s_delay_alu instid0(VALU_DEP_1) | instskip(SKIP_2) | instid1(VALU_DEP_2)
	v_cmp_gt_i32_e32 vcc_lo, 32, v8
	v_cndmask_b32_e32 v8, v14, v8, vcc_lo
	v_cmp_eq_u32_e32 vcc_lo, 3, v7
	v_lshlrev_b32_e32 v13, 2, v8
	ds_bpermute_b32 v8, v13, v0
	ds_bpermute_b32 v9, v13, v1
	;; [unrolled: 1-line block ×4, first 2 shown]
	s_and_b32 exec_lo, exec_lo, vcc_lo
	s_cbranch_execz .LBB121_23
; %bb.19:
	s_wait_dscnt 0x2
	v_add_f64_e32 v[8:9], v[0:1], v[8:9]
	s_wait_dscnt 0x0
	v_add_f64_e32 v[0:1], v[10:11], v[12:13]
	s_load_b64 s[0:1], s[0:1], 0x38
	s_mov_b32 s2, exec_lo
	v_cmpx_eq_f64_e32 0, v[4:5]
	s_xor_b32 s2, exec_lo, s2
	s_cbranch_execz .LBB121_21
; %bb.20:
	s_delay_alu instid0(VALU_DEP_3) | instskip(NEXT) | instid1(VALU_DEP_3)
	v_mul_f64_e32 v[8:9], v[2:3], v[8:9]
	v_dual_mul_f64 v[10:11], v[2:3], v[0:1] :: v_dual_lshlrev_b32 v0, 1, v6
                                        ; implicit-def: $vgpr6
                                        ; implicit-def: $vgpr2_vgpr3
                                        ; implicit-def: $vgpr4_vgpr5
	s_delay_alu instid0(VALU_DEP_1) | instskip(SKIP_1) | instid1(VALU_DEP_1)
	v_ashrrev_i32_e32 v1, 31, v0
	s_wait_kmcnt 0x0
	v_lshl_add_u64 v[0:1], v[0:1], 3, s[0:1]
	global_store_b128 v[0:1], v[8:11], off
                                        ; implicit-def: $vgpr8_vgpr9
                                        ; implicit-def: $vgpr0_vgpr1
.LBB121_21:
	s_wait_xcnt 0x0
	s_and_not1_saveexec_b32 s2, s2
	s_cbranch_execz .LBB121_23
; %bb.22:
	v_lshlrev_b32_e32 v6, 1, v6
	s_delay_alu instid0(VALU_DEP_1) | instskip(SKIP_1) | instid1(VALU_DEP_1)
	v_ashrrev_i32_e32 v7, 31, v6
	s_wait_kmcnt 0x0
	v_lshl_add_u64 v[14:15], v[6:7], 3, s[0:1]
	v_mul_f64_e32 v[6:7], v[2:3], v[8:9]
	v_mul_f64_e32 v[8:9], v[2:3], v[0:1]
	global_load_b128 v[10:13], v[14:15], off
	s_wait_loadcnt 0x0
	v_fmac_f64_e32 v[6:7], v[4:5], v[10:11]
	v_fmac_f64_e32 v[8:9], v[4:5], v[12:13]
	global_store_b128 v[14:15], v[6:9], off
.LBB121_23:
	s_sendmsg sendmsg(MSG_DEALLOC_VGPRS)
	s_endpgm
	.section	.rodata,"a",@progbits
	.p2align	6, 0x0
	.amdhsa_kernel _ZN9rocsparseL19gebsrmvn_2xn_kernelILj128ELj11ELj4EdEEvi20rocsparse_direction_NS_24const_host_device_scalarIT2_EEPKiS6_PKS3_S8_S4_PS3_21rocsparse_index_base_b
		.amdhsa_group_segment_fixed_size 0
		.amdhsa_private_segment_fixed_size 0
		.amdhsa_kernarg_size 72
		.amdhsa_user_sgpr_count 2
		.amdhsa_user_sgpr_dispatch_ptr 0
		.amdhsa_user_sgpr_queue_ptr 0
		.amdhsa_user_sgpr_kernarg_segment_ptr 1
		.amdhsa_user_sgpr_dispatch_id 0
		.amdhsa_user_sgpr_kernarg_preload_length 0
		.amdhsa_user_sgpr_kernarg_preload_offset 0
		.amdhsa_user_sgpr_private_segment_size 0
		.amdhsa_wavefront_size32 1
		.amdhsa_uses_dynamic_stack 0
		.amdhsa_enable_private_segment 0
		.amdhsa_system_sgpr_workgroup_id_x 1
		.amdhsa_system_sgpr_workgroup_id_y 0
		.amdhsa_system_sgpr_workgroup_id_z 0
		.amdhsa_system_sgpr_workgroup_info 0
		.amdhsa_system_vgpr_workitem_id 0
		.amdhsa_next_free_vgpr 86
		.amdhsa_next_free_sgpr 14
		.amdhsa_named_barrier_count 0
		.amdhsa_reserve_vcc 1
		.amdhsa_float_round_mode_32 0
		.amdhsa_float_round_mode_16_64 0
		.amdhsa_float_denorm_mode_32 3
		.amdhsa_float_denorm_mode_16_64 3
		.amdhsa_fp16_overflow 0
		.amdhsa_memory_ordered 1
		.amdhsa_forward_progress 1
		.amdhsa_inst_pref_size 19
		.amdhsa_round_robin_scheduling 0
		.amdhsa_exception_fp_ieee_invalid_op 0
		.amdhsa_exception_fp_denorm_src 0
		.amdhsa_exception_fp_ieee_div_zero 0
		.amdhsa_exception_fp_ieee_overflow 0
		.amdhsa_exception_fp_ieee_underflow 0
		.amdhsa_exception_fp_ieee_inexact 0
		.amdhsa_exception_int_div_zero 0
	.end_amdhsa_kernel
	.section	.text._ZN9rocsparseL19gebsrmvn_2xn_kernelILj128ELj11ELj4EdEEvi20rocsparse_direction_NS_24const_host_device_scalarIT2_EEPKiS6_PKS3_S8_S4_PS3_21rocsparse_index_base_b,"axG",@progbits,_ZN9rocsparseL19gebsrmvn_2xn_kernelILj128ELj11ELj4EdEEvi20rocsparse_direction_NS_24const_host_device_scalarIT2_EEPKiS6_PKS3_S8_S4_PS3_21rocsparse_index_base_b,comdat
.Lfunc_end121:
	.size	_ZN9rocsparseL19gebsrmvn_2xn_kernelILj128ELj11ELj4EdEEvi20rocsparse_direction_NS_24const_host_device_scalarIT2_EEPKiS6_PKS3_S8_S4_PS3_21rocsparse_index_base_b, .Lfunc_end121-_ZN9rocsparseL19gebsrmvn_2xn_kernelILj128ELj11ELj4EdEEvi20rocsparse_direction_NS_24const_host_device_scalarIT2_EEPKiS6_PKS3_S8_S4_PS3_21rocsparse_index_base_b
                                        ; -- End function
	.set _ZN9rocsparseL19gebsrmvn_2xn_kernelILj128ELj11ELj4EdEEvi20rocsparse_direction_NS_24const_host_device_scalarIT2_EEPKiS6_PKS3_S8_S4_PS3_21rocsparse_index_base_b.num_vgpr, 86
	.set _ZN9rocsparseL19gebsrmvn_2xn_kernelILj128ELj11ELj4EdEEvi20rocsparse_direction_NS_24const_host_device_scalarIT2_EEPKiS6_PKS3_S8_S4_PS3_21rocsparse_index_base_b.num_agpr, 0
	.set _ZN9rocsparseL19gebsrmvn_2xn_kernelILj128ELj11ELj4EdEEvi20rocsparse_direction_NS_24const_host_device_scalarIT2_EEPKiS6_PKS3_S8_S4_PS3_21rocsparse_index_base_b.numbered_sgpr, 14
	.set _ZN9rocsparseL19gebsrmvn_2xn_kernelILj128ELj11ELj4EdEEvi20rocsparse_direction_NS_24const_host_device_scalarIT2_EEPKiS6_PKS3_S8_S4_PS3_21rocsparse_index_base_b.num_named_barrier, 0
	.set _ZN9rocsparseL19gebsrmvn_2xn_kernelILj128ELj11ELj4EdEEvi20rocsparse_direction_NS_24const_host_device_scalarIT2_EEPKiS6_PKS3_S8_S4_PS3_21rocsparse_index_base_b.private_seg_size, 0
	.set _ZN9rocsparseL19gebsrmvn_2xn_kernelILj128ELj11ELj4EdEEvi20rocsparse_direction_NS_24const_host_device_scalarIT2_EEPKiS6_PKS3_S8_S4_PS3_21rocsparse_index_base_b.uses_vcc, 1
	.set _ZN9rocsparseL19gebsrmvn_2xn_kernelILj128ELj11ELj4EdEEvi20rocsparse_direction_NS_24const_host_device_scalarIT2_EEPKiS6_PKS3_S8_S4_PS3_21rocsparse_index_base_b.uses_flat_scratch, 0
	.set _ZN9rocsparseL19gebsrmvn_2xn_kernelILj128ELj11ELj4EdEEvi20rocsparse_direction_NS_24const_host_device_scalarIT2_EEPKiS6_PKS3_S8_S4_PS3_21rocsparse_index_base_b.has_dyn_sized_stack, 0
	.set _ZN9rocsparseL19gebsrmvn_2xn_kernelILj128ELj11ELj4EdEEvi20rocsparse_direction_NS_24const_host_device_scalarIT2_EEPKiS6_PKS3_S8_S4_PS3_21rocsparse_index_base_b.has_recursion, 0
	.set _ZN9rocsparseL19gebsrmvn_2xn_kernelILj128ELj11ELj4EdEEvi20rocsparse_direction_NS_24const_host_device_scalarIT2_EEPKiS6_PKS3_S8_S4_PS3_21rocsparse_index_base_b.has_indirect_call, 0
	.section	.AMDGPU.csdata,"",@progbits
; Kernel info:
; codeLenInByte = 2348
; TotalNumSgprs: 16
; NumVgprs: 86
; ScratchSize: 0
; MemoryBound: 0
; FloatMode: 240
; IeeeMode: 1
; LDSByteSize: 0 bytes/workgroup (compile time only)
; SGPRBlocks: 0
; VGPRBlocks: 5
; NumSGPRsForWavesPerEU: 16
; NumVGPRsForWavesPerEU: 86
; NamedBarCnt: 0
; Occupancy: 10
; WaveLimiterHint : 1
; COMPUTE_PGM_RSRC2:SCRATCH_EN: 0
; COMPUTE_PGM_RSRC2:USER_SGPR: 2
; COMPUTE_PGM_RSRC2:TRAP_HANDLER: 0
; COMPUTE_PGM_RSRC2:TGID_X_EN: 1
; COMPUTE_PGM_RSRC2:TGID_Y_EN: 0
; COMPUTE_PGM_RSRC2:TGID_Z_EN: 0
; COMPUTE_PGM_RSRC2:TIDIG_COMP_CNT: 0
	.section	.text._ZN9rocsparseL19gebsrmvn_2xn_kernelILj128ELj11ELj8EdEEvi20rocsparse_direction_NS_24const_host_device_scalarIT2_EEPKiS6_PKS3_S8_S4_PS3_21rocsparse_index_base_b,"axG",@progbits,_ZN9rocsparseL19gebsrmvn_2xn_kernelILj128ELj11ELj8EdEEvi20rocsparse_direction_NS_24const_host_device_scalarIT2_EEPKiS6_PKS3_S8_S4_PS3_21rocsparse_index_base_b,comdat
	.globl	_ZN9rocsparseL19gebsrmvn_2xn_kernelILj128ELj11ELj8EdEEvi20rocsparse_direction_NS_24const_host_device_scalarIT2_EEPKiS6_PKS3_S8_S4_PS3_21rocsparse_index_base_b ; -- Begin function _ZN9rocsparseL19gebsrmvn_2xn_kernelILj128ELj11ELj8EdEEvi20rocsparse_direction_NS_24const_host_device_scalarIT2_EEPKiS6_PKS3_S8_S4_PS3_21rocsparse_index_base_b
	.p2align	8
	.type	_ZN9rocsparseL19gebsrmvn_2xn_kernelILj128ELj11ELj8EdEEvi20rocsparse_direction_NS_24const_host_device_scalarIT2_EEPKiS6_PKS3_S8_S4_PS3_21rocsparse_index_base_b,@function
_ZN9rocsparseL19gebsrmvn_2xn_kernelILj128ELj11ELj8EdEEvi20rocsparse_direction_NS_24const_host_device_scalarIT2_EEPKiS6_PKS3_S8_S4_PS3_21rocsparse_index_base_b: ; @_ZN9rocsparseL19gebsrmvn_2xn_kernelILj128ELj11ELj8EdEEvi20rocsparse_direction_NS_24const_host_device_scalarIT2_EEPKiS6_PKS3_S8_S4_PS3_21rocsparse_index_base_b
; %bb.0:
	s_clause 0x2
	s_load_b64 s[12:13], s[0:1], 0x40
	s_load_b64 s[4:5], s[0:1], 0x8
	;; [unrolled: 1-line block ×3, first 2 shown]
	s_wait_kmcnt 0x0
	s_bitcmp1_b32 s13, 0
	v_mov_b64_e32 v[2:3], s[4:5]
	s_cselect_b32 s6, -1, 0
	s_delay_alu instid0(SALU_CYCLE_1)
	s_and_b32 vcc_lo, exec_lo, s6
	s_xor_b32 s6, s6, -1
	s_cbranch_vccnz .LBB122_2
; %bb.1:
	v_mov_b32_e32 v1, 0
	flat_load_b64 v[2:3], v1, s[4:5]
.LBB122_2:
	v_mov_b64_e32 v[4:5], s[2:3]
	s_and_not1_b32 vcc_lo, exec_lo, s6
	s_cbranch_vccnz .LBB122_4
; %bb.3:
	s_wait_xcnt 0x0
	v_mov_b32_e32 v1, 0
	flat_load_b64 v[4:5], v1, s[2:3]
.LBB122_4:
	s_wait_loadcnt_dscnt 0x0
	v_cmp_neq_f64_e32 vcc_lo, 0, v[2:3]
	s_delay_alu instid0(VALU_DEP_2) | instskip(SKIP_1) | instid1(SALU_CYCLE_1)
	v_cmp_neq_f64_e64 s2, 1.0, v[4:5]
	s_or_b32 s2, vcc_lo, s2
	s_and_saveexec_b32 s3, s2
	s_cbranch_execz .LBB122_23
; %bb.5:
	s_load_b64 s[2:3], s[0:1], 0x0
	s_bfe_u32 s4, ttmp6, 0x4000c
	s_and_b32 s5, ttmp6, 15
	s_add_co_i32 s4, s4, 1
	s_getreg_b32 s6, hwreg(HW_REG_IB_STS2, 6, 4)
	s_mul_i32 s4, ttmp9, s4
	v_lshrrev_b32_e32 v1, 3, v0
	s_add_co_i32 s5, s5, s4
	s_cmp_eq_u32 s6, 0
	s_cselect_b32 s4, ttmp9, s5
	s_delay_alu instid0(VALU_DEP_1) | instid1(SALU_CYCLE_1)
	v_lshl_or_b32 v6, s4, 4, v1
	s_wait_kmcnt 0x0
	s_delay_alu instid0(VALU_DEP_1)
	v_cmp_gt_i32_e32 vcc_lo, s2, v6
	s_and_b32 exec_lo, exec_lo, vcc_lo
	s_cbranch_execz .LBB122_23
; %bb.6:
	s_load_b256 s[4:11], s[0:1], 0x10
	v_ashrrev_i32_e32 v7, 31, v6
	s_cmp_lg_u32 s3, 0
	s_wait_kmcnt 0x0
	s_delay_alu instid0(VALU_DEP_1)
	v_lshl_add_u64 v[8:9], v[6:7], 2, s[4:5]
	v_and_b32_e32 v7, 7, v0
	global_load_b64 v[8:9], v[8:9], off
	s_wait_loadcnt 0x0
	v_subrev_nc_u32_e32 v0, s12, v8
	v_subrev_nc_u32_e32 v14, s12, v9
	s_delay_alu instid0(VALU_DEP_2) | instskip(NEXT) | instid1(VALU_DEP_1)
	v_add_nc_u32_e32 v15, v0, v7
	v_cmp_lt_i32_e64 s2, v15, v14
	s_cbranch_scc0 .LBB122_12
; %bb.7:
	v_mov_b64_e32 v[0:1], 0
	v_mov_b64_e32 v[8:9], 0
	s_and_saveexec_b32 s3, s2
	s_cbranch_execz .LBB122_11
; %bb.8:
	v_mad_u32 v10, v15, 22, 20
	v_mov_b64_e32 v[0:1], 0
	v_mov_b64_e32 v[8:9], 0
	v_dual_mov_b32 v13, 0 :: v_dual_mov_b32 v16, v15
	s_mov_b32 s4, 0
.LBB122_9:                              ; =>This Inner Loop Header: Depth=1
	global_load_b32 v11, v16, s[6:7] scale_offset
	v_subrev_nc_u32_e32 v12, 20, v10
	s_wait_xcnt 0x0
	v_add_nc_u32_e32 v16, 8, v16
	s_delay_alu instid0(VALU_DEP_2) | instskip(SKIP_1) | instid1(VALU_DEP_3)
	v_lshl_add_u64 v[22:23], v[12:13], 3, s[8:9]
	v_subrev_nc_u32_e32 v12, 18, v10
	v_cmp_ge_i32_e32 vcc_lo, v16, v14
	s_delay_alu instid0(VALU_DEP_2) | instskip(SKIP_2) | instid1(VALU_DEP_1)
	v_lshl_add_u64 v[26:27], v[12:13], 3, s[8:9]
	v_add_nc_u32_e32 v12, -16, v10
	s_or_b32 s4, vcc_lo, s4
	v_lshl_add_u64 v[30:31], v[12:13], 3, s[8:9]
	v_add_nc_u32_e32 v12, -14, v10
	s_delay_alu instid0(VALU_DEP_1) | instskip(SKIP_1) | instid1(VALU_DEP_1)
	v_lshl_add_u64 v[34:35], v[12:13], 3, s[8:9]
	v_add_nc_u32_e32 v12, -12, v10
	v_lshl_add_u64 v[38:39], v[12:13], 3, s[8:9]
	v_add_nc_u32_e32 v12, -10, v10
	s_delay_alu instid0(VALU_DEP_1) | instskip(SKIP_1) | instid1(VALU_DEP_1)
	v_lshl_add_u64 v[42:43], v[12:13], 3, s[8:9]
	v_add_nc_u32_e32 v12, -8, v10
	;; [unrolled: 5-line block ×3, first 2 shown]
	v_lshl_add_u64 v[54:55], v[12:13], 3, s[8:9]
	v_add_nc_u32_e32 v12, -2, v10
	s_delay_alu instid0(VALU_DEP_1) | instskip(SKIP_2) | instid1(VALU_DEP_1)
	v_lshl_add_u64 v[58:59], v[12:13], 3, s[8:9]
	s_wait_loadcnt 0x0
	v_subrev_nc_u32_e32 v11, s12, v11
	v_mul_lo_u32 v17, v11, 11
	global_load_b128 v[18:21], v[22:23], off
	global_load_b64 v[62:63], v17, s[10:11] scale_offset
	v_add_nc_u32_e32 v11, 1, v17
	global_load_b128 v[22:25], v[26:27], off
	global_load_b64 v[64:65], v11, s[10:11] scale_offset
	s_wait_xcnt 0x0
	v_add_nc_u32_e32 v11, 2, v17
	global_load_b128 v[26:29], v[30:31], off
	global_load_b64 v[66:67], v11, s[10:11] scale_offset
	s_wait_xcnt 0x0
	;; [unrolled: 4-line block ×9, first 2 shown]
	v_mov_b32_e32 v11, v13
	s_delay_alu instid0(VALU_DEP_1)
	v_lshl_add_u64 v[82:83], v[10:11], 3, s[8:9]
	v_add_nc_u32_e32 v11, 10, v17
	v_add_nc_u32_e32 v10, 0xb0, v10
	global_load_b128 v[58:61], v[82:83], off
	global_load_b64 v[84:85], v11, s[10:11] scale_offset
	s_wait_loadcnt 0x14
	v_fmac_f64_e32 v[0:1], v[18:19], v[62:63]
	v_fmac_f64_e32 v[8:9], v[20:21], v[62:63]
	s_wait_loadcnt 0x12
	s_delay_alu instid0(VALU_DEP_2) | instskip(NEXT) | instid1(VALU_DEP_2)
	v_fmac_f64_e32 v[0:1], v[22:23], v[64:65]
	v_fmac_f64_e32 v[8:9], v[24:25], v[64:65]
	s_wait_loadcnt 0x10
	s_delay_alu instid0(VALU_DEP_2) | instskip(NEXT) | instid1(VALU_DEP_2)
	;; [unrolled: 4-line block ×10, first 2 shown]
	v_fmac_f64_e32 v[0:1], v[58:59], v[84:85]
	v_fmac_f64_e32 v[8:9], v[60:61], v[84:85]
	s_and_not1_b32 exec_lo, exec_lo, s4
	s_cbranch_execnz .LBB122_9
; %bb.10:
	s_or_b32 exec_lo, exec_lo, s4
.LBB122_11:
	s_delay_alu instid0(SALU_CYCLE_1)
	s_or_b32 exec_lo, exec_lo, s3
	s_cbranch_execz .LBB122_13
	s_branch .LBB122_18
.LBB122_12:
                                        ; implicit-def: $vgpr0_vgpr1
                                        ; implicit-def: $vgpr8_vgpr9
.LBB122_13:
	v_mov_b64_e32 v[0:1], 0
	v_mov_b64_e32 v[8:9], 0
	s_and_saveexec_b32 s3, s2
	s_cbranch_execz .LBB122_17
; %bb.14:
	v_mad_u32 v12, v15, 22, 21
	v_mov_b64_e32 v[0:1], 0
	v_mov_b64_e32 v[8:9], 0
	v_mov_b32_e32 v11, 0
	s_mov_b32 s2, 0
.LBB122_15:                             ; =>This Inner Loop Header: Depth=1
	global_load_b32 v10, v15, s[6:7] scale_offset
	s_wait_xcnt 0x0
	v_dual_add_nc_u32 v26, -10, v12 :: v_dual_add_nc_u32 v15, 8, v15
	v_dual_add_nc_u32 v34, -8, v12 :: v_dual_add_nc_u32 v40, -7, v12
	v_dual_add_nc_u32 v46, -6, v12 :: v_dual_add_nc_u32 v58, -4, v12
	s_delay_alu instid0(VALU_DEP_3) | instskip(SKIP_4) | instid1(VALU_DEP_1)
	v_cmp_ge_i32_e32 vcc_lo, v15, v14
	v_add_nc_u32_e32 v70, -2, v12
	s_or_b32 s2, vcc_lo, s2
	s_wait_loadcnt 0x0
	v_subrev_nc_u32_e32 v10, s12, v10
	v_mul_lo_u32 v13, v10, 11
	v_subrev_nc_u32_e32 v10, 21, v12
	v_dual_add_nc_u32 v52, -5, v12 :: v_dual_add_nc_u32 v64, -3, v12
	v_add_nc_u32_e32 v76, -1, v12
	s_delay_alu instid0(VALU_DEP_3)
	v_lshl_add_u64 v[20:21], v[10:11], 3, s[8:9]
	v_add_nc_u32_e32 v10, -9, v12
	s_clause 0x1
	global_load_b128 v[16:19], v[20:21], off
	global_load_b64 v[22:23], v26, s[8:9] scale_offset
	global_load_b64 v[24:25], v13, s[10:11] scale_offset
	v_add_nc_u32_e32 v28, 1, v13
	global_load_b64 v[20:21], v10, s[8:9] scale_offset
	global_load_b64 v[26:27], v28, s[10:11] scale_offset
	s_wait_xcnt 0x1
	v_subrev_nc_u32_e32 v10, 19, v12
	v_add_nc_u32_e32 v35, 2, v13
	s_clause 0x1
	global_load_b64 v[28:29], v10, s[8:9] scale_offset
	global_load_b64 v[30:31], v34, s[8:9] scale_offset
	global_load_b64 v[32:33], v35, s[10:11] scale_offset
	s_wait_xcnt 0x2
	v_subrev_nc_u32_e32 v10, 18, v12
	v_add_nc_u32_e32 v41, 3, v13
	s_clause 0x1
	global_load_b64 v[34:35], v10, s[8:9] scale_offset
	;; [unrolled: 7-line block ×3, first 2 shown]
	global_load_b64 v[42:43], v46, s[8:9] scale_offset
	global_load_b64 v[44:45], v47, s[10:11] scale_offset
	s_wait_xcnt 0x2
	v_dual_add_nc_u32 v10, -16, v12 :: v_dual_add_nc_u32 v53, 5, v13
	s_clause 0x1
	global_load_b64 v[46:47], v10, s[8:9] scale_offset
	global_load_b64 v[48:49], v52, s[8:9] scale_offset
	global_load_b64 v[50:51], v53, s[10:11] scale_offset
	s_wait_xcnt 0x2
	v_dual_add_nc_u32 v10, -15, v12 :: v_dual_add_nc_u32 v59, 6, v13
	s_clause 0x1
	global_load_b64 v[52:53], v10, s[8:9] scale_offset
	;; [unrolled: 6-line block ×6, first 2 shown]
	global_load_b64 v[78:79], v10, s[8:9] scale_offset
	global_load_b64 v[80:81], v13, s[10:11] scale_offset
	s_wait_xcnt 0x2
	v_add_nc_u32_e32 v12, 0xb0, v12
	s_wait_loadcnt 0x1d
	v_fmac_f64_e32 v[0:1], v[16:17], v[24:25]
	v_fmac_f64_e32 v[8:9], v[22:23], v[24:25]
	s_wait_loadcnt 0x1b
	s_delay_alu instid0(VALU_DEP_2) | instskip(NEXT) | instid1(VALU_DEP_2)
	v_fmac_f64_e32 v[0:1], v[18:19], v[26:27]
	v_fmac_f64_e32 v[8:9], v[20:21], v[26:27]
	s_wait_loadcnt 0x18
	s_delay_alu instid0(VALU_DEP_2) | instskip(NEXT) | instid1(VALU_DEP_2)
	;; [unrolled: 4-line block ×10, first 2 shown]
	v_fmac_f64_e32 v[0:1], v[78:79], v[80:81]
	v_fmac_f64_e32 v[8:9], v[76:77], v[80:81]
	s_and_not1_b32 exec_lo, exec_lo, s2
	s_cbranch_execnz .LBB122_15
; %bb.16:
	s_or_b32 exec_lo, exec_lo, s2
.LBB122_17:
	s_delay_alu instid0(SALU_CYCLE_1)
	s_or_b32 exec_lo, exec_lo, s3
.LBB122_18:
	v_mbcnt_lo_u32_b32 v14, -1, 0
	s_delay_alu instid0(VALU_DEP_1) | instskip(NEXT) | instid1(VALU_DEP_1)
	v_xor_b32_e32 v10, 4, v14
	v_cmp_gt_i32_e32 vcc_lo, 32, v10
	v_cndmask_b32_e32 v10, v14, v10, vcc_lo
	s_delay_alu instid0(VALU_DEP_1)
	v_lshlrev_b32_e32 v13, 2, v10
	ds_bpermute_b32 v10, v13, v0
	ds_bpermute_b32 v11, v13, v1
	s_wait_dscnt 0x0
	v_add_f64_e32 v[0:1], v[0:1], v[10:11]
	v_xor_b32_e32 v10, 2, v14
	s_delay_alu instid0(VALU_DEP_1)
	v_cmp_gt_i32_e32 vcc_lo, 32, v10
	v_cndmask_b32_e32 v10, v14, v10, vcc_lo
	ds_bpermute_b32 v12, v13, v8
	ds_bpermute_b32 v13, v13, v9
	s_wait_dscnt 0x0
	v_dual_add_f64 v[8:9], v[8:9], v[12:13] :: v_dual_lshlrev_b32 v13, 2, v10
	ds_bpermute_b32 v10, v13, v0
	ds_bpermute_b32 v11, v13, v1
	s_wait_dscnt 0x0
	v_add_f64_e32 v[0:1], v[0:1], v[10:11]
	ds_bpermute_b32 v12, v13, v8
	ds_bpermute_b32 v13, v13, v9
	s_wait_dscnt 0x0
	v_dual_add_f64 v[10:11], v[8:9], v[12:13] :: v_dual_bitop2_b32 v8, 1, v14 bitop3:0x14
	s_delay_alu instid0(VALU_DEP_1) | instskip(SKIP_2) | instid1(VALU_DEP_2)
	v_cmp_gt_i32_e32 vcc_lo, 32, v8
	v_cndmask_b32_e32 v8, v14, v8, vcc_lo
	v_cmp_eq_u32_e32 vcc_lo, 7, v7
	v_lshlrev_b32_e32 v13, 2, v8
	ds_bpermute_b32 v8, v13, v0
	ds_bpermute_b32 v9, v13, v1
	;; [unrolled: 1-line block ×4, first 2 shown]
	s_and_b32 exec_lo, exec_lo, vcc_lo
	s_cbranch_execz .LBB122_23
; %bb.19:
	s_wait_dscnt 0x2
	v_add_f64_e32 v[8:9], v[0:1], v[8:9]
	s_wait_dscnt 0x0
	v_add_f64_e32 v[0:1], v[10:11], v[12:13]
	s_load_b64 s[0:1], s[0:1], 0x38
	s_mov_b32 s2, exec_lo
	v_cmpx_eq_f64_e32 0, v[4:5]
	s_xor_b32 s2, exec_lo, s2
	s_cbranch_execz .LBB122_21
; %bb.20:
	s_delay_alu instid0(VALU_DEP_3) | instskip(NEXT) | instid1(VALU_DEP_3)
	v_mul_f64_e32 v[8:9], v[2:3], v[8:9]
	v_dual_mul_f64 v[10:11], v[2:3], v[0:1] :: v_dual_lshlrev_b32 v0, 1, v6
                                        ; implicit-def: $vgpr6
                                        ; implicit-def: $vgpr2_vgpr3
                                        ; implicit-def: $vgpr4_vgpr5
	s_delay_alu instid0(VALU_DEP_1) | instskip(SKIP_1) | instid1(VALU_DEP_1)
	v_ashrrev_i32_e32 v1, 31, v0
	s_wait_kmcnt 0x0
	v_lshl_add_u64 v[0:1], v[0:1], 3, s[0:1]
	global_store_b128 v[0:1], v[8:11], off
                                        ; implicit-def: $vgpr8_vgpr9
                                        ; implicit-def: $vgpr0_vgpr1
.LBB122_21:
	s_wait_xcnt 0x0
	s_and_not1_saveexec_b32 s2, s2
	s_cbranch_execz .LBB122_23
; %bb.22:
	v_lshlrev_b32_e32 v6, 1, v6
	s_delay_alu instid0(VALU_DEP_1) | instskip(SKIP_1) | instid1(VALU_DEP_1)
	v_ashrrev_i32_e32 v7, 31, v6
	s_wait_kmcnt 0x0
	v_lshl_add_u64 v[14:15], v[6:7], 3, s[0:1]
	v_mul_f64_e32 v[6:7], v[2:3], v[8:9]
	v_mul_f64_e32 v[8:9], v[2:3], v[0:1]
	global_load_b128 v[10:13], v[14:15], off
	s_wait_loadcnt 0x0
	v_fmac_f64_e32 v[6:7], v[4:5], v[10:11]
	v_fmac_f64_e32 v[8:9], v[4:5], v[12:13]
	global_store_b128 v[14:15], v[6:9], off
.LBB122_23:
	s_sendmsg sendmsg(MSG_DEALLOC_VGPRS)
	s_endpgm
	.section	.rodata,"a",@progbits
	.p2align	6, 0x0
	.amdhsa_kernel _ZN9rocsparseL19gebsrmvn_2xn_kernelILj128ELj11ELj8EdEEvi20rocsparse_direction_NS_24const_host_device_scalarIT2_EEPKiS6_PKS3_S8_S4_PS3_21rocsparse_index_base_b
		.amdhsa_group_segment_fixed_size 0
		.amdhsa_private_segment_fixed_size 0
		.amdhsa_kernarg_size 72
		.amdhsa_user_sgpr_count 2
		.amdhsa_user_sgpr_dispatch_ptr 0
		.amdhsa_user_sgpr_queue_ptr 0
		.amdhsa_user_sgpr_kernarg_segment_ptr 1
		.amdhsa_user_sgpr_dispatch_id 0
		.amdhsa_user_sgpr_kernarg_preload_length 0
		.amdhsa_user_sgpr_kernarg_preload_offset 0
		.amdhsa_user_sgpr_private_segment_size 0
		.amdhsa_wavefront_size32 1
		.amdhsa_uses_dynamic_stack 0
		.amdhsa_enable_private_segment 0
		.amdhsa_system_sgpr_workgroup_id_x 1
		.amdhsa_system_sgpr_workgroup_id_y 0
		.amdhsa_system_sgpr_workgroup_id_z 0
		.amdhsa_system_sgpr_workgroup_info 0
		.amdhsa_system_vgpr_workitem_id 0
		.amdhsa_next_free_vgpr 86
		.amdhsa_next_free_sgpr 14
		.amdhsa_named_barrier_count 0
		.amdhsa_reserve_vcc 1
		.amdhsa_float_round_mode_32 0
		.amdhsa_float_round_mode_16_64 0
		.amdhsa_float_denorm_mode_32 3
		.amdhsa_float_denorm_mode_16_64 3
		.amdhsa_fp16_overflow 0
		.amdhsa_memory_ordered 1
		.amdhsa_forward_progress 1
		.amdhsa_inst_pref_size 19
		.amdhsa_round_robin_scheduling 0
		.amdhsa_exception_fp_ieee_invalid_op 0
		.amdhsa_exception_fp_denorm_src 0
		.amdhsa_exception_fp_ieee_div_zero 0
		.amdhsa_exception_fp_ieee_overflow 0
		.amdhsa_exception_fp_ieee_underflow 0
		.amdhsa_exception_fp_ieee_inexact 0
		.amdhsa_exception_int_div_zero 0
	.end_amdhsa_kernel
	.section	.text._ZN9rocsparseL19gebsrmvn_2xn_kernelILj128ELj11ELj8EdEEvi20rocsparse_direction_NS_24const_host_device_scalarIT2_EEPKiS6_PKS3_S8_S4_PS3_21rocsparse_index_base_b,"axG",@progbits,_ZN9rocsparseL19gebsrmvn_2xn_kernelILj128ELj11ELj8EdEEvi20rocsparse_direction_NS_24const_host_device_scalarIT2_EEPKiS6_PKS3_S8_S4_PS3_21rocsparse_index_base_b,comdat
.Lfunc_end122:
	.size	_ZN9rocsparseL19gebsrmvn_2xn_kernelILj128ELj11ELj8EdEEvi20rocsparse_direction_NS_24const_host_device_scalarIT2_EEPKiS6_PKS3_S8_S4_PS3_21rocsparse_index_base_b, .Lfunc_end122-_ZN9rocsparseL19gebsrmvn_2xn_kernelILj128ELj11ELj8EdEEvi20rocsparse_direction_NS_24const_host_device_scalarIT2_EEPKiS6_PKS3_S8_S4_PS3_21rocsparse_index_base_b
                                        ; -- End function
	.set _ZN9rocsparseL19gebsrmvn_2xn_kernelILj128ELj11ELj8EdEEvi20rocsparse_direction_NS_24const_host_device_scalarIT2_EEPKiS6_PKS3_S8_S4_PS3_21rocsparse_index_base_b.num_vgpr, 86
	.set _ZN9rocsparseL19gebsrmvn_2xn_kernelILj128ELj11ELj8EdEEvi20rocsparse_direction_NS_24const_host_device_scalarIT2_EEPKiS6_PKS3_S8_S4_PS3_21rocsparse_index_base_b.num_agpr, 0
	.set _ZN9rocsparseL19gebsrmvn_2xn_kernelILj128ELj11ELj8EdEEvi20rocsparse_direction_NS_24const_host_device_scalarIT2_EEPKiS6_PKS3_S8_S4_PS3_21rocsparse_index_base_b.numbered_sgpr, 14
	.set _ZN9rocsparseL19gebsrmvn_2xn_kernelILj128ELj11ELj8EdEEvi20rocsparse_direction_NS_24const_host_device_scalarIT2_EEPKiS6_PKS3_S8_S4_PS3_21rocsparse_index_base_b.num_named_barrier, 0
	.set _ZN9rocsparseL19gebsrmvn_2xn_kernelILj128ELj11ELj8EdEEvi20rocsparse_direction_NS_24const_host_device_scalarIT2_EEPKiS6_PKS3_S8_S4_PS3_21rocsparse_index_base_b.private_seg_size, 0
	.set _ZN9rocsparseL19gebsrmvn_2xn_kernelILj128ELj11ELj8EdEEvi20rocsparse_direction_NS_24const_host_device_scalarIT2_EEPKiS6_PKS3_S8_S4_PS3_21rocsparse_index_base_b.uses_vcc, 1
	.set _ZN9rocsparseL19gebsrmvn_2xn_kernelILj128ELj11ELj8EdEEvi20rocsparse_direction_NS_24const_host_device_scalarIT2_EEPKiS6_PKS3_S8_S4_PS3_21rocsparse_index_base_b.uses_flat_scratch, 0
	.set _ZN9rocsparseL19gebsrmvn_2xn_kernelILj128ELj11ELj8EdEEvi20rocsparse_direction_NS_24const_host_device_scalarIT2_EEPKiS6_PKS3_S8_S4_PS3_21rocsparse_index_base_b.has_dyn_sized_stack, 0
	.set _ZN9rocsparseL19gebsrmvn_2xn_kernelILj128ELj11ELj8EdEEvi20rocsparse_direction_NS_24const_host_device_scalarIT2_EEPKiS6_PKS3_S8_S4_PS3_21rocsparse_index_base_b.has_recursion, 0
	.set _ZN9rocsparseL19gebsrmvn_2xn_kernelILj128ELj11ELj8EdEEvi20rocsparse_direction_NS_24const_host_device_scalarIT2_EEPKiS6_PKS3_S8_S4_PS3_21rocsparse_index_base_b.has_indirect_call, 0
	.section	.AMDGPU.csdata,"",@progbits
; Kernel info:
; codeLenInByte = 2420
; TotalNumSgprs: 16
; NumVgprs: 86
; ScratchSize: 0
; MemoryBound: 0
; FloatMode: 240
; IeeeMode: 1
; LDSByteSize: 0 bytes/workgroup (compile time only)
; SGPRBlocks: 0
; VGPRBlocks: 5
; NumSGPRsForWavesPerEU: 16
; NumVGPRsForWavesPerEU: 86
; NamedBarCnt: 0
; Occupancy: 10
; WaveLimiterHint : 1
; COMPUTE_PGM_RSRC2:SCRATCH_EN: 0
; COMPUTE_PGM_RSRC2:USER_SGPR: 2
; COMPUTE_PGM_RSRC2:TRAP_HANDLER: 0
; COMPUTE_PGM_RSRC2:TGID_X_EN: 1
; COMPUTE_PGM_RSRC2:TGID_Y_EN: 0
; COMPUTE_PGM_RSRC2:TGID_Z_EN: 0
; COMPUTE_PGM_RSRC2:TIDIG_COMP_CNT: 0
	.section	.text._ZN9rocsparseL19gebsrmvn_2xn_kernelILj128ELj11ELj16EdEEvi20rocsparse_direction_NS_24const_host_device_scalarIT2_EEPKiS6_PKS3_S8_S4_PS3_21rocsparse_index_base_b,"axG",@progbits,_ZN9rocsparseL19gebsrmvn_2xn_kernelILj128ELj11ELj16EdEEvi20rocsparse_direction_NS_24const_host_device_scalarIT2_EEPKiS6_PKS3_S8_S4_PS3_21rocsparse_index_base_b,comdat
	.globl	_ZN9rocsparseL19gebsrmvn_2xn_kernelILj128ELj11ELj16EdEEvi20rocsparse_direction_NS_24const_host_device_scalarIT2_EEPKiS6_PKS3_S8_S4_PS3_21rocsparse_index_base_b ; -- Begin function _ZN9rocsparseL19gebsrmvn_2xn_kernelILj128ELj11ELj16EdEEvi20rocsparse_direction_NS_24const_host_device_scalarIT2_EEPKiS6_PKS3_S8_S4_PS3_21rocsparse_index_base_b
	.p2align	8
	.type	_ZN9rocsparseL19gebsrmvn_2xn_kernelILj128ELj11ELj16EdEEvi20rocsparse_direction_NS_24const_host_device_scalarIT2_EEPKiS6_PKS3_S8_S4_PS3_21rocsparse_index_base_b,@function
_ZN9rocsparseL19gebsrmvn_2xn_kernelILj128ELj11ELj16EdEEvi20rocsparse_direction_NS_24const_host_device_scalarIT2_EEPKiS6_PKS3_S8_S4_PS3_21rocsparse_index_base_b: ; @_ZN9rocsparseL19gebsrmvn_2xn_kernelILj128ELj11ELj16EdEEvi20rocsparse_direction_NS_24const_host_device_scalarIT2_EEPKiS6_PKS3_S8_S4_PS3_21rocsparse_index_base_b
; %bb.0:
	s_clause 0x2
	s_load_b64 s[12:13], s[0:1], 0x40
	s_load_b64 s[4:5], s[0:1], 0x8
	;; [unrolled: 1-line block ×3, first 2 shown]
	s_wait_kmcnt 0x0
	s_bitcmp1_b32 s13, 0
	v_mov_b64_e32 v[2:3], s[4:5]
	s_cselect_b32 s6, -1, 0
	s_delay_alu instid0(SALU_CYCLE_1)
	s_and_b32 vcc_lo, exec_lo, s6
	s_xor_b32 s6, s6, -1
	s_cbranch_vccnz .LBB123_2
; %bb.1:
	v_mov_b32_e32 v1, 0
	flat_load_b64 v[2:3], v1, s[4:5]
.LBB123_2:
	v_mov_b64_e32 v[4:5], s[2:3]
	s_and_not1_b32 vcc_lo, exec_lo, s6
	s_cbranch_vccnz .LBB123_4
; %bb.3:
	s_wait_xcnt 0x0
	v_mov_b32_e32 v1, 0
	flat_load_b64 v[4:5], v1, s[2:3]
.LBB123_4:
	s_wait_loadcnt_dscnt 0x0
	v_cmp_neq_f64_e32 vcc_lo, 0, v[2:3]
	s_delay_alu instid0(VALU_DEP_2) | instskip(SKIP_1) | instid1(SALU_CYCLE_1)
	v_cmp_neq_f64_e64 s2, 1.0, v[4:5]
	s_or_b32 s2, vcc_lo, s2
	s_and_saveexec_b32 s3, s2
	s_cbranch_execz .LBB123_23
; %bb.5:
	s_load_b64 s[2:3], s[0:1], 0x0
	s_bfe_u32 s4, ttmp6, 0x4000c
	s_and_b32 s5, ttmp6, 15
	s_add_co_i32 s4, s4, 1
	s_getreg_b32 s6, hwreg(HW_REG_IB_STS2, 6, 4)
	s_mul_i32 s4, ttmp9, s4
	v_lshrrev_b32_e32 v1, 4, v0
	s_add_co_i32 s5, s5, s4
	s_cmp_eq_u32 s6, 0
	s_cselect_b32 s4, ttmp9, s5
	s_delay_alu instid0(VALU_DEP_1) | instid1(SALU_CYCLE_1)
	v_lshl_or_b32 v6, s4, 3, v1
	s_wait_kmcnt 0x0
	s_delay_alu instid0(VALU_DEP_1)
	v_cmp_gt_i32_e32 vcc_lo, s2, v6
	s_and_b32 exec_lo, exec_lo, vcc_lo
	s_cbranch_execz .LBB123_23
; %bb.6:
	s_load_b256 s[4:11], s[0:1], 0x10
	v_ashrrev_i32_e32 v7, 31, v6
	s_cmp_lg_u32 s3, 0
	s_wait_kmcnt 0x0
	s_delay_alu instid0(VALU_DEP_1)
	v_lshl_add_u64 v[8:9], v[6:7], 2, s[4:5]
	v_and_b32_e32 v7, 15, v0
	global_load_b64 v[8:9], v[8:9], off
	s_wait_loadcnt 0x0
	v_subrev_nc_u32_e32 v0, s12, v8
	v_subrev_nc_u32_e32 v14, s12, v9
	s_delay_alu instid0(VALU_DEP_2) | instskip(NEXT) | instid1(VALU_DEP_1)
	v_add_nc_u32_e32 v15, v0, v7
	v_cmp_lt_i32_e64 s2, v15, v14
	s_cbranch_scc0 .LBB123_12
; %bb.7:
	v_mov_b64_e32 v[0:1], 0
	v_mov_b64_e32 v[8:9], 0
	s_and_saveexec_b32 s3, s2
	s_cbranch_execz .LBB123_11
; %bb.8:
	v_mad_u32 v10, v15, 22, 20
	v_mov_b64_e32 v[0:1], 0
	v_mov_b64_e32 v[8:9], 0
	v_dual_mov_b32 v13, 0 :: v_dual_mov_b32 v16, v15
	s_mov_b32 s4, 0
.LBB123_9:                              ; =>This Inner Loop Header: Depth=1
	global_load_b32 v11, v16, s[6:7] scale_offset
	v_subrev_nc_u32_e32 v12, 20, v10
	s_wait_xcnt 0x0
	v_add_nc_u32_e32 v16, 16, v16
	s_delay_alu instid0(VALU_DEP_2) | instskip(SKIP_1) | instid1(VALU_DEP_3)
	v_lshl_add_u64 v[22:23], v[12:13], 3, s[8:9]
	v_subrev_nc_u32_e32 v12, 18, v10
	v_cmp_ge_i32_e32 vcc_lo, v16, v14
	s_delay_alu instid0(VALU_DEP_2) | instskip(SKIP_2) | instid1(VALU_DEP_1)
	v_lshl_add_u64 v[26:27], v[12:13], 3, s[8:9]
	v_add_nc_u32_e32 v12, -16, v10
	s_or_b32 s4, vcc_lo, s4
	v_lshl_add_u64 v[30:31], v[12:13], 3, s[8:9]
	v_add_nc_u32_e32 v12, -14, v10
	s_delay_alu instid0(VALU_DEP_1) | instskip(SKIP_1) | instid1(VALU_DEP_1)
	v_lshl_add_u64 v[34:35], v[12:13], 3, s[8:9]
	v_add_nc_u32_e32 v12, -12, v10
	v_lshl_add_u64 v[38:39], v[12:13], 3, s[8:9]
	v_add_nc_u32_e32 v12, -10, v10
	s_delay_alu instid0(VALU_DEP_1) | instskip(SKIP_1) | instid1(VALU_DEP_1)
	v_lshl_add_u64 v[42:43], v[12:13], 3, s[8:9]
	v_add_nc_u32_e32 v12, -8, v10
	;; [unrolled: 5-line block ×3, first 2 shown]
	v_lshl_add_u64 v[54:55], v[12:13], 3, s[8:9]
	v_add_nc_u32_e32 v12, -2, v10
	s_delay_alu instid0(VALU_DEP_1) | instskip(SKIP_2) | instid1(VALU_DEP_1)
	v_lshl_add_u64 v[58:59], v[12:13], 3, s[8:9]
	s_wait_loadcnt 0x0
	v_subrev_nc_u32_e32 v11, s12, v11
	v_mul_lo_u32 v17, v11, 11
	global_load_b128 v[18:21], v[22:23], off
	global_load_b64 v[62:63], v17, s[10:11] scale_offset
	v_add_nc_u32_e32 v11, 1, v17
	global_load_b128 v[22:25], v[26:27], off
	global_load_b64 v[64:65], v11, s[10:11] scale_offset
	s_wait_xcnt 0x0
	v_add_nc_u32_e32 v11, 2, v17
	global_load_b128 v[26:29], v[30:31], off
	global_load_b64 v[66:67], v11, s[10:11] scale_offset
	s_wait_xcnt 0x0
	;; [unrolled: 4-line block ×9, first 2 shown]
	v_mov_b32_e32 v11, v13
	s_delay_alu instid0(VALU_DEP_1)
	v_lshl_add_u64 v[82:83], v[10:11], 3, s[8:9]
	v_add_nc_u32_e32 v11, 10, v17
	v_add_nc_u32_e32 v10, 0x160, v10
	global_load_b128 v[58:61], v[82:83], off
	global_load_b64 v[84:85], v11, s[10:11] scale_offset
	s_wait_loadcnt 0x14
	v_fmac_f64_e32 v[0:1], v[18:19], v[62:63]
	v_fmac_f64_e32 v[8:9], v[20:21], v[62:63]
	s_wait_loadcnt 0x12
	s_delay_alu instid0(VALU_DEP_2) | instskip(NEXT) | instid1(VALU_DEP_2)
	v_fmac_f64_e32 v[0:1], v[22:23], v[64:65]
	v_fmac_f64_e32 v[8:9], v[24:25], v[64:65]
	s_wait_loadcnt 0x10
	s_delay_alu instid0(VALU_DEP_2) | instskip(NEXT) | instid1(VALU_DEP_2)
	;; [unrolled: 4-line block ×10, first 2 shown]
	v_fmac_f64_e32 v[0:1], v[58:59], v[84:85]
	v_fmac_f64_e32 v[8:9], v[60:61], v[84:85]
	s_and_not1_b32 exec_lo, exec_lo, s4
	s_cbranch_execnz .LBB123_9
; %bb.10:
	s_or_b32 exec_lo, exec_lo, s4
.LBB123_11:
	s_delay_alu instid0(SALU_CYCLE_1)
	s_or_b32 exec_lo, exec_lo, s3
	s_cbranch_execz .LBB123_13
	s_branch .LBB123_18
.LBB123_12:
                                        ; implicit-def: $vgpr0_vgpr1
                                        ; implicit-def: $vgpr8_vgpr9
.LBB123_13:
	v_mov_b64_e32 v[0:1], 0
	v_mov_b64_e32 v[8:9], 0
	s_and_saveexec_b32 s3, s2
	s_cbranch_execz .LBB123_17
; %bb.14:
	v_mad_u32 v12, v15, 22, 21
	v_mov_b64_e32 v[0:1], 0
	v_mov_b64_e32 v[8:9], 0
	v_mov_b32_e32 v11, 0
	s_mov_b32 s2, 0
.LBB123_15:                             ; =>This Inner Loop Header: Depth=1
	global_load_b32 v10, v15, s[6:7] scale_offset
	s_wait_xcnt 0x0
	v_dual_add_nc_u32 v26, -10, v12 :: v_dual_add_nc_u32 v15, 16, v15
	v_dual_add_nc_u32 v34, -8, v12 :: v_dual_add_nc_u32 v40, -7, v12
	v_dual_add_nc_u32 v46, -6, v12 :: v_dual_add_nc_u32 v58, -4, v12
	s_delay_alu instid0(VALU_DEP_3) | instskip(SKIP_4) | instid1(VALU_DEP_1)
	v_cmp_ge_i32_e32 vcc_lo, v15, v14
	v_add_nc_u32_e32 v70, -2, v12
	s_or_b32 s2, vcc_lo, s2
	s_wait_loadcnt 0x0
	v_subrev_nc_u32_e32 v10, s12, v10
	v_mul_lo_u32 v13, v10, 11
	v_subrev_nc_u32_e32 v10, 21, v12
	v_dual_add_nc_u32 v52, -5, v12 :: v_dual_add_nc_u32 v64, -3, v12
	v_add_nc_u32_e32 v76, -1, v12
	s_delay_alu instid0(VALU_DEP_3)
	v_lshl_add_u64 v[20:21], v[10:11], 3, s[8:9]
	v_add_nc_u32_e32 v10, -9, v12
	s_clause 0x1
	global_load_b128 v[16:19], v[20:21], off
	global_load_b64 v[22:23], v26, s[8:9] scale_offset
	global_load_b64 v[24:25], v13, s[10:11] scale_offset
	v_add_nc_u32_e32 v28, 1, v13
	global_load_b64 v[20:21], v10, s[8:9] scale_offset
	global_load_b64 v[26:27], v28, s[10:11] scale_offset
	s_wait_xcnt 0x1
	v_subrev_nc_u32_e32 v10, 19, v12
	v_add_nc_u32_e32 v35, 2, v13
	s_clause 0x1
	global_load_b64 v[28:29], v10, s[8:9] scale_offset
	global_load_b64 v[30:31], v34, s[8:9] scale_offset
	global_load_b64 v[32:33], v35, s[10:11] scale_offset
	s_wait_xcnt 0x2
	v_subrev_nc_u32_e32 v10, 18, v12
	v_add_nc_u32_e32 v41, 3, v13
	s_clause 0x1
	global_load_b64 v[34:35], v10, s[8:9] scale_offset
	;; [unrolled: 7-line block ×3, first 2 shown]
	global_load_b64 v[42:43], v46, s[8:9] scale_offset
	global_load_b64 v[44:45], v47, s[10:11] scale_offset
	s_wait_xcnt 0x2
	v_dual_add_nc_u32 v10, -16, v12 :: v_dual_add_nc_u32 v53, 5, v13
	s_clause 0x1
	global_load_b64 v[46:47], v10, s[8:9] scale_offset
	global_load_b64 v[48:49], v52, s[8:9] scale_offset
	global_load_b64 v[50:51], v53, s[10:11] scale_offset
	s_wait_xcnt 0x2
	v_dual_add_nc_u32 v10, -15, v12 :: v_dual_add_nc_u32 v59, 6, v13
	s_clause 0x1
	global_load_b64 v[52:53], v10, s[8:9] scale_offset
	global_load_b64 v[54:55], v58, s[8:9] scale_offset
	global_load_b64 v[56:57], v59, s[10:11] scale_offset
	s_wait_xcnt 0x2
	v_dual_add_nc_u32 v10, -14, v12 :: v_dual_add_nc_u32 v65, 7, v13
	s_clause 0x1
	global_load_b64 v[58:59], v10, s[8:9] scale_offset
	global_load_b64 v[60:61], v64, s[8:9] scale_offset
	global_load_b64 v[62:63], v65, s[10:11] scale_offset
	s_wait_xcnt 0x2
	v_dual_add_nc_u32 v10, -13, v12 :: v_dual_add_nc_u32 v71, 8, v13
	s_clause 0x1
	global_load_b64 v[64:65], v10, s[8:9] scale_offset
	global_load_b64 v[66:67], v70, s[8:9] scale_offset
	global_load_b64 v[68:69], v71, s[10:11] scale_offset
	s_wait_xcnt 0x2
	v_dual_add_nc_u32 v10, -12, v12 :: v_dual_add_nc_u32 v77, 9, v13
	s_clause 0x1
	global_load_b64 v[70:71], v10, s[8:9] scale_offset
	global_load_b64 v[72:73], v76, s[8:9] scale_offset
	global_load_b64 v[74:75], v77, s[10:11] scale_offset
	s_wait_xcnt 0x2
	v_dual_add_nc_u32 v10, -11, v12 :: v_dual_add_nc_u32 v13, 10, v13
	s_clause 0x1
	global_load_b64 v[76:77], v12, s[8:9] scale_offset
	global_load_b64 v[78:79], v10, s[8:9] scale_offset
	global_load_b64 v[80:81], v13, s[10:11] scale_offset
	s_wait_xcnt 0x2
	v_add_nc_u32_e32 v12, 0x160, v12
	s_wait_loadcnt 0x1d
	v_fmac_f64_e32 v[0:1], v[16:17], v[24:25]
	v_fmac_f64_e32 v[8:9], v[22:23], v[24:25]
	s_wait_loadcnt 0x1b
	s_delay_alu instid0(VALU_DEP_2) | instskip(NEXT) | instid1(VALU_DEP_2)
	v_fmac_f64_e32 v[0:1], v[18:19], v[26:27]
	v_fmac_f64_e32 v[8:9], v[20:21], v[26:27]
	s_wait_loadcnt 0x18
	s_delay_alu instid0(VALU_DEP_2) | instskip(NEXT) | instid1(VALU_DEP_2)
	;; [unrolled: 4-line block ×10, first 2 shown]
	v_fmac_f64_e32 v[0:1], v[78:79], v[80:81]
	v_fmac_f64_e32 v[8:9], v[76:77], v[80:81]
	s_and_not1_b32 exec_lo, exec_lo, s2
	s_cbranch_execnz .LBB123_15
; %bb.16:
	s_or_b32 exec_lo, exec_lo, s2
.LBB123_17:
	s_delay_alu instid0(SALU_CYCLE_1)
	s_or_b32 exec_lo, exec_lo, s3
.LBB123_18:
	v_mbcnt_lo_u32_b32 v14, -1, 0
	s_delay_alu instid0(VALU_DEP_1) | instskip(NEXT) | instid1(VALU_DEP_1)
	v_xor_b32_e32 v10, 8, v14
	v_cmp_gt_i32_e32 vcc_lo, 32, v10
	v_cndmask_b32_e32 v10, v14, v10, vcc_lo
	s_delay_alu instid0(VALU_DEP_1)
	v_lshlrev_b32_e32 v13, 2, v10
	ds_bpermute_b32 v10, v13, v0
	ds_bpermute_b32 v11, v13, v1
	s_wait_dscnt 0x0
	v_add_f64_e32 v[0:1], v[0:1], v[10:11]
	v_xor_b32_e32 v10, 4, v14
	s_delay_alu instid0(VALU_DEP_1)
	v_cmp_gt_i32_e32 vcc_lo, 32, v10
	v_cndmask_b32_e32 v10, v14, v10, vcc_lo
	ds_bpermute_b32 v12, v13, v8
	ds_bpermute_b32 v13, v13, v9
	s_wait_dscnt 0x0
	v_dual_add_f64 v[8:9], v[8:9], v[12:13] :: v_dual_lshlrev_b32 v13, 2, v10
	ds_bpermute_b32 v10, v13, v0
	ds_bpermute_b32 v11, v13, v1
	s_wait_dscnt 0x0
	v_add_f64_e32 v[0:1], v[0:1], v[10:11]
	v_xor_b32_e32 v10, 2, v14
	s_delay_alu instid0(VALU_DEP_1)
	v_cmp_gt_i32_e32 vcc_lo, 32, v10
	v_cndmask_b32_e32 v10, v14, v10, vcc_lo
	ds_bpermute_b32 v12, v13, v8
	ds_bpermute_b32 v13, v13, v9
	s_wait_dscnt 0x0
	v_dual_add_f64 v[8:9], v[8:9], v[12:13] :: v_dual_lshlrev_b32 v13, 2, v10
	ds_bpermute_b32 v10, v13, v0
	ds_bpermute_b32 v11, v13, v1
	s_wait_dscnt 0x0
	v_add_f64_e32 v[0:1], v[0:1], v[10:11]
	ds_bpermute_b32 v12, v13, v8
	ds_bpermute_b32 v13, v13, v9
	s_wait_dscnt 0x0
	v_dual_add_f64 v[10:11], v[8:9], v[12:13] :: v_dual_bitop2_b32 v8, 1, v14 bitop3:0x14
	s_delay_alu instid0(VALU_DEP_1) | instskip(SKIP_2) | instid1(VALU_DEP_2)
	v_cmp_gt_i32_e32 vcc_lo, 32, v8
	v_cndmask_b32_e32 v8, v14, v8, vcc_lo
	v_cmp_eq_u32_e32 vcc_lo, 15, v7
	v_lshlrev_b32_e32 v13, 2, v8
	ds_bpermute_b32 v8, v13, v0
	ds_bpermute_b32 v9, v13, v1
	;; [unrolled: 1-line block ×4, first 2 shown]
	s_and_b32 exec_lo, exec_lo, vcc_lo
	s_cbranch_execz .LBB123_23
; %bb.19:
	s_wait_dscnt 0x2
	v_add_f64_e32 v[8:9], v[0:1], v[8:9]
	s_wait_dscnt 0x0
	v_add_f64_e32 v[0:1], v[10:11], v[12:13]
	s_load_b64 s[0:1], s[0:1], 0x38
	s_mov_b32 s2, exec_lo
	v_cmpx_eq_f64_e32 0, v[4:5]
	s_xor_b32 s2, exec_lo, s2
	s_cbranch_execz .LBB123_21
; %bb.20:
	s_delay_alu instid0(VALU_DEP_3) | instskip(NEXT) | instid1(VALU_DEP_3)
	v_mul_f64_e32 v[8:9], v[2:3], v[8:9]
	v_dual_mul_f64 v[10:11], v[2:3], v[0:1] :: v_dual_lshlrev_b32 v0, 1, v6
                                        ; implicit-def: $vgpr6
                                        ; implicit-def: $vgpr2_vgpr3
                                        ; implicit-def: $vgpr4_vgpr5
	s_delay_alu instid0(VALU_DEP_1) | instskip(SKIP_1) | instid1(VALU_DEP_1)
	v_ashrrev_i32_e32 v1, 31, v0
	s_wait_kmcnt 0x0
	v_lshl_add_u64 v[0:1], v[0:1], 3, s[0:1]
	global_store_b128 v[0:1], v[8:11], off
                                        ; implicit-def: $vgpr8_vgpr9
                                        ; implicit-def: $vgpr0_vgpr1
.LBB123_21:
	s_wait_xcnt 0x0
	s_and_not1_saveexec_b32 s2, s2
	s_cbranch_execz .LBB123_23
; %bb.22:
	v_lshlrev_b32_e32 v6, 1, v6
	s_delay_alu instid0(VALU_DEP_1) | instskip(SKIP_1) | instid1(VALU_DEP_1)
	v_ashrrev_i32_e32 v7, 31, v6
	s_wait_kmcnt 0x0
	v_lshl_add_u64 v[14:15], v[6:7], 3, s[0:1]
	v_mul_f64_e32 v[6:7], v[2:3], v[8:9]
	v_mul_f64_e32 v[8:9], v[2:3], v[0:1]
	global_load_b128 v[10:13], v[14:15], off
	s_wait_loadcnt 0x0
	v_fmac_f64_e32 v[6:7], v[4:5], v[10:11]
	v_fmac_f64_e32 v[8:9], v[4:5], v[12:13]
	global_store_b128 v[14:15], v[6:9], off
.LBB123_23:
	s_sendmsg sendmsg(MSG_DEALLOC_VGPRS)
	s_endpgm
	.section	.rodata,"a",@progbits
	.p2align	6, 0x0
	.amdhsa_kernel _ZN9rocsparseL19gebsrmvn_2xn_kernelILj128ELj11ELj16EdEEvi20rocsparse_direction_NS_24const_host_device_scalarIT2_EEPKiS6_PKS3_S8_S4_PS3_21rocsparse_index_base_b
		.amdhsa_group_segment_fixed_size 0
		.amdhsa_private_segment_fixed_size 0
		.amdhsa_kernarg_size 72
		.amdhsa_user_sgpr_count 2
		.amdhsa_user_sgpr_dispatch_ptr 0
		.amdhsa_user_sgpr_queue_ptr 0
		.amdhsa_user_sgpr_kernarg_segment_ptr 1
		.amdhsa_user_sgpr_dispatch_id 0
		.amdhsa_user_sgpr_kernarg_preload_length 0
		.amdhsa_user_sgpr_kernarg_preload_offset 0
		.amdhsa_user_sgpr_private_segment_size 0
		.amdhsa_wavefront_size32 1
		.amdhsa_uses_dynamic_stack 0
		.amdhsa_enable_private_segment 0
		.amdhsa_system_sgpr_workgroup_id_x 1
		.amdhsa_system_sgpr_workgroup_id_y 0
		.amdhsa_system_sgpr_workgroup_id_z 0
		.amdhsa_system_sgpr_workgroup_info 0
		.amdhsa_system_vgpr_workitem_id 0
		.amdhsa_next_free_vgpr 86
		.amdhsa_next_free_sgpr 14
		.amdhsa_named_barrier_count 0
		.amdhsa_reserve_vcc 1
		.amdhsa_float_round_mode_32 0
		.amdhsa_float_round_mode_16_64 0
		.amdhsa_float_denorm_mode_32 3
		.amdhsa_float_denorm_mode_16_64 3
		.amdhsa_fp16_overflow 0
		.amdhsa_memory_ordered 1
		.amdhsa_forward_progress 1
		.amdhsa_inst_pref_size 20
		.amdhsa_round_robin_scheduling 0
		.amdhsa_exception_fp_ieee_invalid_op 0
		.amdhsa_exception_fp_denorm_src 0
		.amdhsa_exception_fp_ieee_div_zero 0
		.amdhsa_exception_fp_ieee_overflow 0
		.amdhsa_exception_fp_ieee_underflow 0
		.amdhsa_exception_fp_ieee_inexact 0
		.amdhsa_exception_int_div_zero 0
	.end_amdhsa_kernel
	.section	.text._ZN9rocsparseL19gebsrmvn_2xn_kernelILj128ELj11ELj16EdEEvi20rocsparse_direction_NS_24const_host_device_scalarIT2_EEPKiS6_PKS3_S8_S4_PS3_21rocsparse_index_base_b,"axG",@progbits,_ZN9rocsparseL19gebsrmvn_2xn_kernelILj128ELj11ELj16EdEEvi20rocsparse_direction_NS_24const_host_device_scalarIT2_EEPKiS6_PKS3_S8_S4_PS3_21rocsparse_index_base_b,comdat
.Lfunc_end123:
	.size	_ZN9rocsparseL19gebsrmvn_2xn_kernelILj128ELj11ELj16EdEEvi20rocsparse_direction_NS_24const_host_device_scalarIT2_EEPKiS6_PKS3_S8_S4_PS3_21rocsparse_index_base_b, .Lfunc_end123-_ZN9rocsparseL19gebsrmvn_2xn_kernelILj128ELj11ELj16EdEEvi20rocsparse_direction_NS_24const_host_device_scalarIT2_EEPKiS6_PKS3_S8_S4_PS3_21rocsparse_index_base_b
                                        ; -- End function
	.set _ZN9rocsparseL19gebsrmvn_2xn_kernelILj128ELj11ELj16EdEEvi20rocsparse_direction_NS_24const_host_device_scalarIT2_EEPKiS6_PKS3_S8_S4_PS3_21rocsparse_index_base_b.num_vgpr, 86
	.set _ZN9rocsparseL19gebsrmvn_2xn_kernelILj128ELj11ELj16EdEEvi20rocsparse_direction_NS_24const_host_device_scalarIT2_EEPKiS6_PKS3_S8_S4_PS3_21rocsparse_index_base_b.num_agpr, 0
	.set _ZN9rocsparseL19gebsrmvn_2xn_kernelILj128ELj11ELj16EdEEvi20rocsparse_direction_NS_24const_host_device_scalarIT2_EEPKiS6_PKS3_S8_S4_PS3_21rocsparse_index_base_b.numbered_sgpr, 14
	.set _ZN9rocsparseL19gebsrmvn_2xn_kernelILj128ELj11ELj16EdEEvi20rocsparse_direction_NS_24const_host_device_scalarIT2_EEPKiS6_PKS3_S8_S4_PS3_21rocsparse_index_base_b.num_named_barrier, 0
	.set _ZN9rocsparseL19gebsrmvn_2xn_kernelILj128ELj11ELj16EdEEvi20rocsparse_direction_NS_24const_host_device_scalarIT2_EEPKiS6_PKS3_S8_S4_PS3_21rocsparse_index_base_b.private_seg_size, 0
	.set _ZN9rocsparseL19gebsrmvn_2xn_kernelILj128ELj11ELj16EdEEvi20rocsparse_direction_NS_24const_host_device_scalarIT2_EEPKiS6_PKS3_S8_S4_PS3_21rocsparse_index_base_b.uses_vcc, 1
	.set _ZN9rocsparseL19gebsrmvn_2xn_kernelILj128ELj11ELj16EdEEvi20rocsparse_direction_NS_24const_host_device_scalarIT2_EEPKiS6_PKS3_S8_S4_PS3_21rocsparse_index_base_b.uses_flat_scratch, 0
	.set _ZN9rocsparseL19gebsrmvn_2xn_kernelILj128ELj11ELj16EdEEvi20rocsparse_direction_NS_24const_host_device_scalarIT2_EEPKiS6_PKS3_S8_S4_PS3_21rocsparse_index_base_b.has_dyn_sized_stack, 0
	.set _ZN9rocsparseL19gebsrmvn_2xn_kernelILj128ELj11ELj16EdEEvi20rocsparse_direction_NS_24const_host_device_scalarIT2_EEPKiS6_PKS3_S8_S4_PS3_21rocsparse_index_base_b.has_recursion, 0
	.set _ZN9rocsparseL19gebsrmvn_2xn_kernelILj128ELj11ELj16EdEEvi20rocsparse_direction_NS_24const_host_device_scalarIT2_EEPKiS6_PKS3_S8_S4_PS3_21rocsparse_index_base_b.has_indirect_call, 0
	.section	.AMDGPU.csdata,"",@progbits
; Kernel info:
; codeLenInByte = 2492
; TotalNumSgprs: 16
; NumVgprs: 86
; ScratchSize: 0
; MemoryBound: 0
; FloatMode: 240
; IeeeMode: 1
; LDSByteSize: 0 bytes/workgroup (compile time only)
; SGPRBlocks: 0
; VGPRBlocks: 5
; NumSGPRsForWavesPerEU: 16
; NumVGPRsForWavesPerEU: 86
; NamedBarCnt: 0
; Occupancy: 10
; WaveLimiterHint : 1
; COMPUTE_PGM_RSRC2:SCRATCH_EN: 0
; COMPUTE_PGM_RSRC2:USER_SGPR: 2
; COMPUTE_PGM_RSRC2:TRAP_HANDLER: 0
; COMPUTE_PGM_RSRC2:TGID_X_EN: 1
; COMPUTE_PGM_RSRC2:TGID_Y_EN: 0
; COMPUTE_PGM_RSRC2:TGID_Z_EN: 0
; COMPUTE_PGM_RSRC2:TIDIG_COMP_CNT: 0
	.section	.text._ZN9rocsparseL19gebsrmvn_2xn_kernelILj128ELj11ELj32EdEEvi20rocsparse_direction_NS_24const_host_device_scalarIT2_EEPKiS6_PKS3_S8_S4_PS3_21rocsparse_index_base_b,"axG",@progbits,_ZN9rocsparseL19gebsrmvn_2xn_kernelILj128ELj11ELj32EdEEvi20rocsparse_direction_NS_24const_host_device_scalarIT2_EEPKiS6_PKS3_S8_S4_PS3_21rocsparse_index_base_b,comdat
	.globl	_ZN9rocsparseL19gebsrmvn_2xn_kernelILj128ELj11ELj32EdEEvi20rocsparse_direction_NS_24const_host_device_scalarIT2_EEPKiS6_PKS3_S8_S4_PS3_21rocsparse_index_base_b ; -- Begin function _ZN9rocsparseL19gebsrmvn_2xn_kernelILj128ELj11ELj32EdEEvi20rocsparse_direction_NS_24const_host_device_scalarIT2_EEPKiS6_PKS3_S8_S4_PS3_21rocsparse_index_base_b
	.p2align	8
	.type	_ZN9rocsparseL19gebsrmvn_2xn_kernelILj128ELj11ELj32EdEEvi20rocsparse_direction_NS_24const_host_device_scalarIT2_EEPKiS6_PKS3_S8_S4_PS3_21rocsparse_index_base_b,@function
_ZN9rocsparseL19gebsrmvn_2xn_kernelILj128ELj11ELj32EdEEvi20rocsparse_direction_NS_24const_host_device_scalarIT2_EEPKiS6_PKS3_S8_S4_PS3_21rocsparse_index_base_b: ; @_ZN9rocsparseL19gebsrmvn_2xn_kernelILj128ELj11ELj32EdEEvi20rocsparse_direction_NS_24const_host_device_scalarIT2_EEPKiS6_PKS3_S8_S4_PS3_21rocsparse_index_base_b
; %bb.0:
	s_clause 0x2
	s_load_b64 s[12:13], s[0:1], 0x40
	s_load_b64 s[4:5], s[0:1], 0x8
	;; [unrolled: 1-line block ×3, first 2 shown]
	s_wait_kmcnt 0x0
	s_bitcmp1_b32 s13, 0
	v_mov_b64_e32 v[2:3], s[4:5]
	s_cselect_b32 s6, -1, 0
	s_delay_alu instid0(SALU_CYCLE_1)
	s_and_b32 vcc_lo, exec_lo, s6
	s_xor_b32 s6, s6, -1
	s_cbranch_vccnz .LBB124_2
; %bb.1:
	v_mov_b32_e32 v1, 0
	flat_load_b64 v[2:3], v1, s[4:5]
.LBB124_2:
	v_mov_b64_e32 v[4:5], s[2:3]
	s_and_not1_b32 vcc_lo, exec_lo, s6
	s_cbranch_vccnz .LBB124_4
; %bb.3:
	s_wait_xcnt 0x0
	v_mov_b32_e32 v1, 0
	flat_load_b64 v[4:5], v1, s[2:3]
.LBB124_4:
	s_wait_loadcnt_dscnt 0x0
	v_cmp_neq_f64_e32 vcc_lo, 0, v[2:3]
	s_delay_alu instid0(VALU_DEP_2) | instskip(SKIP_1) | instid1(SALU_CYCLE_1)
	v_cmp_neq_f64_e64 s2, 1.0, v[4:5]
	s_or_b32 s2, vcc_lo, s2
	s_and_saveexec_b32 s3, s2
	s_cbranch_execz .LBB124_23
; %bb.5:
	s_load_b64 s[2:3], s[0:1], 0x0
	s_bfe_u32 s4, ttmp6, 0x4000c
	s_and_b32 s5, ttmp6, 15
	s_add_co_i32 s4, s4, 1
	s_getreg_b32 s6, hwreg(HW_REG_IB_STS2, 6, 4)
	s_mul_i32 s4, ttmp9, s4
	v_lshrrev_b32_e32 v1, 5, v0
	s_add_co_i32 s5, s5, s4
	s_cmp_eq_u32 s6, 0
	s_cselect_b32 s4, ttmp9, s5
	s_delay_alu instid0(VALU_DEP_1) | instid1(SALU_CYCLE_1)
	v_lshl_or_b32 v6, s4, 2, v1
	s_wait_kmcnt 0x0
	s_delay_alu instid0(VALU_DEP_1)
	v_cmp_gt_i32_e32 vcc_lo, s2, v6
	s_and_b32 exec_lo, exec_lo, vcc_lo
	s_cbranch_execz .LBB124_23
; %bb.6:
	s_load_b256 s[4:11], s[0:1], 0x10
	v_ashrrev_i32_e32 v7, 31, v6
	s_cmp_lg_u32 s3, 0
	s_wait_kmcnt 0x0
	s_delay_alu instid0(VALU_DEP_1)
	v_lshl_add_u64 v[8:9], v[6:7], 2, s[4:5]
	v_and_b32_e32 v7, 31, v0
	global_load_b64 v[8:9], v[8:9], off
	s_wait_loadcnt 0x0
	v_subrev_nc_u32_e32 v0, s12, v8
	v_subrev_nc_u32_e32 v14, s12, v9
	s_delay_alu instid0(VALU_DEP_2) | instskip(NEXT) | instid1(VALU_DEP_1)
	v_add_nc_u32_e32 v15, v0, v7
	v_cmp_lt_i32_e64 s2, v15, v14
	s_cbranch_scc0 .LBB124_12
; %bb.7:
	v_mov_b64_e32 v[0:1], 0
	v_mov_b64_e32 v[8:9], 0
	s_and_saveexec_b32 s3, s2
	s_cbranch_execz .LBB124_11
; %bb.8:
	v_mad_u32 v10, v15, 22, 20
	v_mov_b64_e32 v[0:1], 0
	v_mov_b64_e32 v[8:9], 0
	v_dual_mov_b32 v13, 0 :: v_dual_mov_b32 v16, v15
	s_mov_b32 s4, 0
.LBB124_9:                              ; =>This Inner Loop Header: Depth=1
	global_load_b32 v11, v16, s[6:7] scale_offset
	v_subrev_nc_u32_e32 v12, 20, v10
	s_wait_xcnt 0x0
	v_add_nc_u32_e32 v16, 32, v16
	s_delay_alu instid0(VALU_DEP_2) | instskip(SKIP_1) | instid1(VALU_DEP_3)
	v_lshl_add_u64 v[22:23], v[12:13], 3, s[8:9]
	v_subrev_nc_u32_e32 v12, 18, v10
	v_cmp_ge_i32_e32 vcc_lo, v16, v14
	s_delay_alu instid0(VALU_DEP_2) | instskip(SKIP_2) | instid1(VALU_DEP_1)
	v_lshl_add_u64 v[26:27], v[12:13], 3, s[8:9]
	v_add_nc_u32_e32 v12, -16, v10
	s_or_b32 s4, vcc_lo, s4
	v_lshl_add_u64 v[30:31], v[12:13], 3, s[8:9]
	v_add_nc_u32_e32 v12, -14, v10
	s_delay_alu instid0(VALU_DEP_1) | instskip(SKIP_1) | instid1(VALU_DEP_1)
	v_lshl_add_u64 v[34:35], v[12:13], 3, s[8:9]
	v_add_nc_u32_e32 v12, -12, v10
	v_lshl_add_u64 v[38:39], v[12:13], 3, s[8:9]
	v_add_nc_u32_e32 v12, -10, v10
	s_delay_alu instid0(VALU_DEP_1) | instskip(SKIP_1) | instid1(VALU_DEP_1)
	v_lshl_add_u64 v[42:43], v[12:13], 3, s[8:9]
	v_add_nc_u32_e32 v12, -8, v10
	;; [unrolled: 5-line block ×3, first 2 shown]
	v_lshl_add_u64 v[54:55], v[12:13], 3, s[8:9]
	v_add_nc_u32_e32 v12, -2, v10
	s_delay_alu instid0(VALU_DEP_1) | instskip(SKIP_2) | instid1(VALU_DEP_1)
	v_lshl_add_u64 v[58:59], v[12:13], 3, s[8:9]
	s_wait_loadcnt 0x0
	v_subrev_nc_u32_e32 v11, s12, v11
	v_mul_lo_u32 v17, v11, 11
	global_load_b128 v[18:21], v[22:23], off
	global_load_b64 v[62:63], v17, s[10:11] scale_offset
	v_add_nc_u32_e32 v11, 1, v17
	global_load_b128 v[22:25], v[26:27], off
	global_load_b64 v[64:65], v11, s[10:11] scale_offset
	s_wait_xcnt 0x0
	v_add_nc_u32_e32 v11, 2, v17
	global_load_b128 v[26:29], v[30:31], off
	global_load_b64 v[66:67], v11, s[10:11] scale_offset
	s_wait_xcnt 0x0
	;; [unrolled: 4-line block ×9, first 2 shown]
	v_mov_b32_e32 v11, v13
	s_delay_alu instid0(VALU_DEP_1)
	v_lshl_add_u64 v[82:83], v[10:11], 3, s[8:9]
	v_add_nc_u32_e32 v11, 10, v17
	v_add_nc_u32_e32 v10, 0x2c0, v10
	global_load_b128 v[58:61], v[82:83], off
	global_load_b64 v[84:85], v11, s[10:11] scale_offset
	s_wait_loadcnt 0x14
	v_fmac_f64_e32 v[0:1], v[18:19], v[62:63]
	v_fmac_f64_e32 v[8:9], v[20:21], v[62:63]
	s_wait_loadcnt 0x12
	s_delay_alu instid0(VALU_DEP_2) | instskip(NEXT) | instid1(VALU_DEP_2)
	v_fmac_f64_e32 v[0:1], v[22:23], v[64:65]
	v_fmac_f64_e32 v[8:9], v[24:25], v[64:65]
	s_wait_loadcnt 0x10
	s_delay_alu instid0(VALU_DEP_2) | instskip(NEXT) | instid1(VALU_DEP_2)
	;; [unrolled: 4-line block ×10, first 2 shown]
	v_fmac_f64_e32 v[0:1], v[58:59], v[84:85]
	v_fmac_f64_e32 v[8:9], v[60:61], v[84:85]
	s_and_not1_b32 exec_lo, exec_lo, s4
	s_cbranch_execnz .LBB124_9
; %bb.10:
	s_or_b32 exec_lo, exec_lo, s4
.LBB124_11:
	s_delay_alu instid0(SALU_CYCLE_1)
	s_or_b32 exec_lo, exec_lo, s3
	s_cbranch_execz .LBB124_13
	s_branch .LBB124_18
.LBB124_12:
                                        ; implicit-def: $vgpr0_vgpr1
                                        ; implicit-def: $vgpr8_vgpr9
.LBB124_13:
	v_mov_b64_e32 v[0:1], 0
	v_mov_b64_e32 v[8:9], 0
	s_and_saveexec_b32 s3, s2
	s_cbranch_execz .LBB124_17
; %bb.14:
	v_mad_u32 v12, v15, 22, 21
	v_mov_b64_e32 v[0:1], 0
	v_mov_b64_e32 v[8:9], 0
	v_mov_b32_e32 v11, 0
	s_mov_b32 s2, 0
.LBB124_15:                             ; =>This Inner Loop Header: Depth=1
	global_load_b32 v10, v15, s[6:7] scale_offset
	s_wait_xcnt 0x0
	v_dual_add_nc_u32 v26, -10, v12 :: v_dual_add_nc_u32 v15, 32, v15
	v_dual_add_nc_u32 v34, -8, v12 :: v_dual_add_nc_u32 v40, -7, v12
	v_dual_add_nc_u32 v46, -6, v12 :: v_dual_add_nc_u32 v58, -4, v12
	s_delay_alu instid0(VALU_DEP_3) | instskip(SKIP_4) | instid1(VALU_DEP_1)
	v_cmp_ge_i32_e32 vcc_lo, v15, v14
	v_add_nc_u32_e32 v70, -2, v12
	s_or_b32 s2, vcc_lo, s2
	s_wait_loadcnt 0x0
	v_subrev_nc_u32_e32 v10, s12, v10
	v_mul_lo_u32 v13, v10, 11
	v_subrev_nc_u32_e32 v10, 21, v12
	v_dual_add_nc_u32 v52, -5, v12 :: v_dual_add_nc_u32 v64, -3, v12
	v_add_nc_u32_e32 v76, -1, v12
	s_delay_alu instid0(VALU_DEP_3)
	v_lshl_add_u64 v[20:21], v[10:11], 3, s[8:9]
	v_add_nc_u32_e32 v10, -9, v12
	s_clause 0x1
	global_load_b128 v[16:19], v[20:21], off
	global_load_b64 v[22:23], v26, s[8:9] scale_offset
	global_load_b64 v[24:25], v13, s[10:11] scale_offset
	v_add_nc_u32_e32 v28, 1, v13
	global_load_b64 v[20:21], v10, s[8:9] scale_offset
	global_load_b64 v[26:27], v28, s[10:11] scale_offset
	s_wait_xcnt 0x1
	v_subrev_nc_u32_e32 v10, 19, v12
	v_add_nc_u32_e32 v35, 2, v13
	s_clause 0x1
	global_load_b64 v[28:29], v10, s[8:9] scale_offset
	global_load_b64 v[30:31], v34, s[8:9] scale_offset
	global_load_b64 v[32:33], v35, s[10:11] scale_offset
	s_wait_xcnt 0x2
	v_subrev_nc_u32_e32 v10, 18, v12
	v_add_nc_u32_e32 v41, 3, v13
	s_clause 0x1
	global_load_b64 v[34:35], v10, s[8:9] scale_offset
	;; [unrolled: 7-line block ×3, first 2 shown]
	global_load_b64 v[42:43], v46, s[8:9] scale_offset
	global_load_b64 v[44:45], v47, s[10:11] scale_offset
	s_wait_xcnt 0x2
	v_dual_add_nc_u32 v10, -16, v12 :: v_dual_add_nc_u32 v53, 5, v13
	s_clause 0x1
	global_load_b64 v[46:47], v10, s[8:9] scale_offset
	global_load_b64 v[48:49], v52, s[8:9] scale_offset
	global_load_b64 v[50:51], v53, s[10:11] scale_offset
	s_wait_xcnt 0x2
	v_dual_add_nc_u32 v10, -15, v12 :: v_dual_add_nc_u32 v59, 6, v13
	s_clause 0x1
	global_load_b64 v[52:53], v10, s[8:9] scale_offset
	;; [unrolled: 6-line block ×6, first 2 shown]
	global_load_b64 v[78:79], v10, s[8:9] scale_offset
	global_load_b64 v[80:81], v13, s[10:11] scale_offset
	s_wait_xcnt 0x2
	v_add_nc_u32_e32 v12, 0x2c0, v12
	s_wait_loadcnt 0x1d
	v_fmac_f64_e32 v[0:1], v[16:17], v[24:25]
	v_fmac_f64_e32 v[8:9], v[22:23], v[24:25]
	s_wait_loadcnt 0x1b
	s_delay_alu instid0(VALU_DEP_2) | instskip(NEXT) | instid1(VALU_DEP_2)
	v_fmac_f64_e32 v[0:1], v[18:19], v[26:27]
	v_fmac_f64_e32 v[8:9], v[20:21], v[26:27]
	s_wait_loadcnt 0x18
	s_delay_alu instid0(VALU_DEP_2) | instskip(NEXT) | instid1(VALU_DEP_2)
	;; [unrolled: 4-line block ×10, first 2 shown]
	v_fmac_f64_e32 v[0:1], v[78:79], v[80:81]
	v_fmac_f64_e32 v[8:9], v[76:77], v[80:81]
	s_and_not1_b32 exec_lo, exec_lo, s2
	s_cbranch_execnz .LBB124_15
; %bb.16:
	s_or_b32 exec_lo, exec_lo, s2
.LBB124_17:
	s_delay_alu instid0(SALU_CYCLE_1)
	s_or_b32 exec_lo, exec_lo, s3
.LBB124_18:
	v_mbcnt_lo_u32_b32 v14, -1, 0
	s_delay_alu instid0(VALU_DEP_1) | instskip(NEXT) | instid1(VALU_DEP_1)
	v_xor_b32_e32 v10, 16, v14
	v_cmp_gt_i32_e32 vcc_lo, 32, v10
	v_cndmask_b32_e32 v10, v14, v10, vcc_lo
	s_delay_alu instid0(VALU_DEP_1)
	v_lshlrev_b32_e32 v13, 2, v10
	ds_bpermute_b32 v10, v13, v0
	ds_bpermute_b32 v11, v13, v1
	s_wait_dscnt 0x0
	v_add_f64_e32 v[0:1], v[0:1], v[10:11]
	v_xor_b32_e32 v10, 8, v14
	s_delay_alu instid0(VALU_DEP_1)
	v_cmp_gt_i32_e32 vcc_lo, 32, v10
	v_cndmask_b32_e32 v10, v14, v10, vcc_lo
	ds_bpermute_b32 v12, v13, v8
	ds_bpermute_b32 v13, v13, v9
	s_wait_dscnt 0x0
	v_dual_add_f64 v[8:9], v[8:9], v[12:13] :: v_dual_lshlrev_b32 v13, 2, v10
	ds_bpermute_b32 v10, v13, v0
	ds_bpermute_b32 v11, v13, v1
	s_wait_dscnt 0x0
	v_add_f64_e32 v[0:1], v[0:1], v[10:11]
	v_xor_b32_e32 v10, 4, v14
	s_delay_alu instid0(VALU_DEP_1)
	v_cmp_gt_i32_e32 vcc_lo, 32, v10
	v_cndmask_b32_e32 v10, v14, v10, vcc_lo
	ds_bpermute_b32 v12, v13, v8
	ds_bpermute_b32 v13, v13, v9
	s_wait_dscnt 0x0
	v_dual_add_f64 v[8:9], v[8:9], v[12:13] :: v_dual_lshlrev_b32 v13, 2, v10
	;; [unrolled: 12-line block ×3, first 2 shown]
	ds_bpermute_b32 v10, v13, v0
	ds_bpermute_b32 v11, v13, v1
	s_wait_dscnt 0x0
	v_add_f64_e32 v[0:1], v[0:1], v[10:11]
	ds_bpermute_b32 v12, v13, v8
	ds_bpermute_b32 v13, v13, v9
	s_wait_dscnt 0x0
	v_dual_add_f64 v[10:11], v[8:9], v[12:13] :: v_dual_bitop2_b32 v8, 1, v14 bitop3:0x14
	s_delay_alu instid0(VALU_DEP_1) | instskip(SKIP_2) | instid1(VALU_DEP_2)
	v_cmp_gt_i32_e32 vcc_lo, 32, v8
	v_cndmask_b32_e32 v8, v14, v8, vcc_lo
	v_cmp_eq_u32_e32 vcc_lo, 31, v7
	v_lshlrev_b32_e32 v13, 2, v8
	ds_bpermute_b32 v8, v13, v0
	ds_bpermute_b32 v9, v13, v1
	;; [unrolled: 1-line block ×4, first 2 shown]
	s_and_b32 exec_lo, exec_lo, vcc_lo
	s_cbranch_execz .LBB124_23
; %bb.19:
	s_wait_dscnt 0x2
	v_add_f64_e32 v[8:9], v[0:1], v[8:9]
	s_wait_dscnt 0x0
	v_add_f64_e32 v[0:1], v[10:11], v[12:13]
	s_load_b64 s[0:1], s[0:1], 0x38
	s_mov_b32 s2, exec_lo
	v_cmpx_eq_f64_e32 0, v[4:5]
	s_xor_b32 s2, exec_lo, s2
	s_cbranch_execz .LBB124_21
; %bb.20:
	s_delay_alu instid0(VALU_DEP_3) | instskip(NEXT) | instid1(VALU_DEP_3)
	v_mul_f64_e32 v[8:9], v[2:3], v[8:9]
	v_dual_mul_f64 v[10:11], v[2:3], v[0:1] :: v_dual_lshlrev_b32 v0, 1, v6
                                        ; implicit-def: $vgpr6
                                        ; implicit-def: $vgpr2_vgpr3
                                        ; implicit-def: $vgpr4_vgpr5
	s_delay_alu instid0(VALU_DEP_1) | instskip(SKIP_1) | instid1(VALU_DEP_1)
	v_ashrrev_i32_e32 v1, 31, v0
	s_wait_kmcnt 0x0
	v_lshl_add_u64 v[0:1], v[0:1], 3, s[0:1]
	global_store_b128 v[0:1], v[8:11], off
                                        ; implicit-def: $vgpr8_vgpr9
                                        ; implicit-def: $vgpr0_vgpr1
.LBB124_21:
	s_wait_xcnt 0x0
	s_and_not1_saveexec_b32 s2, s2
	s_cbranch_execz .LBB124_23
; %bb.22:
	v_lshlrev_b32_e32 v6, 1, v6
	s_delay_alu instid0(VALU_DEP_1) | instskip(SKIP_1) | instid1(VALU_DEP_1)
	v_ashrrev_i32_e32 v7, 31, v6
	s_wait_kmcnt 0x0
	v_lshl_add_u64 v[14:15], v[6:7], 3, s[0:1]
	v_mul_f64_e32 v[6:7], v[2:3], v[8:9]
	v_mul_f64_e32 v[8:9], v[2:3], v[0:1]
	global_load_b128 v[10:13], v[14:15], off
	s_wait_loadcnt 0x0
	v_fmac_f64_e32 v[6:7], v[4:5], v[10:11]
	v_fmac_f64_e32 v[8:9], v[4:5], v[12:13]
	global_store_b128 v[14:15], v[6:9], off
.LBB124_23:
	s_sendmsg sendmsg(MSG_DEALLOC_VGPRS)
	s_endpgm
	.section	.rodata,"a",@progbits
	.p2align	6, 0x0
	.amdhsa_kernel _ZN9rocsparseL19gebsrmvn_2xn_kernelILj128ELj11ELj32EdEEvi20rocsparse_direction_NS_24const_host_device_scalarIT2_EEPKiS6_PKS3_S8_S4_PS3_21rocsparse_index_base_b
		.amdhsa_group_segment_fixed_size 0
		.amdhsa_private_segment_fixed_size 0
		.amdhsa_kernarg_size 72
		.amdhsa_user_sgpr_count 2
		.amdhsa_user_sgpr_dispatch_ptr 0
		.amdhsa_user_sgpr_queue_ptr 0
		.amdhsa_user_sgpr_kernarg_segment_ptr 1
		.amdhsa_user_sgpr_dispatch_id 0
		.amdhsa_user_sgpr_kernarg_preload_length 0
		.amdhsa_user_sgpr_kernarg_preload_offset 0
		.amdhsa_user_sgpr_private_segment_size 0
		.amdhsa_wavefront_size32 1
		.amdhsa_uses_dynamic_stack 0
		.amdhsa_enable_private_segment 0
		.amdhsa_system_sgpr_workgroup_id_x 1
		.amdhsa_system_sgpr_workgroup_id_y 0
		.amdhsa_system_sgpr_workgroup_id_z 0
		.amdhsa_system_sgpr_workgroup_info 0
		.amdhsa_system_vgpr_workitem_id 0
		.amdhsa_next_free_vgpr 86
		.amdhsa_next_free_sgpr 14
		.amdhsa_named_barrier_count 0
		.amdhsa_reserve_vcc 1
		.amdhsa_float_round_mode_32 0
		.amdhsa_float_round_mode_16_64 0
		.amdhsa_float_denorm_mode_32 3
		.amdhsa_float_denorm_mode_16_64 3
		.amdhsa_fp16_overflow 0
		.amdhsa_memory_ordered 1
		.amdhsa_forward_progress 1
		.amdhsa_inst_pref_size 21
		.amdhsa_round_robin_scheduling 0
		.amdhsa_exception_fp_ieee_invalid_op 0
		.amdhsa_exception_fp_denorm_src 0
		.amdhsa_exception_fp_ieee_div_zero 0
		.amdhsa_exception_fp_ieee_overflow 0
		.amdhsa_exception_fp_ieee_underflow 0
		.amdhsa_exception_fp_ieee_inexact 0
		.amdhsa_exception_int_div_zero 0
	.end_amdhsa_kernel
	.section	.text._ZN9rocsparseL19gebsrmvn_2xn_kernelILj128ELj11ELj32EdEEvi20rocsparse_direction_NS_24const_host_device_scalarIT2_EEPKiS6_PKS3_S8_S4_PS3_21rocsparse_index_base_b,"axG",@progbits,_ZN9rocsparseL19gebsrmvn_2xn_kernelILj128ELj11ELj32EdEEvi20rocsparse_direction_NS_24const_host_device_scalarIT2_EEPKiS6_PKS3_S8_S4_PS3_21rocsparse_index_base_b,comdat
.Lfunc_end124:
	.size	_ZN9rocsparseL19gebsrmvn_2xn_kernelILj128ELj11ELj32EdEEvi20rocsparse_direction_NS_24const_host_device_scalarIT2_EEPKiS6_PKS3_S8_S4_PS3_21rocsparse_index_base_b, .Lfunc_end124-_ZN9rocsparseL19gebsrmvn_2xn_kernelILj128ELj11ELj32EdEEvi20rocsparse_direction_NS_24const_host_device_scalarIT2_EEPKiS6_PKS3_S8_S4_PS3_21rocsparse_index_base_b
                                        ; -- End function
	.set _ZN9rocsparseL19gebsrmvn_2xn_kernelILj128ELj11ELj32EdEEvi20rocsparse_direction_NS_24const_host_device_scalarIT2_EEPKiS6_PKS3_S8_S4_PS3_21rocsparse_index_base_b.num_vgpr, 86
	.set _ZN9rocsparseL19gebsrmvn_2xn_kernelILj128ELj11ELj32EdEEvi20rocsparse_direction_NS_24const_host_device_scalarIT2_EEPKiS6_PKS3_S8_S4_PS3_21rocsparse_index_base_b.num_agpr, 0
	.set _ZN9rocsparseL19gebsrmvn_2xn_kernelILj128ELj11ELj32EdEEvi20rocsparse_direction_NS_24const_host_device_scalarIT2_EEPKiS6_PKS3_S8_S4_PS3_21rocsparse_index_base_b.numbered_sgpr, 14
	.set _ZN9rocsparseL19gebsrmvn_2xn_kernelILj128ELj11ELj32EdEEvi20rocsparse_direction_NS_24const_host_device_scalarIT2_EEPKiS6_PKS3_S8_S4_PS3_21rocsparse_index_base_b.num_named_barrier, 0
	.set _ZN9rocsparseL19gebsrmvn_2xn_kernelILj128ELj11ELj32EdEEvi20rocsparse_direction_NS_24const_host_device_scalarIT2_EEPKiS6_PKS3_S8_S4_PS3_21rocsparse_index_base_b.private_seg_size, 0
	.set _ZN9rocsparseL19gebsrmvn_2xn_kernelILj128ELj11ELj32EdEEvi20rocsparse_direction_NS_24const_host_device_scalarIT2_EEPKiS6_PKS3_S8_S4_PS3_21rocsparse_index_base_b.uses_vcc, 1
	.set _ZN9rocsparseL19gebsrmvn_2xn_kernelILj128ELj11ELj32EdEEvi20rocsparse_direction_NS_24const_host_device_scalarIT2_EEPKiS6_PKS3_S8_S4_PS3_21rocsparse_index_base_b.uses_flat_scratch, 0
	.set _ZN9rocsparseL19gebsrmvn_2xn_kernelILj128ELj11ELj32EdEEvi20rocsparse_direction_NS_24const_host_device_scalarIT2_EEPKiS6_PKS3_S8_S4_PS3_21rocsparse_index_base_b.has_dyn_sized_stack, 0
	.set _ZN9rocsparseL19gebsrmvn_2xn_kernelILj128ELj11ELj32EdEEvi20rocsparse_direction_NS_24const_host_device_scalarIT2_EEPKiS6_PKS3_S8_S4_PS3_21rocsparse_index_base_b.has_recursion, 0
	.set _ZN9rocsparseL19gebsrmvn_2xn_kernelILj128ELj11ELj32EdEEvi20rocsparse_direction_NS_24const_host_device_scalarIT2_EEPKiS6_PKS3_S8_S4_PS3_21rocsparse_index_base_b.has_indirect_call, 0
	.section	.AMDGPU.csdata,"",@progbits
; Kernel info:
; codeLenInByte = 2564
; TotalNumSgprs: 16
; NumVgprs: 86
; ScratchSize: 0
; MemoryBound: 0
; FloatMode: 240
; IeeeMode: 1
; LDSByteSize: 0 bytes/workgroup (compile time only)
; SGPRBlocks: 0
; VGPRBlocks: 5
; NumSGPRsForWavesPerEU: 16
; NumVGPRsForWavesPerEU: 86
; NamedBarCnt: 0
; Occupancy: 10
; WaveLimiterHint : 1
; COMPUTE_PGM_RSRC2:SCRATCH_EN: 0
; COMPUTE_PGM_RSRC2:USER_SGPR: 2
; COMPUTE_PGM_RSRC2:TRAP_HANDLER: 0
; COMPUTE_PGM_RSRC2:TGID_X_EN: 1
; COMPUTE_PGM_RSRC2:TGID_Y_EN: 0
; COMPUTE_PGM_RSRC2:TGID_Z_EN: 0
; COMPUTE_PGM_RSRC2:TIDIG_COMP_CNT: 0
	.section	.text._ZN9rocsparseL19gebsrmvn_2xn_kernelILj128ELj11ELj64EdEEvi20rocsparse_direction_NS_24const_host_device_scalarIT2_EEPKiS6_PKS3_S8_S4_PS3_21rocsparse_index_base_b,"axG",@progbits,_ZN9rocsparseL19gebsrmvn_2xn_kernelILj128ELj11ELj64EdEEvi20rocsparse_direction_NS_24const_host_device_scalarIT2_EEPKiS6_PKS3_S8_S4_PS3_21rocsparse_index_base_b,comdat
	.globl	_ZN9rocsparseL19gebsrmvn_2xn_kernelILj128ELj11ELj64EdEEvi20rocsparse_direction_NS_24const_host_device_scalarIT2_EEPKiS6_PKS3_S8_S4_PS3_21rocsparse_index_base_b ; -- Begin function _ZN9rocsparseL19gebsrmvn_2xn_kernelILj128ELj11ELj64EdEEvi20rocsparse_direction_NS_24const_host_device_scalarIT2_EEPKiS6_PKS3_S8_S4_PS3_21rocsparse_index_base_b
	.p2align	8
	.type	_ZN9rocsparseL19gebsrmvn_2xn_kernelILj128ELj11ELj64EdEEvi20rocsparse_direction_NS_24const_host_device_scalarIT2_EEPKiS6_PKS3_S8_S4_PS3_21rocsparse_index_base_b,@function
_ZN9rocsparseL19gebsrmvn_2xn_kernelILj128ELj11ELj64EdEEvi20rocsparse_direction_NS_24const_host_device_scalarIT2_EEPKiS6_PKS3_S8_S4_PS3_21rocsparse_index_base_b: ; @_ZN9rocsparseL19gebsrmvn_2xn_kernelILj128ELj11ELj64EdEEvi20rocsparse_direction_NS_24const_host_device_scalarIT2_EEPKiS6_PKS3_S8_S4_PS3_21rocsparse_index_base_b
; %bb.0:
	s_clause 0x2
	s_load_b64 s[12:13], s[0:1], 0x40
	s_load_b64 s[4:5], s[0:1], 0x8
	;; [unrolled: 1-line block ×3, first 2 shown]
	s_wait_kmcnt 0x0
	s_bitcmp1_b32 s13, 0
	v_mov_b64_e32 v[2:3], s[4:5]
	s_cselect_b32 s6, -1, 0
	s_delay_alu instid0(SALU_CYCLE_1)
	s_and_b32 vcc_lo, exec_lo, s6
	s_xor_b32 s6, s6, -1
	s_cbranch_vccnz .LBB125_2
; %bb.1:
	v_mov_b32_e32 v1, 0
	flat_load_b64 v[2:3], v1, s[4:5]
.LBB125_2:
	v_mov_b64_e32 v[4:5], s[2:3]
	s_and_not1_b32 vcc_lo, exec_lo, s6
	s_cbranch_vccnz .LBB125_4
; %bb.3:
	s_wait_xcnt 0x0
	v_mov_b32_e32 v1, 0
	flat_load_b64 v[4:5], v1, s[2:3]
.LBB125_4:
	s_wait_loadcnt_dscnt 0x0
	v_cmp_neq_f64_e32 vcc_lo, 0, v[2:3]
	s_delay_alu instid0(VALU_DEP_2) | instskip(SKIP_1) | instid1(SALU_CYCLE_1)
	v_cmp_neq_f64_e64 s2, 1.0, v[4:5]
	s_or_b32 s2, vcc_lo, s2
	s_and_saveexec_b32 s3, s2
	s_cbranch_execz .LBB125_23
; %bb.5:
	s_load_b64 s[2:3], s[0:1], 0x0
	s_bfe_u32 s4, ttmp6, 0x4000c
	s_and_b32 s5, ttmp6, 15
	s_add_co_i32 s4, s4, 1
	s_getreg_b32 s6, hwreg(HW_REG_IB_STS2, 6, 4)
	s_mul_i32 s4, ttmp9, s4
	v_lshrrev_b32_e32 v1, 6, v0
	s_add_co_i32 s5, s5, s4
	s_cmp_eq_u32 s6, 0
	s_cselect_b32 s4, ttmp9, s5
	s_delay_alu instid0(VALU_DEP_1) | instid1(SALU_CYCLE_1)
	v_lshl_or_b32 v6, s4, 1, v1
	s_wait_kmcnt 0x0
	s_delay_alu instid0(VALU_DEP_1)
	v_cmp_gt_i32_e32 vcc_lo, s2, v6
	s_and_b32 exec_lo, exec_lo, vcc_lo
	s_cbranch_execz .LBB125_23
; %bb.6:
	s_load_b256 s[4:11], s[0:1], 0x10
	v_ashrrev_i32_e32 v7, 31, v6
	s_cmp_lg_u32 s3, 0
	s_wait_kmcnt 0x0
	s_delay_alu instid0(VALU_DEP_1)
	v_lshl_add_u64 v[8:9], v[6:7], 2, s[4:5]
	v_and_b32_e32 v7, 63, v0
	global_load_b64 v[8:9], v[8:9], off
	s_wait_loadcnt 0x0
	v_subrev_nc_u32_e32 v0, s12, v8
	v_subrev_nc_u32_e32 v14, s12, v9
	s_delay_alu instid0(VALU_DEP_2) | instskip(NEXT) | instid1(VALU_DEP_1)
	v_add_nc_u32_e32 v15, v0, v7
	v_cmp_lt_i32_e64 s2, v15, v14
	s_cbranch_scc0 .LBB125_12
; %bb.7:
	v_mov_b64_e32 v[0:1], 0
	v_mov_b64_e32 v[8:9], 0
	s_and_saveexec_b32 s3, s2
	s_cbranch_execz .LBB125_11
; %bb.8:
	v_mad_u32 v10, v15, 22, 20
	v_mov_b64_e32 v[0:1], 0
	v_mov_b64_e32 v[8:9], 0
	v_dual_mov_b32 v13, 0 :: v_dual_mov_b32 v16, v15
	s_mov_b32 s4, 0
.LBB125_9:                              ; =>This Inner Loop Header: Depth=1
	global_load_b32 v11, v16, s[6:7] scale_offset
	v_subrev_nc_u32_e32 v12, 20, v10
	s_wait_xcnt 0x0
	v_add_nc_u32_e32 v16, 64, v16
	s_delay_alu instid0(VALU_DEP_2) | instskip(SKIP_1) | instid1(VALU_DEP_3)
	v_lshl_add_u64 v[22:23], v[12:13], 3, s[8:9]
	v_subrev_nc_u32_e32 v12, 18, v10
	v_cmp_ge_i32_e32 vcc_lo, v16, v14
	s_delay_alu instid0(VALU_DEP_2) | instskip(SKIP_2) | instid1(VALU_DEP_1)
	v_lshl_add_u64 v[26:27], v[12:13], 3, s[8:9]
	v_add_nc_u32_e32 v12, -16, v10
	s_or_b32 s4, vcc_lo, s4
	v_lshl_add_u64 v[30:31], v[12:13], 3, s[8:9]
	v_add_nc_u32_e32 v12, -14, v10
	s_delay_alu instid0(VALU_DEP_1) | instskip(SKIP_1) | instid1(VALU_DEP_1)
	v_lshl_add_u64 v[34:35], v[12:13], 3, s[8:9]
	v_add_nc_u32_e32 v12, -12, v10
	v_lshl_add_u64 v[38:39], v[12:13], 3, s[8:9]
	v_add_nc_u32_e32 v12, -10, v10
	s_delay_alu instid0(VALU_DEP_1) | instskip(SKIP_1) | instid1(VALU_DEP_1)
	v_lshl_add_u64 v[42:43], v[12:13], 3, s[8:9]
	v_add_nc_u32_e32 v12, -8, v10
	;; [unrolled: 5-line block ×3, first 2 shown]
	v_lshl_add_u64 v[54:55], v[12:13], 3, s[8:9]
	v_add_nc_u32_e32 v12, -2, v10
	s_delay_alu instid0(VALU_DEP_1) | instskip(SKIP_2) | instid1(VALU_DEP_1)
	v_lshl_add_u64 v[58:59], v[12:13], 3, s[8:9]
	s_wait_loadcnt 0x0
	v_subrev_nc_u32_e32 v11, s12, v11
	v_mul_lo_u32 v17, v11, 11
	global_load_b128 v[18:21], v[22:23], off
	global_load_b64 v[62:63], v17, s[10:11] scale_offset
	v_add_nc_u32_e32 v11, 1, v17
	global_load_b128 v[22:25], v[26:27], off
	global_load_b64 v[64:65], v11, s[10:11] scale_offset
	s_wait_xcnt 0x0
	v_add_nc_u32_e32 v11, 2, v17
	global_load_b128 v[26:29], v[30:31], off
	global_load_b64 v[66:67], v11, s[10:11] scale_offset
	s_wait_xcnt 0x0
	;; [unrolled: 4-line block ×9, first 2 shown]
	v_mov_b32_e32 v11, v13
	s_delay_alu instid0(VALU_DEP_1)
	v_lshl_add_u64 v[82:83], v[10:11], 3, s[8:9]
	v_add_nc_u32_e32 v11, 10, v17
	v_add_nc_u32_e32 v10, 0x580, v10
	global_load_b128 v[58:61], v[82:83], off
	global_load_b64 v[84:85], v11, s[10:11] scale_offset
	s_wait_loadcnt 0x14
	v_fmac_f64_e32 v[0:1], v[18:19], v[62:63]
	v_fmac_f64_e32 v[8:9], v[20:21], v[62:63]
	s_wait_loadcnt 0x12
	s_delay_alu instid0(VALU_DEP_2) | instskip(NEXT) | instid1(VALU_DEP_2)
	v_fmac_f64_e32 v[0:1], v[22:23], v[64:65]
	v_fmac_f64_e32 v[8:9], v[24:25], v[64:65]
	s_wait_loadcnt 0x10
	s_delay_alu instid0(VALU_DEP_2) | instskip(NEXT) | instid1(VALU_DEP_2)
	;; [unrolled: 4-line block ×10, first 2 shown]
	v_fmac_f64_e32 v[0:1], v[58:59], v[84:85]
	v_fmac_f64_e32 v[8:9], v[60:61], v[84:85]
	s_and_not1_b32 exec_lo, exec_lo, s4
	s_cbranch_execnz .LBB125_9
; %bb.10:
	s_or_b32 exec_lo, exec_lo, s4
.LBB125_11:
	s_delay_alu instid0(SALU_CYCLE_1)
	s_or_b32 exec_lo, exec_lo, s3
	s_cbranch_execz .LBB125_13
	s_branch .LBB125_18
.LBB125_12:
                                        ; implicit-def: $vgpr0_vgpr1
                                        ; implicit-def: $vgpr8_vgpr9
.LBB125_13:
	v_mov_b64_e32 v[0:1], 0
	v_mov_b64_e32 v[8:9], 0
	s_and_saveexec_b32 s3, s2
	s_cbranch_execz .LBB125_17
; %bb.14:
	v_mad_u32 v12, v15, 22, 21
	v_mov_b64_e32 v[0:1], 0
	v_mov_b64_e32 v[8:9], 0
	v_mov_b32_e32 v11, 0
	s_mov_b32 s2, 0
.LBB125_15:                             ; =>This Inner Loop Header: Depth=1
	global_load_b32 v10, v15, s[6:7] scale_offset
	s_wait_xcnt 0x0
	v_dual_add_nc_u32 v26, -10, v12 :: v_dual_add_nc_u32 v15, 64, v15
	v_dual_add_nc_u32 v34, -8, v12 :: v_dual_add_nc_u32 v40, -7, v12
	v_dual_add_nc_u32 v46, -6, v12 :: v_dual_add_nc_u32 v58, -4, v12
	s_delay_alu instid0(VALU_DEP_3) | instskip(SKIP_4) | instid1(VALU_DEP_1)
	v_cmp_ge_i32_e32 vcc_lo, v15, v14
	v_add_nc_u32_e32 v70, -2, v12
	s_or_b32 s2, vcc_lo, s2
	s_wait_loadcnt 0x0
	v_subrev_nc_u32_e32 v10, s12, v10
	v_mul_lo_u32 v13, v10, 11
	v_subrev_nc_u32_e32 v10, 21, v12
	v_dual_add_nc_u32 v52, -5, v12 :: v_dual_add_nc_u32 v64, -3, v12
	v_add_nc_u32_e32 v76, -1, v12
	s_delay_alu instid0(VALU_DEP_3)
	v_lshl_add_u64 v[20:21], v[10:11], 3, s[8:9]
	v_add_nc_u32_e32 v10, -9, v12
	s_clause 0x1
	global_load_b128 v[16:19], v[20:21], off
	global_load_b64 v[22:23], v26, s[8:9] scale_offset
	global_load_b64 v[24:25], v13, s[10:11] scale_offset
	v_add_nc_u32_e32 v28, 1, v13
	global_load_b64 v[20:21], v10, s[8:9] scale_offset
	global_load_b64 v[26:27], v28, s[10:11] scale_offset
	s_wait_xcnt 0x1
	v_subrev_nc_u32_e32 v10, 19, v12
	v_add_nc_u32_e32 v35, 2, v13
	s_clause 0x1
	global_load_b64 v[28:29], v10, s[8:9] scale_offset
	global_load_b64 v[30:31], v34, s[8:9] scale_offset
	global_load_b64 v[32:33], v35, s[10:11] scale_offset
	s_wait_xcnt 0x2
	v_subrev_nc_u32_e32 v10, 18, v12
	v_add_nc_u32_e32 v41, 3, v13
	s_clause 0x1
	global_load_b64 v[34:35], v10, s[8:9] scale_offset
	;; [unrolled: 7-line block ×3, first 2 shown]
	global_load_b64 v[42:43], v46, s[8:9] scale_offset
	global_load_b64 v[44:45], v47, s[10:11] scale_offset
	s_wait_xcnt 0x2
	v_dual_add_nc_u32 v10, -16, v12 :: v_dual_add_nc_u32 v53, 5, v13
	s_clause 0x1
	global_load_b64 v[46:47], v10, s[8:9] scale_offset
	global_load_b64 v[48:49], v52, s[8:9] scale_offset
	global_load_b64 v[50:51], v53, s[10:11] scale_offset
	s_wait_xcnt 0x2
	v_dual_add_nc_u32 v10, -15, v12 :: v_dual_add_nc_u32 v59, 6, v13
	s_clause 0x1
	global_load_b64 v[52:53], v10, s[8:9] scale_offset
	;; [unrolled: 6-line block ×6, first 2 shown]
	global_load_b64 v[78:79], v10, s[8:9] scale_offset
	global_load_b64 v[80:81], v13, s[10:11] scale_offset
	s_wait_xcnt 0x2
	v_add_nc_u32_e32 v12, 0x580, v12
	s_wait_loadcnt 0x1d
	v_fmac_f64_e32 v[0:1], v[16:17], v[24:25]
	v_fmac_f64_e32 v[8:9], v[22:23], v[24:25]
	s_wait_loadcnt 0x1b
	s_delay_alu instid0(VALU_DEP_2) | instskip(NEXT) | instid1(VALU_DEP_2)
	v_fmac_f64_e32 v[0:1], v[18:19], v[26:27]
	v_fmac_f64_e32 v[8:9], v[20:21], v[26:27]
	s_wait_loadcnt 0x18
	s_delay_alu instid0(VALU_DEP_2) | instskip(NEXT) | instid1(VALU_DEP_2)
	;; [unrolled: 4-line block ×10, first 2 shown]
	v_fmac_f64_e32 v[0:1], v[78:79], v[80:81]
	v_fmac_f64_e32 v[8:9], v[76:77], v[80:81]
	s_and_not1_b32 exec_lo, exec_lo, s2
	s_cbranch_execnz .LBB125_15
; %bb.16:
	s_or_b32 exec_lo, exec_lo, s2
.LBB125_17:
	s_delay_alu instid0(SALU_CYCLE_1)
	s_or_b32 exec_lo, exec_lo, s3
.LBB125_18:
	v_mbcnt_lo_u32_b32 v14, -1, 0
	s_delay_alu instid0(VALU_DEP_1) | instskip(NEXT) | instid1(VALU_DEP_1)
	v_or_b32_e32 v10, 32, v14
	v_cmp_gt_i32_e32 vcc_lo, 32, v10
	v_cndmask_b32_e32 v10, v14, v10, vcc_lo
	s_delay_alu instid0(VALU_DEP_1)
	v_lshlrev_b32_e32 v13, 2, v10
	ds_bpermute_b32 v10, v13, v0
	ds_bpermute_b32 v11, v13, v1
	s_wait_dscnt 0x0
	v_add_f64_e32 v[0:1], v[0:1], v[10:11]
	v_xor_b32_e32 v10, 16, v14
	s_delay_alu instid0(VALU_DEP_1)
	v_cmp_gt_i32_e32 vcc_lo, 32, v10
	v_cndmask_b32_e32 v10, v14, v10, vcc_lo
	ds_bpermute_b32 v12, v13, v8
	ds_bpermute_b32 v13, v13, v9
	s_wait_dscnt 0x0
	v_dual_add_f64 v[8:9], v[8:9], v[12:13] :: v_dual_lshlrev_b32 v13, 2, v10
	ds_bpermute_b32 v10, v13, v0
	ds_bpermute_b32 v11, v13, v1
	s_wait_dscnt 0x0
	v_add_f64_e32 v[0:1], v[0:1], v[10:11]
	v_xor_b32_e32 v10, 8, v14
	s_delay_alu instid0(VALU_DEP_1)
	v_cmp_gt_i32_e32 vcc_lo, 32, v10
	v_cndmask_b32_e32 v10, v14, v10, vcc_lo
	ds_bpermute_b32 v12, v13, v8
	ds_bpermute_b32 v13, v13, v9
	s_wait_dscnt 0x0
	v_dual_add_f64 v[8:9], v[8:9], v[12:13] :: v_dual_lshlrev_b32 v13, 2, v10
	;; [unrolled: 12-line block ×4, first 2 shown]
	ds_bpermute_b32 v10, v13, v0
	ds_bpermute_b32 v11, v13, v1
	s_wait_dscnt 0x0
	v_add_f64_e32 v[0:1], v[0:1], v[10:11]
	ds_bpermute_b32 v12, v13, v8
	ds_bpermute_b32 v13, v13, v9
	s_wait_dscnt 0x0
	v_dual_add_f64 v[10:11], v[8:9], v[12:13] :: v_dual_bitop2_b32 v8, 1, v14 bitop3:0x14
	s_delay_alu instid0(VALU_DEP_1) | instskip(SKIP_2) | instid1(VALU_DEP_2)
	v_cmp_gt_i32_e32 vcc_lo, 32, v8
	v_cndmask_b32_e32 v8, v14, v8, vcc_lo
	v_cmp_eq_u32_e32 vcc_lo, 63, v7
	v_lshlrev_b32_e32 v13, 2, v8
	ds_bpermute_b32 v8, v13, v0
	ds_bpermute_b32 v9, v13, v1
	;; [unrolled: 1-line block ×4, first 2 shown]
	s_and_b32 exec_lo, exec_lo, vcc_lo
	s_cbranch_execz .LBB125_23
; %bb.19:
	s_wait_dscnt 0x2
	v_add_f64_e32 v[8:9], v[0:1], v[8:9]
	s_wait_dscnt 0x0
	v_add_f64_e32 v[0:1], v[10:11], v[12:13]
	s_load_b64 s[0:1], s[0:1], 0x38
	s_mov_b32 s2, exec_lo
	v_cmpx_eq_f64_e32 0, v[4:5]
	s_xor_b32 s2, exec_lo, s2
	s_cbranch_execz .LBB125_21
; %bb.20:
	s_delay_alu instid0(VALU_DEP_3) | instskip(NEXT) | instid1(VALU_DEP_3)
	v_mul_f64_e32 v[8:9], v[2:3], v[8:9]
	v_dual_mul_f64 v[10:11], v[2:3], v[0:1] :: v_dual_lshlrev_b32 v0, 1, v6
                                        ; implicit-def: $vgpr6
                                        ; implicit-def: $vgpr2_vgpr3
                                        ; implicit-def: $vgpr4_vgpr5
	s_delay_alu instid0(VALU_DEP_1) | instskip(SKIP_1) | instid1(VALU_DEP_1)
	v_ashrrev_i32_e32 v1, 31, v0
	s_wait_kmcnt 0x0
	v_lshl_add_u64 v[0:1], v[0:1], 3, s[0:1]
	global_store_b128 v[0:1], v[8:11], off
                                        ; implicit-def: $vgpr8_vgpr9
                                        ; implicit-def: $vgpr0_vgpr1
.LBB125_21:
	s_wait_xcnt 0x0
	s_and_not1_saveexec_b32 s2, s2
	s_cbranch_execz .LBB125_23
; %bb.22:
	v_lshlrev_b32_e32 v6, 1, v6
	s_delay_alu instid0(VALU_DEP_1) | instskip(SKIP_1) | instid1(VALU_DEP_1)
	v_ashrrev_i32_e32 v7, 31, v6
	s_wait_kmcnt 0x0
	v_lshl_add_u64 v[14:15], v[6:7], 3, s[0:1]
	v_mul_f64_e32 v[6:7], v[2:3], v[8:9]
	v_mul_f64_e32 v[8:9], v[2:3], v[0:1]
	global_load_b128 v[10:13], v[14:15], off
	s_wait_loadcnt 0x0
	v_fmac_f64_e32 v[6:7], v[4:5], v[10:11]
	v_fmac_f64_e32 v[8:9], v[4:5], v[12:13]
	global_store_b128 v[14:15], v[6:9], off
.LBB125_23:
	s_sendmsg sendmsg(MSG_DEALLOC_VGPRS)
	s_endpgm
	.section	.rodata,"a",@progbits
	.p2align	6, 0x0
	.amdhsa_kernel _ZN9rocsparseL19gebsrmvn_2xn_kernelILj128ELj11ELj64EdEEvi20rocsparse_direction_NS_24const_host_device_scalarIT2_EEPKiS6_PKS3_S8_S4_PS3_21rocsparse_index_base_b
		.amdhsa_group_segment_fixed_size 0
		.amdhsa_private_segment_fixed_size 0
		.amdhsa_kernarg_size 72
		.amdhsa_user_sgpr_count 2
		.amdhsa_user_sgpr_dispatch_ptr 0
		.amdhsa_user_sgpr_queue_ptr 0
		.amdhsa_user_sgpr_kernarg_segment_ptr 1
		.amdhsa_user_sgpr_dispatch_id 0
		.amdhsa_user_sgpr_kernarg_preload_length 0
		.amdhsa_user_sgpr_kernarg_preload_offset 0
		.amdhsa_user_sgpr_private_segment_size 0
		.amdhsa_wavefront_size32 1
		.amdhsa_uses_dynamic_stack 0
		.amdhsa_enable_private_segment 0
		.amdhsa_system_sgpr_workgroup_id_x 1
		.amdhsa_system_sgpr_workgroup_id_y 0
		.amdhsa_system_sgpr_workgroup_id_z 0
		.amdhsa_system_sgpr_workgroup_info 0
		.amdhsa_system_vgpr_workitem_id 0
		.amdhsa_next_free_vgpr 86
		.amdhsa_next_free_sgpr 14
		.amdhsa_named_barrier_count 0
		.amdhsa_reserve_vcc 1
		.amdhsa_float_round_mode_32 0
		.amdhsa_float_round_mode_16_64 0
		.amdhsa_float_denorm_mode_32 3
		.amdhsa_float_denorm_mode_16_64 3
		.amdhsa_fp16_overflow 0
		.amdhsa_memory_ordered 1
		.amdhsa_forward_progress 1
		.amdhsa_inst_pref_size 21
		.amdhsa_round_robin_scheduling 0
		.amdhsa_exception_fp_ieee_invalid_op 0
		.amdhsa_exception_fp_denorm_src 0
		.amdhsa_exception_fp_ieee_div_zero 0
		.amdhsa_exception_fp_ieee_overflow 0
		.amdhsa_exception_fp_ieee_underflow 0
		.amdhsa_exception_fp_ieee_inexact 0
		.amdhsa_exception_int_div_zero 0
	.end_amdhsa_kernel
	.section	.text._ZN9rocsparseL19gebsrmvn_2xn_kernelILj128ELj11ELj64EdEEvi20rocsparse_direction_NS_24const_host_device_scalarIT2_EEPKiS6_PKS3_S8_S4_PS3_21rocsparse_index_base_b,"axG",@progbits,_ZN9rocsparseL19gebsrmvn_2xn_kernelILj128ELj11ELj64EdEEvi20rocsparse_direction_NS_24const_host_device_scalarIT2_EEPKiS6_PKS3_S8_S4_PS3_21rocsparse_index_base_b,comdat
.Lfunc_end125:
	.size	_ZN9rocsparseL19gebsrmvn_2xn_kernelILj128ELj11ELj64EdEEvi20rocsparse_direction_NS_24const_host_device_scalarIT2_EEPKiS6_PKS3_S8_S4_PS3_21rocsparse_index_base_b, .Lfunc_end125-_ZN9rocsparseL19gebsrmvn_2xn_kernelILj128ELj11ELj64EdEEvi20rocsparse_direction_NS_24const_host_device_scalarIT2_EEPKiS6_PKS3_S8_S4_PS3_21rocsparse_index_base_b
                                        ; -- End function
	.set _ZN9rocsparseL19gebsrmvn_2xn_kernelILj128ELj11ELj64EdEEvi20rocsparse_direction_NS_24const_host_device_scalarIT2_EEPKiS6_PKS3_S8_S4_PS3_21rocsparse_index_base_b.num_vgpr, 86
	.set _ZN9rocsparseL19gebsrmvn_2xn_kernelILj128ELj11ELj64EdEEvi20rocsparse_direction_NS_24const_host_device_scalarIT2_EEPKiS6_PKS3_S8_S4_PS3_21rocsparse_index_base_b.num_agpr, 0
	.set _ZN9rocsparseL19gebsrmvn_2xn_kernelILj128ELj11ELj64EdEEvi20rocsparse_direction_NS_24const_host_device_scalarIT2_EEPKiS6_PKS3_S8_S4_PS3_21rocsparse_index_base_b.numbered_sgpr, 14
	.set _ZN9rocsparseL19gebsrmvn_2xn_kernelILj128ELj11ELj64EdEEvi20rocsparse_direction_NS_24const_host_device_scalarIT2_EEPKiS6_PKS3_S8_S4_PS3_21rocsparse_index_base_b.num_named_barrier, 0
	.set _ZN9rocsparseL19gebsrmvn_2xn_kernelILj128ELj11ELj64EdEEvi20rocsparse_direction_NS_24const_host_device_scalarIT2_EEPKiS6_PKS3_S8_S4_PS3_21rocsparse_index_base_b.private_seg_size, 0
	.set _ZN9rocsparseL19gebsrmvn_2xn_kernelILj128ELj11ELj64EdEEvi20rocsparse_direction_NS_24const_host_device_scalarIT2_EEPKiS6_PKS3_S8_S4_PS3_21rocsparse_index_base_b.uses_vcc, 1
	.set _ZN9rocsparseL19gebsrmvn_2xn_kernelILj128ELj11ELj64EdEEvi20rocsparse_direction_NS_24const_host_device_scalarIT2_EEPKiS6_PKS3_S8_S4_PS3_21rocsparse_index_base_b.uses_flat_scratch, 0
	.set _ZN9rocsparseL19gebsrmvn_2xn_kernelILj128ELj11ELj64EdEEvi20rocsparse_direction_NS_24const_host_device_scalarIT2_EEPKiS6_PKS3_S8_S4_PS3_21rocsparse_index_base_b.has_dyn_sized_stack, 0
	.set _ZN9rocsparseL19gebsrmvn_2xn_kernelILj128ELj11ELj64EdEEvi20rocsparse_direction_NS_24const_host_device_scalarIT2_EEPKiS6_PKS3_S8_S4_PS3_21rocsparse_index_base_b.has_recursion, 0
	.set _ZN9rocsparseL19gebsrmvn_2xn_kernelILj128ELj11ELj64EdEEvi20rocsparse_direction_NS_24const_host_device_scalarIT2_EEPKiS6_PKS3_S8_S4_PS3_21rocsparse_index_base_b.has_indirect_call, 0
	.section	.AMDGPU.csdata,"",@progbits
; Kernel info:
; codeLenInByte = 2636
; TotalNumSgprs: 16
; NumVgprs: 86
; ScratchSize: 0
; MemoryBound: 0
; FloatMode: 240
; IeeeMode: 1
; LDSByteSize: 0 bytes/workgroup (compile time only)
; SGPRBlocks: 0
; VGPRBlocks: 5
; NumSGPRsForWavesPerEU: 16
; NumVGPRsForWavesPerEU: 86
; NamedBarCnt: 0
; Occupancy: 10
; WaveLimiterHint : 1
; COMPUTE_PGM_RSRC2:SCRATCH_EN: 0
; COMPUTE_PGM_RSRC2:USER_SGPR: 2
; COMPUTE_PGM_RSRC2:TRAP_HANDLER: 0
; COMPUTE_PGM_RSRC2:TGID_X_EN: 1
; COMPUTE_PGM_RSRC2:TGID_Y_EN: 0
; COMPUTE_PGM_RSRC2:TGID_Z_EN: 0
; COMPUTE_PGM_RSRC2:TIDIG_COMP_CNT: 0
	.section	.text._ZN9rocsparseL19gebsrmvn_2xn_kernelILj128ELj12ELj4EdEEvi20rocsparse_direction_NS_24const_host_device_scalarIT2_EEPKiS6_PKS3_S8_S4_PS3_21rocsparse_index_base_b,"axG",@progbits,_ZN9rocsparseL19gebsrmvn_2xn_kernelILj128ELj12ELj4EdEEvi20rocsparse_direction_NS_24const_host_device_scalarIT2_EEPKiS6_PKS3_S8_S4_PS3_21rocsparse_index_base_b,comdat
	.globl	_ZN9rocsparseL19gebsrmvn_2xn_kernelILj128ELj12ELj4EdEEvi20rocsparse_direction_NS_24const_host_device_scalarIT2_EEPKiS6_PKS3_S8_S4_PS3_21rocsparse_index_base_b ; -- Begin function _ZN9rocsparseL19gebsrmvn_2xn_kernelILj128ELj12ELj4EdEEvi20rocsparse_direction_NS_24const_host_device_scalarIT2_EEPKiS6_PKS3_S8_S4_PS3_21rocsparse_index_base_b
	.p2align	8
	.type	_ZN9rocsparseL19gebsrmvn_2xn_kernelILj128ELj12ELj4EdEEvi20rocsparse_direction_NS_24const_host_device_scalarIT2_EEPKiS6_PKS3_S8_S4_PS3_21rocsparse_index_base_b,@function
_ZN9rocsparseL19gebsrmvn_2xn_kernelILj128ELj12ELj4EdEEvi20rocsparse_direction_NS_24const_host_device_scalarIT2_EEPKiS6_PKS3_S8_S4_PS3_21rocsparse_index_base_b: ; @_ZN9rocsparseL19gebsrmvn_2xn_kernelILj128ELj12ELj4EdEEvi20rocsparse_direction_NS_24const_host_device_scalarIT2_EEPKiS6_PKS3_S8_S4_PS3_21rocsparse_index_base_b
; %bb.0:
	s_clause 0x2
	s_load_b64 s[12:13], s[0:1], 0x40
	s_load_b64 s[4:5], s[0:1], 0x8
	;; [unrolled: 1-line block ×3, first 2 shown]
	s_wait_kmcnt 0x0
	s_bitcmp1_b32 s13, 0
	v_mov_b64_e32 v[2:3], s[4:5]
	s_cselect_b32 s6, -1, 0
	s_delay_alu instid0(SALU_CYCLE_1)
	s_and_b32 vcc_lo, exec_lo, s6
	s_xor_b32 s6, s6, -1
	s_cbranch_vccnz .LBB126_2
; %bb.1:
	v_mov_b32_e32 v1, 0
	flat_load_b64 v[2:3], v1, s[4:5]
.LBB126_2:
	v_mov_b64_e32 v[4:5], s[2:3]
	s_and_not1_b32 vcc_lo, exec_lo, s6
	s_cbranch_vccnz .LBB126_4
; %bb.3:
	s_wait_xcnt 0x0
	v_mov_b32_e32 v1, 0
	flat_load_b64 v[4:5], v1, s[2:3]
.LBB126_4:
	s_wait_loadcnt_dscnt 0x0
	v_cmp_neq_f64_e32 vcc_lo, 0, v[2:3]
	s_delay_alu instid0(VALU_DEP_2) | instskip(SKIP_1) | instid1(SALU_CYCLE_1)
	v_cmp_neq_f64_e64 s2, 1.0, v[4:5]
	s_or_b32 s2, vcc_lo, s2
	s_and_saveexec_b32 s3, s2
	s_cbranch_execz .LBB126_23
; %bb.5:
	s_load_b64 s[2:3], s[0:1], 0x0
	s_bfe_u32 s4, ttmp6, 0x4000c
	s_and_b32 s5, ttmp6, 15
	s_add_co_i32 s4, s4, 1
	s_getreg_b32 s6, hwreg(HW_REG_IB_STS2, 6, 4)
	s_mul_i32 s4, ttmp9, s4
	v_lshrrev_b32_e32 v1, 2, v0
	s_add_co_i32 s5, s5, s4
	s_cmp_eq_u32 s6, 0
	s_cselect_b32 s4, ttmp9, s5
	s_delay_alu instid0(VALU_DEP_1) | instid1(SALU_CYCLE_1)
	v_lshl_or_b32 v6, s4, 5, v1
	s_wait_kmcnt 0x0
	s_delay_alu instid0(VALU_DEP_1)
	v_cmp_gt_i32_e32 vcc_lo, s2, v6
	s_and_b32 exec_lo, exec_lo, vcc_lo
	s_cbranch_execz .LBB126_23
; %bb.6:
	s_load_b256 s[4:11], s[0:1], 0x10
	v_ashrrev_i32_e32 v7, 31, v6
	s_cmp_lg_u32 s3, 0
	s_wait_kmcnt 0x0
	s_delay_alu instid0(VALU_DEP_1)
	v_lshl_add_u64 v[8:9], v[6:7], 2, s[4:5]
	v_and_b32_e32 v7, 3, v0
	global_load_b64 v[8:9], v[8:9], off
	s_wait_loadcnt 0x0
	v_subrev_nc_u32_e32 v0, s12, v8
	v_subrev_nc_u32_e32 v14, s12, v9
	s_delay_alu instid0(VALU_DEP_2) | instskip(NEXT) | instid1(VALU_DEP_1)
	v_add_nc_u32_e32 v15, v0, v7
	v_cmp_lt_i32_e64 s2, v15, v14
	s_cbranch_scc0 .LBB126_12
; %bb.7:
	v_mov_b64_e32 v[0:1], 0
	v_mov_b64_e32 v[8:9], 0
	s_and_saveexec_b32 s3, s2
	s_cbranch_execz .LBB126_11
; %bb.8:
	v_mad_u32 v10, v15, 24, 22
	v_mov_b64_e32 v[0:1], 0
	v_mov_b64_e32 v[8:9], 0
	v_dual_mov_b32 v13, 0 :: v_dual_mov_b32 v16, v15
	s_mov_b32 s4, 0
.LBB126_9:                              ; =>This Inner Loop Header: Depth=1
	global_load_b32 v11, v16, s[6:7] scale_offset
	v_subrev_nc_u32_e32 v12, 22, v10
	s_wait_xcnt 0x0
	v_dual_mov_b32 v67, v13 :: v_dual_add_nc_u32 v16, 4, v16
	s_delay_alu instid0(VALU_DEP_2) | instskip(SKIP_1) | instid1(VALU_DEP_3)
	v_lshl_add_u64 v[42:43], v[12:13], 3, s[8:9]
	v_add_nc_u32_e32 v12, -14, v10
	v_cmp_ge_i32_e32 vcc_lo, v16, v14
	s_delay_alu instid0(VALU_DEP_2) | instskip(SKIP_3) | instid1(VALU_DEP_1)
	v_lshl_add_u64 v[50:51], v[12:13], 3, s[8:9]
	s_or_b32 s4, vcc_lo, s4
	s_wait_loadcnt 0x0
	v_subrev_nc_u32_e32 v11, s12, v11
	v_mul_lo_u32 v66, v11, 12
	s_delay_alu instid0(VALU_DEP_1)
	v_dual_mov_b32 v11, v13 :: v_dual_add_nc_u32 v12, 4, v66
	v_lshl_add_u64 v[44:45], v[66:67], 3, s[10:11]
	global_load_b128 v[18:21], v[42:43], off
	global_load_b128 v[22:25], v[44:45], off
	s_clause 0x1
	global_load_b128 v[26:29], v[42:43], off offset:16
	global_load_b128 v[30:33], v[42:43], off offset:32
	;; [unrolled: 1-line block ×4, first 2 shown]
	v_lshl_add_u64 v[62:63], v[12:13], 3, s[10:11]
	global_load_b128 v[42:45], v[50:51], off
	global_load_b128 v[46:49], v[62:63], off
	v_add_nc_u32_e32 v12, -12, v10
	s_wait_xcnt 0x1
	s_delay_alu instid0(VALU_DEP_1)
	v_lshl_add_u64 v[50:51], v[12:13], 3, s[8:9]
	v_add_nc_u32_e32 v12, -10, v10
	global_load_b128 v[50:53], v[50:51], off
	v_lshl_add_u64 v[64:65], v[12:13], 3, s[8:9]
	global_load_b128 v[54:57], v[62:63], off offset:16
	global_load_b128 v[58:61], v[64:65], off
	v_add_nc_u32_e32 v12, -8, v10
	s_wait_xcnt 0x1
	s_delay_alu instid0(VALU_DEP_1) | instskip(SKIP_4) | instid1(VALU_DEP_1)
	v_lshl_add_u64 v[62:63], v[12:13], 3, s[8:9]
	v_add_nc_u32_e32 v12, -6, v10
	global_load_b128 v[62:65], v[62:63], off
	v_lshl_add_u64 v[74:75], v[12:13], 3, s[8:9]
	v_add_nc_u32_e32 v12, 8, v66
	v_lshl_add_u64 v[86:87], v[12:13], 3, s[10:11]
	global_load_b128 v[66:69], v[74:75], off
	global_load_b128 v[70:73], v[86:87], off
	v_add_nc_u32_e32 v12, -4, v10
	s_wait_xcnt 0x1
	s_delay_alu instid0(VALU_DEP_1)
	v_lshl_add_u64 v[74:75], v[12:13], 3, s[8:9]
	v_add_nc_u32_e32 v12, -2, v10
	global_load_b128 v[74:77], v[74:75], off
	v_lshl_add_u64 v[88:89], v[12:13], 3, s[8:9]
	global_load_b128 v[78:81], v[86:87], off offset:16
	global_load_b128 v[82:85], v[88:89], off
	s_wait_loadcnt 0xf
	v_fmac_f64_e32 v[0:1], v[18:19], v[22:23]
	v_fmac_f64_e32 v[8:9], v[20:21], v[22:23]
	v_lshl_add_u64 v[18:19], v[10:11], 3, s[8:9]
	v_add_nc_u32_e32 v10, 0x60, v10
	global_load_b128 v[18:21], v[18:19], off
	s_wait_loadcnt 0xf
	v_fmac_f64_e32 v[0:1], v[26:27], v[24:25]
	v_fmac_f64_e32 v[8:9], v[28:29], v[24:25]
	s_wait_loadcnt 0xd
	s_delay_alu instid0(VALU_DEP_2) | instskip(NEXT) | instid1(VALU_DEP_2)
	v_fmac_f64_e32 v[0:1], v[30:31], v[34:35]
	v_fmac_f64_e32 v[8:9], v[32:33], v[34:35]
	s_wait_loadcnt 0xc
	s_delay_alu instid0(VALU_DEP_2) | instskip(NEXT) | instid1(VALU_DEP_2)
	;; [unrolled: 4-line block ×10, first 2 shown]
	v_fmac_f64_e32 v[0:1], v[18:19], v[80:81]
	v_fmac_f64_e32 v[8:9], v[20:21], v[80:81]
	s_and_not1_b32 exec_lo, exec_lo, s4
	s_cbranch_execnz .LBB126_9
; %bb.10:
	s_or_b32 exec_lo, exec_lo, s4
.LBB126_11:
	s_delay_alu instid0(SALU_CYCLE_1)
	s_or_b32 exec_lo, exec_lo, s3
	s_cbranch_execz .LBB126_13
	s_branch .LBB126_18
.LBB126_12:
                                        ; implicit-def: $vgpr0_vgpr1
                                        ; implicit-def: $vgpr8_vgpr9
.LBB126_13:
	v_mov_b64_e32 v[0:1], 0
	v_mov_b64_e32 v[8:9], 0
	s_and_saveexec_b32 s3, s2
	s_cbranch_execz .LBB126_17
; %bb.14:
	v_mad_u32 v12, v15, 24, 23
	v_mov_b64_e32 v[0:1], 0
	v_mov_b64_e32 v[8:9], 0
	v_mov_b32_e32 v11, 0
	s_mov_b32 s2, 0
.LBB126_15:                             ; =>This Inner Loop Header: Depth=1
	global_load_b32 v13, v15, s[6:7] scale_offset
	v_subrev_nc_u32_e32 v10, 23, v12
	v_dual_mov_b32 v49, v11 :: v_dual_add_nc_u32 v20, -11, v12
	s_wait_xcnt 0x0
	v_dual_add_nc_u32 v78, -3, v12 :: v_dual_add_nc_u32 v15, 4, v15
	s_delay_alu instid0(VALU_DEP_3)
	v_lshl_add_u64 v[50:51], v[10:11], 3, s[8:9]
	s_clause 0x1
	global_load_b128 v[16:19], v[50:51], off
	global_load_b64 v[56:57], v20, s[8:9] scale_offset
	v_add_nc_u32_e32 v10, -10, v12
	v_cmp_ge_i32_e32 vcc_lo, v15, v14
	s_or_b32 s2, vcc_lo, s2
	s_wait_loadcnt 0x2
	v_subrev_nc_u32_e32 v13, s12, v13
	s_delay_alu instid0(VALU_DEP_1)
	v_mul_lo_u32 v48, v13, 12
	v_add_nc_u32_e32 v13, -7, v12
	global_load_b64 v[58:59], v10, s[8:9] scale_offset
	s_wait_xcnt 0x0
	v_add_nc_u32_e32 v10, -9, v12
	v_lshl_add_u64 v[32:33], v[48:49], 3, s[10:11]
	global_load_b128 v[20:23], v[32:33], off
	s_clause 0x1
	global_load_b64 v[60:61], v10, s[8:9] scale_offset
	global_load_b128 v[24:27], v[50:51], off offset:16
	global_load_b128 v[28:31], v[32:33], off offset:16
	s_wait_xcnt 0x2
	v_add_nc_u32_e32 v10, -8, v12
	global_load_b64 v[62:63], v10, s[8:9] scale_offset
	s_wait_xcnt 0x0
	v_add_nc_u32_e32 v10, 4, v48
	s_delay_alu instid0(VALU_DEP_1)
	v_lshl_add_u64 v[52:53], v[10:11], 3, s[10:11]
	s_clause 0x1
	global_load_b64 v[64:65], v13, s[8:9] scale_offset
	global_load_b128 v[32:35], v[50:51], off offset:32
	global_load_b128 v[36:39], v[52:53], off
	s_wait_xcnt 0x2
	v_dual_add_nc_u32 v10, -6, v12 :: v_dual_add_nc_u32 v13, -15, v12
	global_load_b64 v[66:67], v10, s[8:9] scale_offset
	s_wait_xcnt 0x0
	v_add_nc_u32_e32 v10, -5, v12
	s_clause 0x1
	global_load_b64 v[68:69], v10, s[8:9] scale_offset
	global_load_b128 v[40:43], v[50:51], off offset:48
	global_load_b128 v[44:47], v[52:53], off offset:16
	s_wait_xcnt 0x2
	v_add_nc_u32_e32 v10, -4, v12
	global_load_b64 v[70:71], v10, s[8:9] scale_offset
	s_wait_xcnt 0x0
	v_add_nc_u32_e32 v10, 8, v48
	s_delay_alu instid0(VALU_DEP_1)
	v_lshl_add_u64 v[72:73], v[10:11], 3, s[10:11]
	s_clause 0x1
	global_load_b64 v[74:75], v13, s[8:9] scale_offset
	global_load_b64 v[76:77], v78, s[8:9] scale_offset
	s_clause 0x1
	global_load_b128 v[48:51], v[72:73], off
	global_load_b128 v[52:55], v[72:73], off offset:16
	s_wait_xcnt 0x3
	v_dual_add_nc_u32 v10, -14, v12 :: v_dual_add_nc_u32 v13, -2, v12
	s_clause 0x1
	global_load_b64 v[72:73], v10, s[8:9] scale_offset
	global_load_b64 v[78:79], v13, s[8:9] scale_offset
	s_wait_xcnt 0x0
	v_dual_add_nc_u32 v10, -13, v12 :: v_dual_add_nc_u32 v13, -1, v12
	global_load_b64 v[80:81], v10, s[8:9] scale_offset
	s_wait_loadcnt 0x13
	v_fmac_f64_e32 v[8:9], v[56:57], v[20:21]
	global_load_b64 v[56:57], v13, s[8:9] scale_offset
	v_fmac_f64_e32 v[0:1], v[16:17], v[20:21]
	s_wait_xcnt 0x1
	v_add_nc_u32_e32 v10, -12, v12
	v_fmac_f64_e32 v[8:9], v[58:59], v[22:23]
	s_delay_alu instid0(VALU_DEP_3)
	v_fmac_f64_e32 v[0:1], v[18:19], v[22:23]
	s_clause 0x1
	global_load_b64 v[16:17], v10, s[8:9] scale_offset
	global_load_b64 v[18:19], v12, s[8:9] scale_offset
	s_wait_xcnt 0x0
	v_add_nc_u32_e32 v12, 0x60, v12
	s_wait_loadcnt 0x13
	v_fmac_f64_e32 v[8:9], v[60:61], v[28:29]
	v_fmac_f64_e32 v[0:1], v[24:25], v[28:29]
	s_wait_loadcnt 0x12
	s_delay_alu instid0(VALU_DEP_2) | instskip(NEXT) | instid1(VALU_DEP_2)
	v_fmac_f64_e32 v[8:9], v[62:63], v[30:31]
	v_fmac_f64_e32 v[0:1], v[26:27], v[30:31]
	s_wait_loadcnt 0xf
	s_delay_alu instid0(VALU_DEP_2) | instskip(NEXT) | instid1(VALU_DEP_2)
	;; [unrolled: 4-line block ×8, first 2 shown]
	v_fmac_f64_e32 v[8:9], v[56:57], v[52:53]
	v_fmac_f64_e32 v[0:1], v[80:81], v[52:53]
	s_wait_loadcnt 0x1
	s_delay_alu instid0(VALU_DEP_1) | instskip(SKIP_1) | instid1(VALU_DEP_3)
	v_fmac_f64_e32 v[0:1], v[16:17], v[54:55]
	s_wait_loadcnt 0x0
	v_fmac_f64_e32 v[8:9], v[18:19], v[54:55]
	s_and_not1_b32 exec_lo, exec_lo, s2
	s_cbranch_execnz .LBB126_15
; %bb.16:
	s_or_b32 exec_lo, exec_lo, s2
.LBB126_17:
	s_delay_alu instid0(SALU_CYCLE_1)
	s_or_b32 exec_lo, exec_lo, s3
.LBB126_18:
	v_mbcnt_lo_u32_b32 v14, -1, 0
	s_delay_alu instid0(VALU_DEP_1) | instskip(NEXT) | instid1(VALU_DEP_1)
	v_xor_b32_e32 v10, 2, v14
	v_cmp_gt_i32_e32 vcc_lo, 32, v10
	v_cndmask_b32_e32 v10, v14, v10, vcc_lo
	s_delay_alu instid0(VALU_DEP_1)
	v_lshlrev_b32_e32 v13, 2, v10
	ds_bpermute_b32 v10, v13, v0
	ds_bpermute_b32 v11, v13, v1
	;; [unrolled: 1-line block ×4, first 2 shown]
	s_wait_dscnt 0x2
	v_add_f64_e32 v[0:1], v[0:1], v[10:11]
	s_wait_dscnt 0x0
	v_dual_add_f64 v[10:11], v[8:9], v[12:13] :: v_dual_bitop2_b32 v8, 1, v14 bitop3:0x14
	s_delay_alu instid0(VALU_DEP_1) | instskip(SKIP_2) | instid1(VALU_DEP_2)
	v_cmp_gt_i32_e32 vcc_lo, 32, v8
	v_cndmask_b32_e32 v8, v14, v8, vcc_lo
	v_cmp_eq_u32_e32 vcc_lo, 3, v7
	v_lshlrev_b32_e32 v13, 2, v8
	ds_bpermute_b32 v8, v13, v0
	ds_bpermute_b32 v9, v13, v1
	;; [unrolled: 1-line block ×4, first 2 shown]
	s_and_b32 exec_lo, exec_lo, vcc_lo
	s_cbranch_execz .LBB126_23
; %bb.19:
	s_wait_dscnt 0x2
	v_add_f64_e32 v[8:9], v[0:1], v[8:9]
	s_wait_dscnt 0x0
	v_add_f64_e32 v[0:1], v[10:11], v[12:13]
	s_load_b64 s[0:1], s[0:1], 0x38
	s_mov_b32 s2, exec_lo
	v_cmpx_eq_f64_e32 0, v[4:5]
	s_xor_b32 s2, exec_lo, s2
	s_cbranch_execz .LBB126_21
; %bb.20:
	s_delay_alu instid0(VALU_DEP_3) | instskip(NEXT) | instid1(VALU_DEP_3)
	v_mul_f64_e32 v[8:9], v[2:3], v[8:9]
	v_dual_mul_f64 v[10:11], v[2:3], v[0:1] :: v_dual_lshlrev_b32 v0, 1, v6
                                        ; implicit-def: $vgpr6
                                        ; implicit-def: $vgpr2_vgpr3
                                        ; implicit-def: $vgpr4_vgpr5
	s_delay_alu instid0(VALU_DEP_1) | instskip(SKIP_1) | instid1(VALU_DEP_1)
	v_ashrrev_i32_e32 v1, 31, v0
	s_wait_kmcnt 0x0
	v_lshl_add_u64 v[0:1], v[0:1], 3, s[0:1]
	global_store_b128 v[0:1], v[8:11], off
                                        ; implicit-def: $vgpr8_vgpr9
                                        ; implicit-def: $vgpr0_vgpr1
.LBB126_21:
	s_wait_xcnt 0x0
	s_and_not1_saveexec_b32 s2, s2
	s_cbranch_execz .LBB126_23
; %bb.22:
	v_lshlrev_b32_e32 v6, 1, v6
	s_delay_alu instid0(VALU_DEP_1) | instskip(SKIP_1) | instid1(VALU_DEP_1)
	v_ashrrev_i32_e32 v7, 31, v6
	s_wait_kmcnt 0x0
	v_lshl_add_u64 v[14:15], v[6:7], 3, s[0:1]
	v_mul_f64_e32 v[6:7], v[2:3], v[8:9]
	v_mul_f64_e32 v[8:9], v[2:3], v[0:1]
	global_load_b128 v[10:13], v[14:15], off
	s_wait_loadcnt 0x0
	v_fmac_f64_e32 v[6:7], v[4:5], v[10:11]
	v_fmac_f64_e32 v[8:9], v[4:5], v[12:13]
	global_store_b128 v[14:15], v[6:9], off
.LBB126_23:
	s_sendmsg sendmsg(MSG_DEALLOC_VGPRS)
	s_endpgm
	.section	.rodata,"a",@progbits
	.p2align	6, 0x0
	.amdhsa_kernel _ZN9rocsparseL19gebsrmvn_2xn_kernelILj128ELj12ELj4EdEEvi20rocsparse_direction_NS_24const_host_device_scalarIT2_EEPKiS6_PKS3_S8_S4_PS3_21rocsparse_index_base_b
		.amdhsa_group_segment_fixed_size 0
		.amdhsa_private_segment_fixed_size 0
		.amdhsa_kernarg_size 72
		.amdhsa_user_sgpr_count 2
		.amdhsa_user_sgpr_dispatch_ptr 0
		.amdhsa_user_sgpr_queue_ptr 0
		.amdhsa_user_sgpr_kernarg_segment_ptr 1
		.amdhsa_user_sgpr_dispatch_id 0
		.amdhsa_user_sgpr_kernarg_preload_length 0
		.amdhsa_user_sgpr_kernarg_preload_offset 0
		.amdhsa_user_sgpr_private_segment_size 0
		.amdhsa_wavefront_size32 1
		.amdhsa_uses_dynamic_stack 0
		.amdhsa_enable_private_segment 0
		.amdhsa_system_sgpr_workgroup_id_x 1
		.amdhsa_system_sgpr_workgroup_id_y 0
		.amdhsa_system_sgpr_workgroup_id_z 0
		.amdhsa_system_sgpr_workgroup_info 0
		.amdhsa_system_vgpr_workitem_id 0
		.amdhsa_next_free_vgpr 90
		.amdhsa_next_free_sgpr 14
		.amdhsa_named_barrier_count 0
		.amdhsa_reserve_vcc 1
		.amdhsa_float_round_mode_32 0
		.amdhsa_float_round_mode_16_64 0
		.amdhsa_float_denorm_mode_32 3
		.amdhsa_float_denorm_mode_16_64 3
		.amdhsa_fp16_overflow 0
		.amdhsa_memory_ordered 1
		.amdhsa_forward_progress 1
		.amdhsa_inst_pref_size 17
		.amdhsa_round_robin_scheduling 0
		.amdhsa_exception_fp_ieee_invalid_op 0
		.amdhsa_exception_fp_denorm_src 0
		.amdhsa_exception_fp_ieee_div_zero 0
		.amdhsa_exception_fp_ieee_overflow 0
		.amdhsa_exception_fp_ieee_underflow 0
		.amdhsa_exception_fp_ieee_inexact 0
		.amdhsa_exception_int_div_zero 0
	.end_amdhsa_kernel
	.section	.text._ZN9rocsparseL19gebsrmvn_2xn_kernelILj128ELj12ELj4EdEEvi20rocsparse_direction_NS_24const_host_device_scalarIT2_EEPKiS6_PKS3_S8_S4_PS3_21rocsparse_index_base_b,"axG",@progbits,_ZN9rocsparseL19gebsrmvn_2xn_kernelILj128ELj12ELj4EdEEvi20rocsparse_direction_NS_24const_host_device_scalarIT2_EEPKiS6_PKS3_S8_S4_PS3_21rocsparse_index_base_b,comdat
.Lfunc_end126:
	.size	_ZN9rocsparseL19gebsrmvn_2xn_kernelILj128ELj12ELj4EdEEvi20rocsparse_direction_NS_24const_host_device_scalarIT2_EEPKiS6_PKS3_S8_S4_PS3_21rocsparse_index_base_b, .Lfunc_end126-_ZN9rocsparseL19gebsrmvn_2xn_kernelILj128ELj12ELj4EdEEvi20rocsparse_direction_NS_24const_host_device_scalarIT2_EEPKiS6_PKS3_S8_S4_PS3_21rocsparse_index_base_b
                                        ; -- End function
	.set _ZN9rocsparseL19gebsrmvn_2xn_kernelILj128ELj12ELj4EdEEvi20rocsparse_direction_NS_24const_host_device_scalarIT2_EEPKiS6_PKS3_S8_S4_PS3_21rocsparse_index_base_b.num_vgpr, 90
	.set _ZN9rocsparseL19gebsrmvn_2xn_kernelILj128ELj12ELj4EdEEvi20rocsparse_direction_NS_24const_host_device_scalarIT2_EEPKiS6_PKS3_S8_S4_PS3_21rocsparse_index_base_b.num_agpr, 0
	.set _ZN9rocsparseL19gebsrmvn_2xn_kernelILj128ELj12ELj4EdEEvi20rocsparse_direction_NS_24const_host_device_scalarIT2_EEPKiS6_PKS3_S8_S4_PS3_21rocsparse_index_base_b.numbered_sgpr, 14
	.set _ZN9rocsparseL19gebsrmvn_2xn_kernelILj128ELj12ELj4EdEEvi20rocsparse_direction_NS_24const_host_device_scalarIT2_EEPKiS6_PKS3_S8_S4_PS3_21rocsparse_index_base_b.num_named_barrier, 0
	.set _ZN9rocsparseL19gebsrmvn_2xn_kernelILj128ELj12ELj4EdEEvi20rocsparse_direction_NS_24const_host_device_scalarIT2_EEPKiS6_PKS3_S8_S4_PS3_21rocsparse_index_base_b.private_seg_size, 0
	.set _ZN9rocsparseL19gebsrmvn_2xn_kernelILj128ELj12ELj4EdEEvi20rocsparse_direction_NS_24const_host_device_scalarIT2_EEPKiS6_PKS3_S8_S4_PS3_21rocsparse_index_base_b.uses_vcc, 1
	.set _ZN9rocsparseL19gebsrmvn_2xn_kernelILj128ELj12ELj4EdEEvi20rocsparse_direction_NS_24const_host_device_scalarIT2_EEPKiS6_PKS3_S8_S4_PS3_21rocsparse_index_base_b.uses_flat_scratch, 0
	.set _ZN9rocsparseL19gebsrmvn_2xn_kernelILj128ELj12ELj4EdEEvi20rocsparse_direction_NS_24const_host_device_scalarIT2_EEPKiS6_PKS3_S8_S4_PS3_21rocsparse_index_base_b.has_dyn_sized_stack, 0
	.set _ZN9rocsparseL19gebsrmvn_2xn_kernelILj128ELj12ELj4EdEEvi20rocsparse_direction_NS_24const_host_device_scalarIT2_EEPKiS6_PKS3_S8_S4_PS3_21rocsparse_index_base_b.has_recursion, 0
	.set _ZN9rocsparseL19gebsrmvn_2xn_kernelILj128ELj12ELj4EdEEvi20rocsparse_direction_NS_24const_host_device_scalarIT2_EEPKiS6_PKS3_S8_S4_PS3_21rocsparse_index_base_b.has_indirect_call, 0
	.section	.AMDGPU.csdata,"",@progbits
; Kernel info:
; codeLenInByte = 2160
; TotalNumSgprs: 16
; NumVgprs: 90
; ScratchSize: 0
; MemoryBound: 1
; FloatMode: 240
; IeeeMode: 1
; LDSByteSize: 0 bytes/workgroup (compile time only)
; SGPRBlocks: 0
; VGPRBlocks: 5
; NumSGPRsForWavesPerEU: 16
; NumVGPRsForWavesPerEU: 90
; NamedBarCnt: 0
; Occupancy: 10
; WaveLimiterHint : 1
; COMPUTE_PGM_RSRC2:SCRATCH_EN: 0
; COMPUTE_PGM_RSRC2:USER_SGPR: 2
; COMPUTE_PGM_RSRC2:TRAP_HANDLER: 0
; COMPUTE_PGM_RSRC2:TGID_X_EN: 1
; COMPUTE_PGM_RSRC2:TGID_Y_EN: 0
; COMPUTE_PGM_RSRC2:TGID_Z_EN: 0
; COMPUTE_PGM_RSRC2:TIDIG_COMP_CNT: 0
	.section	.text._ZN9rocsparseL19gebsrmvn_2xn_kernelILj128ELj12ELj8EdEEvi20rocsparse_direction_NS_24const_host_device_scalarIT2_EEPKiS6_PKS3_S8_S4_PS3_21rocsparse_index_base_b,"axG",@progbits,_ZN9rocsparseL19gebsrmvn_2xn_kernelILj128ELj12ELj8EdEEvi20rocsparse_direction_NS_24const_host_device_scalarIT2_EEPKiS6_PKS3_S8_S4_PS3_21rocsparse_index_base_b,comdat
	.globl	_ZN9rocsparseL19gebsrmvn_2xn_kernelILj128ELj12ELj8EdEEvi20rocsparse_direction_NS_24const_host_device_scalarIT2_EEPKiS6_PKS3_S8_S4_PS3_21rocsparse_index_base_b ; -- Begin function _ZN9rocsparseL19gebsrmvn_2xn_kernelILj128ELj12ELj8EdEEvi20rocsparse_direction_NS_24const_host_device_scalarIT2_EEPKiS6_PKS3_S8_S4_PS3_21rocsparse_index_base_b
	.p2align	8
	.type	_ZN9rocsparseL19gebsrmvn_2xn_kernelILj128ELj12ELj8EdEEvi20rocsparse_direction_NS_24const_host_device_scalarIT2_EEPKiS6_PKS3_S8_S4_PS3_21rocsparse_index_base_b,@function
_ZN9rocsparseL19gebsrmvn_2xn_kernelILj128ELj12ELj8EdEEvi20rocsparse_direction_NS_24const_host_device_scalarIT2_EEPKiS6_PKS3_S8_S4_PS3_21rocsparse_index_base_b: ; @_ZN9rocsparseL19gebsrmvn_2xn_kernelILj128ELj12ELj8EdEEvi20rocsparse_direction_NS_24const_host_device_scalarIT2_EEPKiS6_PKS3_S8_S4_PS3_21rocsparse_index_base_b
; %bb.0:
	s_clause 0x2
	s_load_b64 s[12:13], s[0:1], 0x40
	s_load_b64 s[4:5], s[0:1], 0x8
	s_load_b64 s[2:3], s[0:1], 0x30
	s_wait_kmcnt 0x0
	s_bitcmp1_b32 s13, 0
	v_mov_b64_e32 v[2:3], s[4:5]
	s_cselect_b32 s6, -1, 0
	s_delay_alu instid0(SALU_CYCLE_1)
	s_and_b32 vcc_lo, exec_lo, s6
	s_xor_b32 s6, s6, -1
	s_cbranch_vccnz .LBB127_2
; %bb.1:
	v_mov_b32_e32 v1, 0
	flat_load_b64 v[2:3], v1, s[4:5]
.LBB127_2:
	v_mov_b64_e32 v[4:5], s[2:3]
	s_and_not1_b32 vcc_lo, exec_lo, s6
	s_cbranch_vccnz .LBB127_4
; %bb.3:
	s_wait_xcnt 0x0
	v_mov_b32_e32 v1, 0
	flat_load_b64 v[4:5], v1, s[2:3]
.LBB127_4:
	s_wait_loadcnt_dscnt 0x0
	v_cmp_neq_f64_e32 vcc_lo, 0, v[2:3]
	s_delay_alu instid0(VALU_DEP_2) | instskip(SKIP_1) | instid1(SALU_CYCLE_1)
	v_cmp_neq_f64_e64 s2, 1.0, v[4:5]
	s_or_b32 s2, vcc_lo, s2
	s_and_saveexec_b32 s3, s2
	s_cbranch_execz .LBB127_23
; %bb.5:
	s_load_b64 s[2:3], s[0:1], 0x0
	s_bfe_u32 s4, ttmp6, 0x4000c
	s_and_b32 s5, ttmp6, 15
	s_add_co_i32 s4, s4, 1
	s_getreg_b32 s6, hwreg(HW_REG_IB_STS2, 6, 4)
	s_mul_i32 s4, ttmp9, s4
	v_lshrrev_b32_e32 v1, 3, v0
	s_add_co_i32 s5, s5, s4
	s_cmp_eq_u32 s6, 0
	s_cselect_b32 s4, ttmp9, s5
	s_delay_alu instid0(VALU_DEP_1) | instid1(SALU_CYCLE_1)
	v_lshl_or_b32 v6, s4, 4, v1
	s_wait_kmcnt 0x0
	s_delay_alu instid0(VALU_DEP_1)
	v_cmp_gt_i32_e32 vcc_lo, s2, v6
	s_and_b32 exec_lo, exec_lo, vcc_lo
	s_cbranch_execz .LBB127_23
; %bb.6:
	s_load_b256 s[4:11], s[0:1], 0x10
	v_ashrrev_i32_e32 v7, 31, v6
	s_cmp_lg_u32 s3, 0
	s_wait_kmcnt 0x0
	s_delay_alu instid0(VALU_DEP_1)
	v_lshl_add_u64 v[8:9], v[6:7], 2, s[4:5]
	v_and_b32_e32 v7, 7, v0
	global_load_b64 v[8:9], v[8:9], off
	s_wait_loadcnt 0x0
	v_subrev_nc_u32_e32 v0, s12, v8
	v_subrev_nc_u32_e32 v14, s12, v9
	s_delay_alu instid0(VALU_DEP_2) | instskip(NEXT) | instid1(VALU_DEP_1)
	v_add_nc_u32_e32 v15, v0, v7
	v_cmp_lt_i32_e64 s2, v15, v14
	s_cbranch_scc0 .LBB127_12
; %bb.7:
	v_mov_b64_e32 v[0:1], 0
	v_mov_b64_e32 v[8:9], 0
	s_and_saveexec_b32 s3, s2
	s_cbranch_execz .LBB127_11
; %bb.8:
	v_mad_u32 v10, v15, 24, 22
	v_mov_b64_e32 v[0:1], 0
	v_mov_b64_e32 v[8:9], 0
	v_dual_mov_b32 v13, 0 :: v_dual_mov_b32 v16, v15
	s_mov_b32 s4, 0
.LBB127_9:                              ; =>This Inner Loop Header: Depth=1
	global_load_b32 v11, v16, s[6:7] scale_offset
	v_subrev_nc_u32_e32 v12, 22, v10
	s_wait_xcnt 0x0
	v_dual_mov_b32 v67, v13 :: v_dual_add_nc_u32 v16, 8, v16
	s_delay_alu instid0(VALU_DEP_2) | instskip(SKIP_1) | instid1(VALU_DEP_3)
	v_lshl_add_u64 v[42:43], v[12:13], 3, s[8:9]
	v_add_nc_u32_e32 v12, -14, v10
	v_cmp_ge_i32_e32 vcc_lo, v16, v14
	s_delay_alu instid0(VALU_DEP_2) | instskip(SKIP_3) | instid1(VALU_DEP_1)
	v_lshl_add_u64 v[50:51], v[12:13], 3, s[8:9]
	s_or_b32 s4, vcc_lo, s4
	s_wait_loadcnt 0x0
	v_subrev_nc_u32_e32 v11, s12, v11
	v_mul_lo_u32 v66, v11, 12
	s_delay_alu instid0(VALU_DEP_1)
	v_dual_mov_b32 v11, v13 :: v_dual_add_nc_u32 v12, 4, v66
	v_lshl_add_u64 v[44:45], v[66:67], 3, s[10:11]
	global_load_b128 v[18:21], v[42:43], off
	global_load_b128 v[22:25], v[44:45], off
	s_clause 0x1
	global_load_b128 v[26:29], v[42:43], off offset:16
	global_load_b128 v[30:33], v[42:43], off offset:32
	;; [unrolled: 1-line block ×4, first 2 shown]
	v_lshl_add_u64 v[62:63], v[12:13], 3, s[10:11]
	global_load_b128 v[42:45], v[50:51], off
	global_load_b128 v[46:49], v[62:63], off
	v_add_nc_u32_e32 v12, -12, v10
	s_wait_xcnt 0x1
	s_delay_alu instid0(VALU_DEP_1)
	v_lshl_add_u64 v[50:51], v[12:13], 3, s[8:9]
	v_add_nc_u32_e32 v12, -10, v10
	global_load_b128 v[50:53], v[50:51], off
	v_lshl_add_u64 v[64:65], v[12:13], 3, s[8:9]
	global_load_b128 v[54:57], v[62:63], off offset:16
	global_load_b128 v[58:61], v[64:65], off
	v_add_nc_u32_e32 v12, -8, v10
	s_wait_xcnt 0x1
	s_delay_alu instid0(VALU_DEP_1) | instskip(SKIP_4) | instid1(VALU_DEP_1)
	v_lshl_add_u64 v[62:63], v[12:13], 3, s[8:9]
	v_add_nc_u32_e32 v12, -6, v10
	global_load_b128 v[62:65], v[62:63], off
	v_lshl_add_u64 v[74:75], v[12:13], 3, s[8:9]
	v_add_nc_u32_e32 v12, 8, v66
	v_lshl_add_u64 v[86:87], v[12:13], 3, s[10:11]
	global_load_b128 v[66:69], v[74:75], off
	global_load_b128 v[70:73], v[86:87], off
	v_add_nc_u32_e32 v12, -4, v10
	s_wait_xcnt 0x1
	s_delay_alu instid0(VALU_DEP_1)
	v_lshl_add_u64 v[74:75], v[12:13], 3, s[8:9]
	v_add_nc_u32_e32 v12, -2, v10
	global_load_b128 v[74:77], v[74:75], off
	v_lshl_add_u64 v[88:89], v[12:13], 3, s[8:9]
	global_load_b128 v[78:81], v[86:87], off offset:16
	global_load_b128 v[82:85], v[88:89], off
	s_wait_loadcnt 0xf
	v_fmac_f64_e32 v[0:1], v[18:19], v[22:23]
	v_fmac_f64_e32 v[8:9], v[20:21], v[22:23]
	v_lshl_add_u64 v[18:19], v[10:11], 3, s[8:9]
	v_add_nc_u32_e32 v10, 0xc0, v10
	global_load_b128 v[18:21], v[18:19], off
	s_wait_loadcnt 0xf
	v_fmac_f64_e32 v[0:1], v[26:27], v[24:25]
	v_fmac_f64_e32 v[8:9], v[28:29], v[24:25]
	s_wait_loadcnt 0xd
	s_delay_alu instid0(VALU_DEP_2) | instskip(NEXT) | instid1(VALU_DEP_2)
	v_fmac_f64_e32 v[0:1], v[30:31], v[34:35]
	v_fmac_f64_e32 v[8:9], v[32:33], v[34:35]
	s_wait_loadcnt 0xc
	s_delay_alu instid0(VALU_DEP_2) | instskip(NEXT) | instid1(VALU_DEP_2)
	;; [unrolled: 4-line block ×10, first 2 shown]
	v_fmac_f64_e32 v[0:1], v[18:19], v[80:81]
	v_fmac_f64_e32 v[8:9], v[20:21], v[80:81]
	s_and_not1_b32 exec_lo, exec_lo, s4
	s_cbranch_execnz .LBB127_9
; %bb.10:
	s_or_b32 exec_lo, exec_lo, s4
.LBB127_11:
	s_delay_alu instid0(SALU_CYCLE_1)
	s_or_b32 exec_lo, exec_lo, s3
	s_cbranch_execz .LBB127_13
	s_branch .LBB127_18
.LBB127_12:
                                        ; implicit-def: $vgpr0_vgpr1
                                        ; implicit-def: $vgpr8_vgpr9
.LBB127_13:
	v_mov_b64_e32 v[0:1], 0
	v_mov_b64_e32 v[8:9], 0
	s_and_saveexec_b32 s3, s2
	s_cbranch_execz .LBB127_17
; %bb.14:
	v_mad_u32 v12, v15, 24, 23
	v_mov_b64_e32 v[0:1], 0
	v_mov_b64_e32 v[8:9], 0
	v_mov_b32_e32 v11, 0
	s_mov_b32 s2, 0
.LBB127_15:                             ; =>This Inner Loop Header: Depth=1
	global_load_b32 v13, v15, s[6:7] scale_offset
	v_subrev_nc_u32_e32 v10, 23, v12
	v_dual_mov_b32 v49, v11 :: v_dual_add_nc_u32 v20, -11, v12
	s_wait_xcnt 0x0
	v_dual_add_nc_u32 v78, -3, v12 :: v_dual_add_nc_u32 v15, 8, v15
	s_delay_alu instid0(VALU_DEP_3)
	v_lshl_add_u64 v[50:51], v[10:11], 3, s[8:9]
	s_clause 0x1
	global_load_b128 v[16:19], v[50:51], off
	global_load_b64 v[56:57], v20, s[8:9] scale_offset
	v_add_nc_u32_e32 v10, -10, v12
	v_cmp_ge_i32_e32 vcc_lo, v15, v14
	s_or_b32 s2, vcc_lo, s2
	s_wait_loadcnt 0x2
	v_subrev_nc_u32_e32 v13, s12, v13
	s_delay_alu instid0(VALU_DEP_1)
	v_mul_lo_u32 v48, v13, 12
	v_add_nc_u32_e32 v13, -7, v12
	global_load_b64 v[58:59], v10, s[8:9] scale_offset
	s_wait_xcnt 0x0
	v_add_nc_u32_e32 v10, -9, v12
	v_lshl_add_u64 v[32:33], v[48:49], 3, s[10:11]
	global_load_b128 v[20:23], v[32:33], off
	s_clause 0x1
	global_load_b64 v[60:61], v10, s[8:9] scale_offset
	global_load_b128 v[24:27], v[50:51], off offset:16
	global_load_b128 v[28:31], v[32:33], off offset:16
	s_wait_xcnt 0x2
	v_add_nc_u32_e32 v10, -8, v12
	global_load_b64 v[62:63], v10, s[8:9] scale_offset
	s_wait_xcnt 0x0
	v_add_nc_u32_e32 v10, 4, v48
	s_delay_alu instid0(VALU_DEP_1)
	v_lshl_add_u64 v[52:53], v[10:11], 3, s[10:11]
	s_clause 0x1
	global_load_b64 v[64:65], v13, s[8:9] scale_offset
	global_load_b128 v[32:35], v[50:51], off offset:32
	global_load_b128 v[36:39], v[52:53], off
	s_wait_xcnt 0x2
	v_dual_add_nc_u32 v10, -6, v12 :: v_dual_add_nc_u32 v13, -15, v12
	global_load_b64 v[66:67], v10, s[8:9] scale_offset
	s_wait_xcnt 0x0
	v_add_nc_u32_e32 v10, -5, v12
	s_clause 0x1
	global_load_b64 v[68:69], v10, s[8:9] scale_offset
	global_load_b128 v[40:43], v[50:51], off offset:48
	global_load_b128 v[44:47], v[52:53], off offset:16
	s_wait_xcnt 0x2
	v_add_nc_u32_e32 v10, -4, v12
	global_load_b64 v[70:71], v10, s[8:9] scale_offset
	s_wait_xcnt 0x0
	v_add_nc_u32_e32 v10, 8, v48
	s_delay_alu instid0(VALU_DEP_1)
	v_lshl_add_u64 v[72:73], v[10:11], 3, s[10:11]
	s_clause 0x1
	global_load_b64 v[74:75], v13, s[8:9] scale_offset
	global_load_b64 v[76:77], v78, s[8:9] scale_offset
	s_clause 0x1
	global_load_b128 v[48:51], v[72:73], off
	global_load_b128 v[52:55], v[72:73], off offset:16
	s_wait_xcnt 0x3
	v_dual_add_nc_u32 v10, -14, v12 :: v_dual_add_nc_u32 v13, -2, v12
	s_clause 0x1
	global_load_b64 v[72:73], v10, s[8:9] scale_offset
	global_load_b64 v[78:79], v13, s[8:9] scale_offset
	s_wait_xcnt 0x0
	v_dual_add_nc_u32 v10, -13, v12 :: v_dual_add_nc_u32 v13, -1, v12
	global_load_b64 v[80:81], v10, s[8:9] scale_offset
	s_wait_loadcnt 0x13
	v_fmac_f64_e32 v[8:9], v[56:57], v[20:21]
	global_load_b64 v[56:57], v13, s[8:9] scale_offset
	v_fmac_f64_e32 v[0:1], v[16:17], v[20:21]
	s_wait_xcnt 0x1
	v_add_nc_u32_e32 v10, -12, v12
	v_fmac_f64_e32 v[8:9], v[58:59], v[22:23]
	s_delay_alu instid0(VALU_DEP_3)
	v_fmac_f64_e32 v[0:1], v[18:19], v[22:23]
	s_clause 0x1
	global_load_b64 v[16:17], v10, s[8:9] scale_offset
	global_load_b64 v[18:19], v12, s[8:9] scale_offset
	s_wait_xcnt 0x0
	v_add_nc_u32_e32 v12, 0xc0, v12
	s_wait_loadcnt 0x13
	v_fmac_f64_e32 v[8:9], v[60:61], v[28:29]
	v_fmac_f64_e32 v[0:1], v[24:25], v[28:29]
	s_wait_loadcnt 0x12
	s_delay_alu instid0(VALU_DEP_2) | instskip(NEXT) | instid1(VALU_DEP_2)
	v_fmac_f64_e32 v[8:9], v[62:63], v[30:31]
	v_fmac_f64_e32 v[0:1], v[26:27], v[30:31]
	s_wait_loadcnt 0xf
	s_delay_alu instid0(VALU_DEP_2) | instskip(NEXT) | instid1(VALU_DEP_2)
	;; [unrolled: 4-line block ×8, first 2 shown]
	v_fmac_f64_e32 v[8:9], v[56:57], v[52:53]
	v_fmac_f64_e32 v[0:1], v[80:81], v[52:53]
	s_wait_loadcnt 0x1
	s_delay_alu instid0(VALU_DEP_1) | instskip(SKIP_1) | instid1(VALU_DEP_3)
	v_fmac_f64_e32 v[0:1], v[16:17], v[54:55]
	s_wait_loadcnt 0x0
	v_fmac_f64_e32 v[8:9], v[18:19], v[54:55]
	s_and_not1_b32 exec_lo, exec_lo, s2
	s_cbranch_execnz .LBB127_15
; %bb.16:
	s_or_b32 exec_lo, exec_lo, s2
.LBB127_17:
	s_delay_alu instid0(SALU_CYCLE_1)
	s_or_b32 exec_lo, exec_lo, s3
.LBB127_18:
	v_mbcnt_lo_u32_b32 v14, -1, 0
	s_delay_alu instid0(VALU_DEP_1) | instskip(NEXT) | instid1(VALU_DEP_1)
	v_xor_b32_e32 v10, 4, v14
	v_cmp_gt_i32_e32 vcc_lo, 32, v10
	v_cndmask_b32_e32 v10, v14, v10, vcc_lo
	s_delay_alu instid0(VALU_DEP_1)
	v_lshlrev_b32_e32 v13, 2, v10
	ds_bpermute_b32 v10, v13, v0
	ds_bpermute_b32 v11, v13, v1
	s_wait_dscnt 0x0
	v_add_f64_e32 v[0:1], v[0:1], v[10:11]
	v_xor_b32_e32 v10, 2, v14
	s_delay_alu instid0(VALU_DEP_1)
	v_cmp_gt_i32_e32 vcc_lo, 32, v10
	v_cndmask_b32_e32 v10, v14, v10, vcc_lo
	ds_bpermute_b32 v12, v13, v8
	ds_bpermute_b32 v13, v13, v9
	s_wait_dscnt 0x0
	v_dual_add_f64 v[8:9], v[8:9], v[12:13] :: v_dual_lshlrev_b32 v13, 2, v10
	ds_bpermute_b32 v10, v13, v0
	ds_bpermute_b32 v11, v13, v1
	s_wait_dscnt 0x0
	v_add_f64_e32 v[0:1], v[0:1], v[10:11]
	ds_bpermute_b32 v12, v13, v8
	ds_bpermute_b32 v13, v13, v9
	s_wait_dscnt 0x0
	v_dual_add_f64 v[10:11], v[8:9], v[12:13] :: v_dual_bitop2_b32 v8, 1, v14 bitop3:0x14
	s_delay_alu instid0(VALU_DEP_1) | instskip(SKIP_2) | instid1(VALU_DEP_2)
	v_cmp_gt_i32_e32 vcc_lo, 32, v8
	v_cndmask_b32_e32 v8, v14, v8, vcc_lo
	v_cmp_eq_u32_e32 vcc_lo, 7, v7
	v_lshlrev_b32_e32 v13, 2, v8
	ds_bpermute_b32 v8, v13, v0
	ds_bpermute_b32 v9, v13, v1
	;; [unrolled: 1-line block ×4, first 2 shown]
	s_and_b32 exec_lo, exec_lo, vcc_lo
	s_cbranch_execz .LBB127_23
; %bb.19:
	s_wait_dscnt 0x2
	v_add_f64_e32 v[8:9], v[0:1], v[8:9]
	s_wait_dscnt 0x0
	v_add_f64_e32 v[0:1], v[10:11], v[12:13]
	s_load_b64 s[0:1], s[0:1], 0x38
	s_mov_b32 s2, exec_lo
	v_cmpx_eq_f64_e32 0, v[4:5]
	s_xor_b32 s2, exec_lo, s2
	s_cbranch_execz .LBB127_21
; %bb.20:
	s_delay_alu instid0(VALU_DEP_3) | instskip(NEXT) | instid1(VALU_DEP_3)
	v_mul_f64_e32 v[8:9], v[2:3], v[8:9]
	v_dual_mul_f64 v[10:11], v[2:3], v[0:1] :: v_dual_lshlrev_b32 v0, 1, v6
                                        ; implicit-def: $vgpr6
                                        ; implicit-def: $vgpr2_vgpr3
                                        ; implicit-def: $vgpr4_vgpr5
	s_delay_alu instid0(VALU_DEP_1) | instskip(SKIP_1) | instid1(VALU_DEP_1)
	v_ashrrev_i32_e32 v1, 31, v0
	s_wait_kmcnt 0x0
	v_lshl_add_u64 v[0:1], v[0:1], 3, s[0:1]
	global_store_b128 v[0:1], v[8:11], off
                                        ; implicit-def: $vgpr8_vgpr9
                                        ; implicit-def: $vgpr0_vgpr1
.LBB127_21:
	s_wait_xcnt 0x0
	s_and_not1_saveexec_b32 s2, s2
	s_cbranch_execz .LBB127_23
; %bb.22:
	v_lshlrev_b32_e32 v6, 1, v6
	s_delay_alu instid0(VALU_DEP_1) | instskip(SKIP_1) | instid1(VALU_DEP_1)
	v_ashrrev_i32_e32 v7, 31, v6
	s_wait_kmcnt 0x0
	v_lshl_add_u64 v[14:15], v[6:7], 3, s[0:1]
	v_mul_f64_e32 v[6:7], v[2:3], v[8:9]
	v_mul_f64_e32 v[8:9], v[2:3], v[0:1]
	global_load_b128 v[10:13], v[14:15], off
	s_wait_loadcnt 0x0
	v_fmac_f64_e32 v[6:7], v[4:5], v[10:11]
	v_fmac_f64_e32 v[8:9], v[4:5], v[12:13]
	global_store_b128 v[14:15], v[6:9], off
.LBB127_23:
	s_sendmsg sendmsg(MSG_DEALLOC_VGPRS)
	s_endpgm
	.section	.rodata,"a",@progbits
	.p2align	6, 0x0
	.amdhsa_kernel _ZN9rocsparseL19gebsrmvn_2xn_kernelILj128ELj12ELj8EdEEvi20rocsparse_direction_NS_24const_host_device_scalarIT2_EEPKiS6_PKS3_S8_S4_PS3_21rocsparse_index_base_b
		.amdhsa_group_segment_fixed_size 0
		.amdhsa_private_segment_fixed_size 0
		.amdhsa_kernarg_size 72
		.amdhsa_user_sgpr_count 2
		.amdhsa_user_sgpr_dispatch_ptr 0
		.amdhsa_user_sgpr_queue_ptr 0
		.amdhsa_user_sgpr_kernarg_segment_ptr 1
		.amdhsa_user_sgpr_dispatch_id 0
		.amdhsa_user_sgpr_kernarg_preload_length 0
		.amdhsa_user_sgpr_kernarg_preload_offset 0
		.amdhsa_user_sgpr_private_segment_size 0
		.amdhsa_wavefront_size32 1
		.amdhsa_uses_dynamic_stack 0
		.amdhsa_enable_private_segment 0
		.amdhsa_system_sgpr_workgroup_id_x 1
		.amdhsa_system_sgpr_workgroup_id_y 0
		.amdhsa_system_sgpr_workgroup_id_z 0
		.amdhsa_system_sgpr_workgroup_info 0
		.amdhsa_system_vgpr_workitem_id 0
		.amdhsa_next_free_vgpr 90
		.amdhsa_next_free_sgpr 14
		.amdhsa_named_barrier_count 0
		.amdhsa_reserve_vcc 1
		.amdhsa_float_round_mode_32 0
		.amdhsa_float_round_mode_16_64 0
		.amdhsa_float_denorm_mode_32 3
		.amdhsa_float_denorm_mode_16_64 3
		.amdhsa_fp16_overflow 0
		.amdhsa_memory_ordered 1
		.amdhsa_forward_progress 1
		.amdhsa_inst_pref_size 18
		.amdhsa_round_robin_scheduling 0
		.amdhsa_exception_fp_ieee_invalid_op 0
		.amdhsa_exception_fp_denorm_src 0
		.amdhsa_exception_fp_ieee_div_zero 0
		.amdhsa_exception_fp_ieee_overflow 0
		.amdhsa_exception_fp_ieee_underflow 0
		.amdhsa_exception_fp_ieee_inexact 0
		.amdhsa_exception_int_div_zero 0
	.end_amdhsa_kernel
	.section	.text._ZN9rocsparseL19gebsrmvn_2xn_kernelILj128ELj12ELj8EdEEvi20rocsparse_direction_NS_24const_host_device_scalarIT2_EEPKiS6_PKS3_S8_S4_PS3_21rocsparse_index_base_b,"axG",@progbits,_ZN9rocsparseL19gebsrmvn_2xn_kernelILj128ELj12ELj8EdEEvi20rocsparse_direction_NS_24const_host_device_scalarIT2_EEPKiS6_PKS3_S8_S4_PS3_21rocsparse_index_base_b,comdat
.Lfunc_end127:
	.size	_ZN9rocsparseL19gebsrmvn_2xn_kernelILj128ELj12ELj8EdEEvi20rocsparse_direction_NS_24const_host_device_scalarIT2_EEPKiS6_PKS3_S8_S4_PS3_21rocsparse_index_base_b, .Lfunc_end127-_ZN9rocsparseL19gebsrmvn_2xn_kernelILj128ELj12ELj8EdEEvi20rocsparse_direction_NS_24const_host_device_scalarIT2_EEPKiS6_PKS3_S8_S4_PS3_21rocsparse_index_base_b
                                        ; -- End function
	.set _ZN9rocsparseL19gebsrmvn_2xn_kernelILj128ELj12ELj8EdEEvi20rocsparse_direction_NS_24const_host_device_scalarIT2_EEPKiS6_PKS3_S8_S4_PS3_21rocsparse_index_base_b.num_vgpr, 90
	.set _ZN9rocsparseL19gebsrmvn_2xn_kernelILj128ELj12ELj8EdEEvi20rocsparse_direction_NS_24const_host_device_scalarIT2_EEPKiS6_PKS3_S8_S4_PS3_21rocsparse_index_base_b.num_agpr, 0
	.set _ZN9rocsparseL19gebsrmvn_2xn_kernelILj128ELj12ELj8EdEEvi20rocsparse_direction_NS_24const_host_device_scalarIT2_EEPKiS6_PKS3_S8_S4_PS3_21rocsparse_index_base_b.numbered_sgpr, 14
	.set _ZN9rocsparseL19gebsrmvn_2xn_kernelILj128ELj12ELj8EdEEvi20rocsparse_direction_NS_24const_host_device_scalarIT2_EEPKiS6_PKS3_S8_S4_PS3_21rocsparse_index_base_b.num_named_barrier, 0
	.set _ZN9rocsparseL19gebsrmvn_2xn_kernelILj128ELj12ELj8EdEEvi20rocsparse_direction_NS_24const_host_device_scalarIT2_EEPKiS6_PKS3_S8_S4_PS3_21rocsparse_index_base_b.private_seg_size, 0
	.set _ZN9rocsparseL19gebsrmvn_2xn_kernelILj128ELj12ELj8EdEEvi20rocsparse_direction_NS_24const_host_device_scalarIT2_EEPKiS6_PKS3_S8_S4_PS3_21rocsparse_index_base_b.uses_vcc, 1
	.set _ZN9rocsparseL19gebsrmvn_2xn_kernelILj128ELj12ELj8EdEEvi20rocsparse_direction_NS_24const_host_device_scalarIT2_EEPKiS6_PKS3_S8_S4_PS3_21rocsparse_index_base_b.uses_flat_scratch, 0
	.set _ZN9rocsparseL19gebsrmvn_2xn_kernelILj128ELj12ELj8EdEEvi20rocsparse_direction_NS_24const_host_device_scalarIT2_EEPKiS6_PKS3_S8_S4_PS3_21rocsparse_index_base_b.has_dyn_sized_stack, 0
	.set _ZN9rocsparseL19gebsrmvn_2xn_kernelILj128ELj12ELj8EdEEvi20rocsparse_direction_NS_24const_host_device_scalarIT2_EEPKiS6_PKS3_S8_S4_PS3_21rocsparse_index_base_b.has_recursion, 0
	.set _ZN9rocsparseL19gebsrmvn_2xn_kernelILj128ELj12ELj8EdEEvi20rocsparse_direction_NS_24const_host_device_scalarIT2_EEPKiS6_PKS3_S8_S4_PS3_21rocsparse_index_base_b.has_indirect_call, 0
	.section	.AMDGPU.csdata,"",@progbits
; Kernel info:
; codeLenInByte = 2232
; TotalNumSgprs: 16
; NumVgprs: 90
; ScratchSize: 0
; MemoryBound: 1
; FloatMode: 240
; IeeeMode: 1
; LDSByteSize: 0 bytes/workgroup (compile time only)
; SGPRBlocks: 0
; VGPRBlocks: 5
; NumSGPRsForWavesPerEU: 16
; NumVGPRsForWavesPerEU: 90
; NamedBarCnt: 0
; Occupancy: 10
; WaveLimiterHint : 1
; COMPUTE_PGM_RSRC2:SCRATCH_EN: 0
; COMPUTE_PGM_RSRC2:USER_SGPR: 2
; COMPUTE_PGM_RSRC2:TRAP_HANDLER: 0
; COMPUTE_PGM_RSRC2:TGID_X_EN: 1
; COMPUTE_PGM_RSRC2:TGID_Y_EN: 0
; COMPUTE_PGM_RSRC2:TGID_Z_EN: 0
; COMPUTE_PGM_RSRC2:TIDIG_COMP_CNT: 0
	.section	.text._ZN9rocsparseL19gebsrmvn_2xn_kernelILj128ELj12ELj16EdEEvi20rocsparse_direction_NS_24const_host_device_scalarIT2_EEPKiS6_PKS3_S8_S4_PS3_21rocsparse_index_base_b,"axG",@progbits,_ZN9rocsparseL19gebsrmvn_2xn_kernelILj128ELj12ELj16EdEEvi20rocsparse_direction_NS_24const_host_device_scalarIT2_EEPKiS6_PKS3_S8_S4_PS3_21rocsparse_index_base_b,comdat
	.globl	_ZN9rocsparseL19gebsrmvn_2xn_kernelILj128ELj12ELj16EdEEvi20rocsparse_direction_NS_24const_host_device_scalarIT2_EEPKiS6_PKS3_S8_S4_PS3_21rocsparse_index_base_b ; -- Begin function _ZN9rocsparseL19gebsrmvn_2xn_kernelILj128ELj12ELj16EdEEvi20rocsparse_direction_NS_24const_host_device_scalarIT2_EEPKiS6_PKS3_S8_S4_PS3_21rocsparse_index_base_b
	.p2align	8
	.type	_ZN9rocsparseL19gebsrmvn_2xn_kernelILj128ELj12ELj16EdEEvi20rocsparse_direction_NS_24const_host_device_scalarIT2_EEPKiS6_PKS3_S8_S4_PS3_21rocsparse_index_base_b,@function
_ZN9rocsparseL19gebsrmvn_2xn_kernelILj128ELj12ELj16EdEEvi20rocsparse_direction_NS_24const_host_device_scalarIT2_EEPKiS6_PKS3_S8_S4_PS3_21rocsparse_index_base_b: ; @_ZN9rocsparseL19gebsrmvn_2xn_kernelILj128ELj12ELj16EdEEvi20rocsparse_direction_NS_24const_host_device_scalarIT2_EEPKiS6_PKS3_S8_S4_PS3_21rocsparse_index_base_b
; %bb.0:
	s_clause 0x2
	s_load_b64 s[12:13], s[0:1], 0x40
	s_load_b64 s[4:5], s[0:1], 0x8
	;; [unrolled: 1-line block ×3, first 2 shown]
	s_wait_kmcnt 0x0
	s_bitcmp1_b32 s13, 0
	v_mov_b64_e32 v[2:3], s[4:5]
	s_cselect_b32 s6, -1, 0
	s_delay_alu instid0(SALU_CYCLE_1)
	s_and_b32 vcc_lo, exec_lo, s6
	s_xor_b32 s6, s6, -1
	s_cbranch_vccnz .LBB128_2
; %bb.1:
	v_mov_b32_e32 v1, 0
	flat_load_b64 v[2:3], v1, s[4:5]
.LBB128_2:
	v_mov_b64_e32 v[4:5], s[2:3]
	s_and_not1_b32 vcc_lo, exec_lo, s6
	s_cbranch_vccnz .LBB128_4
; %bb.3:
	s_wait_xcnt 0x0
	v_mov_b32_e32 v1, 0
	flat_load_b64 v[4:5], v1, s[2:3]
.LBB128_4:
	s_wait_loadcnt_dscnt 0x0
	v_cmp_neq_f64_e32 vcc_lo, 0, v[2:3]
	s_delay_alu instid0(VALU_DEP_2) | instskip(SKIP_1) | instid1(SALU_CYCLE_1)
	v_cmp_neq_f64_e64 s2, 1.0, v[4:5]
	s_or_b32 s2, vcc_lo, s2
	s_and_saveexec_b32 s3, s2
	s_cbranch_execz .LBB128_23
; %bb.5:
	s_load_b64 s[2:3], s[0:1], 0x0
	s_bfe_u32 s4, ttmp6, 0x4000c
	s_and_b32 s5, ttmp6, 15
	s_add_co_i32 s4, s4, 1
	s_getreg_b32 s6, hwreg(HW_REG_IB_STS2, 6, 4)
	s_mul_i32 s4, ttmp9, s4
	v_lshrrev_b32_e32 v1, 4, v0
	s_add_co_i32 s5, s5, s4
	s_cmp_eq_u32 s6, 0
	s_cselect_b32 s4, ttmp9, s5
	s_delay_alu instid0(VALU_DEP_1) | instid1(SALU_CYCLE_1)
	v_lshl_or_b32 v6, s4, 3, v1
	s_wait_kmcnt 0x0
	s_delay_alu instid0(VALU_DEP_1)
	v_cmp_gt_i32_e32 vcc_lo, s2, v6
	s_and_b32 exec_lo, exec_lo, vcc_lo
	s_cbranch_execz .LBB128_23
; %bb.6:
	s_load_b256 s[4:11], s[0:1], 0x10
	v_ashrrev_i32_e32 v7, 31, v6
	s_cmp_lg_u32 s3, 0
	s_wait_kmcnt 0x0
	s_delay_alu instid0(VALU_DEP_1)
	v_lshl_add_u64 v[8:9], v[6:7], 2, s[4:5]
	v_and_b32_e32 v7, 15, v0
	global_load_b64 v[8:9], v[8:9], off
	s_wait_loadcnt 0x0
	v_subrev_nc_u32_e32 v0, s12, v8
	v_subrev_nc_u32_e32 v14, s12, v9
	s_delay_alu instid0(VALU_DEP_2) | instskip(NEXT) | instid1(VALU_DEP_1)
	v_add_nc_u32_e32 v15, v0, v7
	v_cmp_lt_i32_e64 s2, v15, v14
	s_cbranch_scc0 .LBB128_12
; %bb.7:
	v_mov_b64_e32 v[0:1], 0
	v_mov_b64_e32 v[8:9], 0
	s_and_saveexec_b32 s3, s2
	s_cbranch_execz .LBB128_11
; %bb.8:
	v_mad_u32 v10, v15, 24, 22
	v_mov_b64_e32 v[0:1], 0
	v_mov_b64_e32 v[8:9], 0
	v_dual_mov_b32 v13, 0 :: v_dual_mov_b32 v16, v15
	s_mov_b32 s4, 0
.LBB128_9:                              ; =>This Inner Loop Header: Depth=1
	global_load_b32 v11, v16, s[6:7] scale_offset
	v_subrev_nc_u32_e32 v12, 22, v10
	s_wait_xcnt 0x0
	v_dual_mov_b32 v67, v13 :: v_dual_add_nc_u32 v16, 16, v16
	s_delay_alu instid0(VALU_DEP_2) | instskip(SKIP_1) | instid1(VALU_DEP_3)
	v_lshl_add_u64 v[42:43], v[12:13], 3, s[8:9]
	v_add_nc_u32_e32 v12, -14, v10
	v_cmp_ge_i32_e32 vcc_lo, v16, v14
	s_delay_alu instid0(VALU_DEP_2) | instskip(SKIP_3) | instid1(VALU_DEP_1)
	v_lshl_add_u64 v[50:51], v[12:13], 3, s[8:9]
	s_or_b32 s4, vcc_lo, s4
	s_wait_loadcnt 0x0
	v_subrev_nc_u32_e32 v11, s12, v11
	v_mul_lo_u32 v66, v11, 12
	s_delay_alu instid0(VALU_DEP_1)
	v_dual_mov_b32 v11, v13 :: v_dual_add_nc_u32 v12, 4, v66
	v_lshl_add_u64 v[44:45], v[66:67], 3, s[10:11]
	global_load_b128 v[18:21], v[42:43], off
	global_load_b128 v[22:25], v[44:45], off
	s_clause 0x1
	global_load_b128 v[26:29], v[42:43], off offset:16
	global_load_b128 v[30:33], v[42:43], off offset:32
	;; [unrolled: 1-line block ×4, first 2 shown]
	v_lshl_add_u64 v[62:63], v[12:13], 3, s[10:11]
	global_load_b128 v[42:45], v[50:51], off
	global_load_b128 v[46:49], v[62:63], off
	v_add_nc_u32_e32 v12, -12, v10
	s_wait_xcnt 0x1
	s_delay_alu instid0(VALU_DEP_1)
	v_lshl_add_u64 v[50:51], v[12:13], 3, s[8:9]
	v_add_nc_u32_e32 v12, -10, v10
	global_load_b128 v[50:53], v[50:51], off
	v_lshl_add_u64 v[64:65], v[12:13], 3, s[8:9]
	global_load_b128 v[54:57], v[62:63], off offset:16
	global_load_b128 v[58:61], v[64:65], off
	v_add_nc_u32_e32 v12, -8, v10
	s_wait_xcnt 0x1
	s_delay_alu instid0(VALU_DEP_1) | instskip(SKIP_4) | instid1(VALU_DEP_1)
	v_lshl_add_u64 v[62:63], v[12:13], 3, s[8:9]
	v_add_nc_u32_e32 v12, -6, v10
	global_load_b128 v[62:65], v[62:63], off
	v_lshl_add_u64 v[74:75], v[12:13], 3, s[8:9]
	v_add_nc_u32_e32 v12, 8, v66
	v_lshl_add_u64 v[86:87], v[12:13], 3, s[10:11]
	global_load_b128 v[66:69], v[74:75], off
	global_load_b128 v[70:73], v[86:87], off
	v_add_nc_u32_e32 v12, -4, v10
	s_wait_xcnt 0x1
	s_delay_alu instid0(VALU_DEP_1)
	v_lshl_add_u64 v[74:75], v[12:13], 3, s[8:9]
	v_add_nc_u32_e32 v12, -2, v10
	global_load_b128 v[74:77], v[74:75], off
	v_lshl_add_u64 v[88:89], v[12:13], 3, s[8:9]
	global_load_b128 v[78:81], v[86:87], off offset:16
	global_load_b128 v[82:85], v[88:89], off
	s_wait_loadcnt 0xf
	v_fmac_f64_e32 v[0:1], v[18:19], v[22:23]
	v_fmac_f64_e32 v[8:9], v[20:21], v[22:23]
	v_lshl_add_u64 v[18:19], v[10:11], 3, s[8:9]
	v_add_nc_u32_e32 v10, 0x180, v10
	global_load_b128 v[18:21], v[18:19], off
	s_wait_loadcnt 0xf
	v_fmac_f64_e32 v[0:1], v[26:27], v[24:25]
	v_fmac_f64_e32 v[8:9], v[28:29], v[24:25]
	s_wait_loadcnt 0xd
	s_delay_alu instid0(VALU_DEP_2) | instskip(NEXT) | instid1(VALU_DEP_2)
	v_fmac_f64_e32 v[0:1], v[30:31], v[34:35]
	v_fmac_f64_e32 v[8:9], v[32:33], v[34:35]
	s_wait_loadcnt 0xc
	s_delay_alu instid0(VALU_DEP_2) | instskip(NEXT) | instid1(VALU_DEP_2)
	v_fmac_f64_e32 v[0:1], v[38:39], v[36:37]
	v_fmac_f64_e32 v[8:9], v[40:41], v[36:37]
	s_wait_loadcnt 0xa
	s_delay_alu instid0(VALU_DEP_2) | instskip(NEXT) | instid1(VALU_DEP_2)
	v_fmac_f64_e32 v[0:1], v[42:43], v[46:47]
	v_fmac_f64_e32 v[8:9], v[44:45], v[46:47]
	s_wait_loadcnt 0x9
	s_delay_alu instid0(VALU_DEP_2) | instskip(NEXT) | instid1(VALU_DEP_2)
	v_fmac_f64_e32 v[0:1], v[50:51], v[48:49]
	v_fmac_f64_e32 v[8:9], v[52:53], v[48:49]
	s_wait_loadcnt 0x7
	s_delay_alu instid0(VALU_DEP_2) | instskip(NEXT) | instid1(VALU_DEP_2)
	v_fmac_f64_e32 v[0:1], v[58:59], v[54:55]
	v_fmac_f64_e32 v[8:9], v[60:61], v[54:55]
	s_wait_loadcnt 0x6
	s_delay_alu instid0(VALU_DEP_2) | instskip(NEXT) | instid1(VALU_DEP_2)
	v_fmac_f64_e32 v[0:1], v[62:63], v[56:57]
	v_fmac_f64_e32 v[8:9], v[64:65], v[56:57]
	s_wait_loadcnt 0x4
	s_delay_alu instid0(VALU_DEP_2) | instskip(NEXT) | instid1(VALU_DEP_2)
	v_fmac_f64_e32 v[0:1], v[66:67], v[70:71]
	v_fmac_f64_e32 v[8:9], v[68:69], v[70:71]
	s_wait_loadcnt 0x3
	s_delay_alu instid0(VALU_DEP_2) | instskip(NEXT) | instid1(VALU_DEP_2)
	v_fmac_f64_e32 v[0:1], v[74:75], v[72:73]
	v_fmac_f64_e32 v[8:9], v[76:77], v[72:73]
	s_wait_loadcnt 0x1
	s_delay_alu instid0(VALU_DEP_2) | instskip(NEXT) | instid1(VALU_DEP_2)
	v_fmac_f64_e32 v[0:1], v[82:83], v[78:79]
	v_fmac_f64_e32 v[8:9], v[84:85], v[78:79]
	s_wait_loadcnt 0x0
	s_delay_alu instid0(VALU_DEP_2) | instskip(NEXT) | instid1(VALU_DEP_2)
	v_fmac_f64_e32 v[0:1], v[18:19], v[80:81]
	v_fmac_f64_e32 v[8:9], v[20:21], v[80:81]
	s_and_not1_b32 exec_lo, exec_lo, s4
	s_cbranch_execnz .LBB128_9
; %bb.10:
	s_or_b32 exec_lo, exec_lo, s4
.LBB128_11:
	s_delay_alu instid0(SALU_CYCLE_1)
	s_or_b32 exec_lo, exec_lo, s3
	s_cbranch_execz .LBB128_13
	s_branch .LBB128_18
.LBB128_12:
                                        ; implicit-def: $vgpr0_vgpr1
                                        ; implicit-def: $vgpr8_vgpr9
.LBB128_13:
	v_mov_b64_e32 v[0:1], 0
	v_mov_b64_e32 v[8:9], 0
	s_and_saveexec_b32 s3, s2
	s_cbranch_execz .LBB128_17
; %bb.14:
	v_mad_u32 v12, v15, 24, 23
	v_mov_b64_e32 v[0:1], 0
	v_mov_b64_e32 v[8:9], 0
	v_mov_b32_e32 v11, 0
	s_mov_b32 s2, 0
.LBB128_15:                             ; =>This Inner Loop Header: Depth=1
	global_load_b32 v13, v15, s[6:7] scale_offset
	v_subrev_nc_u32_e32 v10, 23, v12
	v_dual_mov_b32 v49, v11 :: v_dual_add_nc_u32 v20, -11, v12
	s_wait_xcnt 0x0
	v_dual_add_nc_u32 v78, -3, v12 :: v_dual_add_nc_u32 v15, 16, v15
	s_delay_alu instid0(VALU_DEP_3)
	v_lshl_add_u64 v[50:51], v[10:11], 3, s[8:9]
	s_clause 0x1
	global_load_b128 v[16:19], v[50:51], off
	global_load_b64 v[56:57], v20, s[8:9] scale_offset
	v_add_nc_u32_e32 v10, -10, v12
	v_cmp_ge_i32_e32 vcc_lo, v15, v14
	s_or_b32 s2, vcc_lo, s2
	s_wait_loadcnt 0x2
	v_subrev_nc_u32_e32 v13, s12, v13
	s_delay_alu instid0(VALU_DEP_1)
	v_mul_lo_u32 v48, v13, 12
	v_add_nc_u32_e32 v13, -7, v12
	global_load_b64 v[58:59], v10, s[8:9] scale_offset
	s_wait_xcnt 0x0
	v_add_nc_u32_e32 v10, -9, v12
	v_lshl_add_u64 v[32:33], v[48:49], 3, s[10:11]
	global_load_b128 v[20:23], v[32:33], off
	s_clause 0x1
	global_load_b64 v[60:61], v10, s[8:9] scale_offset
	global_load_b128 v[24:27], v[50:51], off offset:16
	global_load_b128 v[28:31], v[32:33], off offset:16
	s_wait_xcnt 0x2
	v_add_nc_u32_e32 v10, -8, v12
	global_load_b64 v[62:63], v10, s[8:9] scale_offset
	s_wait_xcnt 0x0
	v_add_nc_u32_e32 v10, 4, v48
	s_delay_alu instid0(VALU_DEP_1)
	v_lshl_add_u64 v[52:53], v[10:11], 3, s[10:11]
	s_clause 0x1
	global_load_b64 v[64:65], v13, s[8:9] scale_offset
	global_load_b128 v[32:35], v[50:51], off offset:32
	global_load_b128 v[36:39], v[52:53], off
	s_wait_xcnt 0x2
	v_dual_add_nc_u32 v10, -6, v12 :: v_dual_add_nc_u32 v13, -15, v12
	global_load_b64 v[66:67], v10, s[8:9] scale_offset
	s_wait_xcnt 0x0
	v_add_nc_u32_e32 v10, -5, v12
	s_clause 0x1
	global_load_b64 v[68:69], v10, s[8:9] scale_offset
	global_load_b128 v[40:43], v[50:51], off offset:48
	global_load_b128 v[44:47], v[52:53], off offset:16
	s_wait_xcnt 0x2
	v_add_nc_u32_e32 v10, -4, v12
	global_load_b64 v[70:71], v10, s[8:9] scale_offset
	s_wait_xcnt 0x0
	v_add_nc_u32_e32 v10, 8, v48
	s_delay_alu instid0(VALU_DEP_1)
	v_lshl_add_u64 v[72:73], v[10:11], 3, s[10:11]
	s_clause 0x1
	global_load_b64 v[74:75], v13, s[8:9] scale_offset
	global_load_b64 v[76:77], v78, s[8:9] scale_offset
	s_clause 0x1
	global_load_b128 v[48:51], v[72:73], off
	global_load_b128 v[52:55], v[72:73], off offset:16
	s_wait_xcnt 0x3
	v_dual_add_nc_u32 v10, -14, v12 :: v_dual_add_nc_u32 v13, -2, v12
	s_clause 0x1
	global_load_b64 v[72:73], v10, s[8:9] scale_offset
	global_load_b64 v[78:79], v13, s[8:9] scale_offset
	s_wait_xcnt 0x0
	v_dual_add_nc_u32 v10, -13, v12 :: v_dual_add_nc_u32 v13, -1, v12
	global_load_b64 v[80:81], v10, s[8:9] scale_offset
	s_wait_loadcnt 0x13
	v_fmac_f64_e32 v[8:9], v[56:57], v[20:21]
	global_load_b64 v[56:57], v13, s[8:9] scale_offset
	v_fmac_f64_e32 v[0:1], v[16:17], v[20:21]
	s_wait_xcnt 0x1
	v_add_nc_u32_e32 v10, -12, v12
	v_fmac_f64_e32 v[8:9], v[58:59], v[22:23]
	s_delay_alu instid0(VALU_DEP_3)
	v_fmac_f64_e32 v[0:1], v[18:19], v[22:23]
	s_clause 0x1
	global_load_b64 v[16:17], v10, s[8:9] scale_offset
	global_load_b64 v[18:19], v12, s[8:9] scale_offset
	s_wait_xcnt 0x0
	v_add_nc_u32_e32 v12, 0x180, v12
	s_wait_loadcnt 0x13
	v_fmac_f64_e32 v[8:9], v[60:61], v[28:29]
	v_fmac_f64_e32 v[0:1], v[24:25], v[28:29]
	s_wait_loadcnt 0x12
	s_delay_alu instid0(VALU_DEP_2) | instskip(NEXT) | instid1(VALU_DEP_2)
	v_fmac_f64_e32 v[8:9], v[62:63], v[30:31]
	v_fmac_f64_e32 v[0:1], v[26:27], v[30:31]
	s_wait_loadcnt 0xf
	s_delay_alu instid0(VALU_DEP_2) | instskip(NEXT) | instid1(VALU_DEP_2)
	;; [unrolled: 4-line block ×8, first 2 shown]
	v_fmac_f64_e32 v[8:9], v[56:57], v[52:53]
	v_fmac_f64_e32 v[0:1], v[80:81], v[52:53]
	s_wait_loadcnt 0x1
	s_delay_alu instid0(VALU_DEP_1) | instskip(SKIP_1) | instid1(VALU_DEP_3)
	v_fmac_f64_e32 v[0:1], v[16:17], v[54:55]
	s_wait_loadcnt 0x0
	v_fmac_f64_e32 v[8:9], v[18:19], v[54:55]
	s_and_not1_b32 exec_lo, exec_lo, s2
	s_cbranch_execnz .LBB128_15
; %bb.16:
	s_or_b32 exec_lo, exec_lo, s2
.LBB128_17:
	s_delay_alu instid0(SALU_CYCLE_1)
	s_or_b32 exec_lo, exec_lo, s3
.LBB128_18:
	v_mbcnt_lo_u32_b32 v14, -1, 0
	s_delay_alu instid0(VALU_DEP_1) | instskip(NEXT) | instid1(VALU_DEP_1)
	v_xor_b32_e32 v10, 8, v14
	v_cmp_gt_i32_e32 vcc_lo, 32, v10
	v_cndmask_b32_e32 v10, v14, v10, vcc_lo
	s_delay_alu instid0(VALU_DEP_1)
	v_lshlrev_b32_e32 v13, 2, v10
	ds_bpermute_b32 v10, v13, v0
	ds_bpermute_b32 v11, v13, v1
	s_wait_dscnt 0x0
	v_add_f64_e32 v[0:1], v[0:1], v[10:11]
	v_xor_b32_e32 v10, 4, v14
	s_delay_alu instid0(VALU_DEP_1)
	v_cmp_gt_i32_e32 vcc_lo, 32, v10
	v_cndmask_b32_e32 v10, v14, v10, vcc_lo
	ds_bpermute_b32 v12, v13, v8
	ds_bpermute_b32 v13, v13, v9
	s_wait_dscnt 0x0
	v_dual_add_f64 v[8:9], v[8:9], v[12:13] :: v_dual_lshlrev_b32 v13, 2, v10
	ds_bpermute_b32 v10, v13, v0
	ds_bpermute_b32 v11, v13, v1
	s_wait_dscnt 0x0
	v_add_f64_e32 v[0:1], v[0:1], v[10:11]
	v_xor_b32_e32 v10, 2, v14
	s_delay_alu instid0(VALU_DEP_1)
	v_cmp_gt_i32_e32 vcc_lo, 32, v10
	v_cndmask_b32_e32 v10, v14, v10, vcc_lo
	ds_bpermute_b32 v12, v13, v8
	ds_bpermute_b32 v13, v13, v9
	s_wait_dscnt 0x0
	v_dual_add_f64 v[8:9], v[8:9], v[12:13] :: v_dual_lshlrev_b32 v13, 2, v10
	ds_bpermute_b32 v10, v13, v0
	ds_bpermute_b32 v11, v13, v1
	s_wait_dscnt 0x0
	v_add_f64_e32 v[0:1], v[0:1], v[10:11]
	ds_bpermute_b32 v12, v13, v8
	ds_bpermute_b32 v13, v13, v9
	s_wait_dscnt 0x0
	v_dual_add_f64 v[10:11], v[8:9], v[12:13] :: v_dual_bitop2_b32 v8, 1, v14 bitop3:0x14
	s_delay_alu instid0(VALU_DEP_1) | instskip(SKIP_2) | instid1(VALU_DEP_2)
	v_cmp_gt_i32_e32 vcc_lo, 32, v8
	v_cndmask_b32_e32 v8, v14, v8, vcc_lo
	v_cmp_eq_u32_e32 vcc_lo, 15, v7
	v_lshlrev_b32_e32 v13, 2, v8
	ds_bpermute_b32 v8, v13, v0
	ds_bpermute_b32 v9, v13, v1
	ds_bpermute_b32 v12, v13, v10
	ds_bpermute_b32 v13, v13, v11
	s_and_b32 exec_lo, exec_lo, vcc_lo
	s_cbranch_execz .LBB128_23
; %bb.19:
	s_wait_dscnt 0x2
	v_add_f64_e32 v[8:9], v[0:1], v[8:9]
	s_wait_dscnt 0x0
	v_add_f64_e32 v[0:1], v[10:11], v[12:13]
	s_load_b64 s[0:1], s[0:1], 0x38
	s_mov_b32 s2, exec_lo
	v_cmpx_eq_f64_e32 0, v[4:5]
	s_xor_b32 s2, exec_lo, s2
	s_cbranch_execz .LBB128_21
; %bb.20:
	s_delay_alu instid0(VALU_DEP_3) | instskip(NEXT) | instid1(VALU_DEP_3)
	v_mul_f64_e32 v[8:9], v[2:3], v[8:9]
	v_dual_mul_f64 v[10:11], v[2:3], v[0:1] :: v_dual_lshlrev_b32 v0, 1, v6
                                        ; implicit-def: $vgpr6
                                        ; implicit-def: $vgpr2_vgpr3
                                        ; implicit-def: $vgpr4_vgpr5
	s_delay_alu instid0(VALU_DEP_1) | instskip(SKIP_1) | instid1(VALU_DEP_1)
	v_ashrrev_i32_e32 v1, 31, v0
	s_wait_kmcnt 0x0
	v_lshl_add_u64 v[0:1], v[0:1], 3, s[0:1]
	global_store_b128 v[0:1], v[8:11], off
                                        ; implicit-def: $vgpr8_vgpr9
                                        ; implicit-def: $vgpr0_vgpr1
.LBB128_21:
	s_wait_xcnt 0x0
	s_and_not1_saveexec_b32 s2, s2
	s_cbranch_execz .LBB128_23
; %bb.22:
	v_lshlrev_b32_e32 v6, 1, v6
	s_delay_alu instid0(VALU_DEP_1) | instskip(SKIP_1) | instid1(VALU_DEP_1)
	v_ashrrev_i32_e32 v7, 31, v6
	s_wait_kmcnt 0x0
	v_lshl_add_u64 v[14:15], v[6:7], 3, s[0:1]
	v_mul_f64_e32 v[6:7], v[2:3], v[8:9]
	v_mul_f64_e32 v[8:9], v[2:3], v[0:1]
	global_load_b128 v[10:13], v[14:15], off
	s_wait_loadcnt 0x0
	v_fmac_f64_e32 v[6:7], v[4:5], v[10:11]
	v_fmac_f64_e32 v[8:9], v[4:5], v[12:13]
	global_store_b128 v[14:15], v[6:9], off
.LBB128_23:
	s_sendmsg sendmsg(MSG_DEALLOC_VGPRS)
	s_endpgm
	.section	.rodata,"a",@progbits
	.p2align	6, 0x0
	.amdhsa_kernel _ZN9rocsparseL19gebsrmvn_2xn_kernelILj128ELj12ELj16EdEEvi20rocsparse_direction_NS_24const_host_device_scalarIT2_EEPKiS6_PKS3_S8_S4_PS3_21rocsparse_index_base_b
		.amdhsa_group_segment_fixed_size 0
		.amdhsa_private_segment_fixed_size 0
		.amdhsa_kernarg_size 72
		.amdhsa_user_sgpr_count 2
		.amdhsa_user_sgpr_dispatch_ptr 0
		.amdhsa_user_sgpr_queue_ptr 0
		.amdhsa_user_sgpr_kernarg_segment_ptr 1
		.amdhsa_user_sgpr_dispatch_id 0
		.amdhsa_user_sgpr_kernarg_preload_length 0
		.amdhsa_user_sgpr_kernarg_preload_offset 0
		.amdhsa_user_sgpr_private_segment_size 0
		.amdhsa_wavefront_size32 1
		.amdhsa_uses_dynamic_stack 0
		.amdhsa_enable_private_segment 0
		.amdhsa_system_sgpr_workgroup_id_x 1
		.amdhsa_system_sgpr_workgroup_id_y 0
		.amdhsa_system_sgpr_workgroup_id_z 0
		.amdhsa_system_sgpr_workgroup_info 0
		.amdhsa_system_vgpr_workitem_id 0
		.amdhsa_next_free_vgpr 90
		.amdhsa_next_free_sgpr 14
		.amdhsa_named_barrier_count 0
		.amdhsa_reserve_vcc 1
		.amdhsa_float_round_mode_32 0
		.amdhsa_float_round_mode_16_64 0
		.amdhsa_float_denorm_mode_32 3
		.amdhsa_float_denorm_mode_16_64 3
		.amdhsa_fp16_overflow 0
		.amdhsa_memory_ordered 1
		.amdhsa_forward_progress 1
		.amdhsa_inst_pref_size 18
		.amdhsa_round_robin_scheduling 0
		.amdhsa_exception_fp_ieee_invalid_op 0
		.amdhsa_exception_fp_denorm_src 0
		.amdhsa_exception_fp_ieee_div_zero 0
		.amdhsa_exception_fp_ieee_overflow 0
		.amdhsa_exception_fp_ieee_underflow 0
		.amdhsa_exception_fp_ieee_inexact 0
		.amdhsa_exception_int_div_zero 0
	.end_amdhsa_kernel
	.section	.text._ZN9rocsparseL19gebsrmvn_2xn_kernelILj128ELj12ELj16EdEEvi20rocsparse_direction_NS_24const_host_device_scalarIT2_EEPKiS6_PKS3_S8_S4_PS3_21rocsparse_index_base_b,"axG",@progbits,_ZN9rocsparseL19gebsrmvn_2xn_kernelILj128ELj12ELj16EdEEvi20rocsparse_direction_NS_24const_host_device_scalarIT2_EEPKiS6_PKS3_S8_S4_PS3_21rocsparse_index_base_b,comdat
.Lfunc_end128:
	.size	_ZN9rocsparseL19gebsrmvn_2xn_kernelILj128ELj12ELj16EdEEvi20rocsparse_direction_NS_24const_host_device_scalarIT2_EEPKiS6_PKS3_S8_S4_PS3_21rocsparse_index_base_b, .Lfunc_end128-_ZN9rocsparseL19gebsrmvn_2xn_kernelILj128ELj12ELj16EdEEvi20rocsparse_direction_NS_24const_host_device_scalarIT2_EEPKiS6_PKS3_S8_S4_PS3_21rocsparse_index_base_b
                                        ; -- End function
	.set _ZN9rocsparseL19gebsrmvn_2xn_kernelILj128ELj12ELj16EdEEvi20rocsparse_direction_NS_24const_host_device_scalarIT2_EEPKiS6_PKS3_S8_S4_PS3_21rocsparse_index_base_b.num_vgpr, 90
	.set _ZN9rocsparseL19gebsrmvn_2xn_kernelILj128ELj12ELj16EdEEvi20rocsparse_direction_NS_24const_host_device_scalarIT2_EEPKiS6_PKS3_S8_S4_PS3_21rocsparse_index_base_b.num_agpr, 0
	.set _ZN9rocsparseL19gebsrmvn_2xn_kernelILj128ELj12ELj16EdEEvi20rocsparse_direction_NS_24const_host_device_scalarIT2_EEPKiS6_PKS3_S8_S4_PS3_21rocsparse_index_base_b.numbered_sgpr, 14
	.set _ZN9rocsparseL19gebsrmvn_2xn_kernelILj128ELj12ELj16EdEEvi20rocsparse_direction_NS_24const_host_device_scalarIT2_EEPKiS6_PKS3_S8_S4_PS3_21rocsparse_index_base_b.num_named_barrier, 0
	.set _ZN9rocsparseL19gebsrmvn_2xn_kernelILj128ELj12ELj16EdEEvi20rocsparse_direction_NS_24const_host_device_scalarIT2_EEPKiS6_PKS3_S8_S4_PS3_21rocsparse_index_base_b.private_seg_size, 0
	.set _ZN9rocsparseL19gebsrmvn_2xn_kernelILj128ELj12ELj16EdEEvi20rocsparse_direction_NS_24const_host_device_scalarIT2_EEPKiS6_PKS3_S8_S4_PS3_21rocsparse_index_base_b.uses_vcc, 1
	.set _ZN9rocsparseL19gebsrmvn_2xn_kernelILj128ELj12ELj16EdEEvi20rocsparse_direction_NS_24const_host_device_scalarIT2_EEPKiS6_PKS3_S8_S4_PS3_21rocsparse_index_base_b.uses_flat_scratch, 0
	.set _ZN9rocsparseL19gebsrmvn_2xn_kernelILj128ELj12ELj16EdEEvi20rocsparse_direction_NS_24const_host_device_scalarIT2_EEPKiS6_PKS3_S8_S4_PS3_21rocsparse_index_base_b.has_dyn_sized_stack, 0
	.set _ZN9rocsparseL19gebsrmvn_2xn_kernelILj128ELj12ELj16EdEEvi20rocsparse_direction_NS_24const_host_device_scalarIT2_EEPKiS6_PKS3_S8_S4_PS3_21rocsparse_index_base_b.has_recursion, 0
	.set _ZN9rocsparseL19gebsrmvn_2xn_kernelILj128ELj12ELj16EdEEvi20rocsparse_direction_NS_24const_host_device_scalarIT2_EEPKiS6_PKS3_S8_S4_PS3_21rocsparse_index_base_b.has_indirect_call, 0
	.section	.AMDGPU.csdata,"",@progbits
; Kernel info:
; codeLenInByte = 2304
; TotalNumSgprs: 16
; NumVgprs: 90
; ScratchSize: 0
; MemoryBound: 1
; FloatMode: 240
; IeeeMode: 1
; LDSByteSize: 0 bytes/workgroup (compile time only)
; SGPRBlocks: 0
; VGPRBlocks: 5
; NumSGPRsForWavesPerEU: 16
; NumVGPRsForWavesPerEU: 90
; NamedBarCnt: 0
; Occupancy: 10
; WaveLimiterHint : 1
; COMPUTE_PGM_RSRC2:SCRATCH_EN: 0
; COMPUTE_PGM_RSRC2:USER_SGPR: 2
; COMPUTE_PGM_RSRC2:TRAP_HANDLER: 0
; COMPUTE_PGM_RSRC2:TGID_X_EN: 1
; COMPUTE_PGM_RSRC2:TGID_Y_EN: 0
; COMPUTE_PGM_RSRC2:TGID_Z_EN: 0
; COMPUTE_PGM_RSRC2:TIDIG_COMP_CNT: 0
	.section	.text._ZN9rocsparseL19gebsrmvn_2xn_kernelILj128ELj12ELj32EdEEvi20rocsparse_direction_NS_24const_host_device_scalarIT2_EEPKiS6_PKS3_S8_S4_PS3_21rocsparse_index_base_b,"axG",@progbits,_ZN9rocsparseL19gebsrmvn_2xn_kernelILj128ELj12ELj32EdEEvi20rocsparse_direction_NS_24const_host_device_scalarIT2_EEPKiS6_PKS3_S8_S4_PS3_21rocsparse_index_base_b,comdat
	.globl	_ZN9rocsparseL19gebsrmvn_2xn_kernelILj128ELj12ELj32EdEEvi20rocsparse_direction_NS_24const_host_device_scalarIT2_EEPKiS6_PKS3_S8_S4_PS3_21rocsparse_index_base_b ; -- Begin function _ZN9rocsparseL19gebsrmvn_2xn_kernelILj128ELj12ELj32EdEEvi20rocsparse_direction_NS_24const_host_device_scalarIT2_EEPKiS6_PKS3_S8_S4_PS3_21rocsparse_index_base_b
	.p2align	8
	.type	_ZN9rocsparseL19gebsrmvn_2xn_kernelILj128ELj12ELj32EdEEvi20rocsparse_direction_NS_24const_host_device_scalarIT2_EEPKiS6_PKS3_S8_S4_PS3_21rocsparse_index_base_b,@function
_ZN9rocsparseL19gebsrmvn_2xn_kernelILj128ELj12ELj32EdEEvi20rocsparse_direction_NS_24const_host_device_scalarIT2_EEPKiS6_PKS3_S8_S4_PS3_21rocsparse_index_base_b: ; @_ZN9rocsparseL19gebsrmvn_2xn_kernelILj128ELj12ELj32EdEEvi20rocsparse_direction_NS_24const_host_device_scalarIT2_EEPKiS6_PKS3_S8_S4_PS3_21rocsparse_index_base_b
; %bb.0:
	s_clause 0x2
	s_load_b64 s[12:13], s[0:1], 0x40
	s_load_b64 s[4:5], s[0:1], 0x8
	;; [unrolled: 1-line block ×3, first 2 shown]
	s_wait_kmcnt 0x0
	s_bitcmp1_b32 s13, 0
	v_mov_b64_e32 v[2:3], s[4:5]
	s_cselect_b32 s6, -1, 0
	s_delay_alu instid0(SALU_CYCLE_1)
	s_and_b32 vcc_lo, exec_lo, s6
	s_xor_b32 s6, s6, -1
	s_cbranch_vccnz .LBB129_2
; %bb.1:
	v_mov_b32_e32 v1, 0
	flat_load_b64 v[2:3], v1, s[4:5]
.LBB129_2:
	v_mov_b64_e32 v[4:5], s[2:3]
	s_and_not1_b32 vcc_lo, exec_lo, s6
	s_cbranch_vccnz .LBB129_4
; %bb.3:
	s_wait_xcnt 0x0
	v_mov_b32_e32 v1, 0
	flat_load_b64 v[4:5], v1, s[2:3]
.LBB129_4:
	s_wait_loadcnt_dscnt 0x0
	v_cmp_neq_f64_e32 vcc_lo, 0, v[2:3]
	s_delay_alu instid0(VALU_DEP_2) | instskip(SKIP_1) | instid1(SALU_CYCLE_1)
	v_cmp_neq_f64_e64 s2, 1.0, v[4:5]
	s_or_b32 s2, vcc_lo, s2
	s_and_saveexec_b32 s3, s2
	s_cbranch_execz .LBB129_23
; %bb.5:
	s_load_b64 s[2:3], s[0:1], 0x0
	s_bfe_u32 s4, ttmp6, 0x4000c
	s_and_b32 s5, ttmp6, 15
	s_add_co_i32 s4, s4, 1
	s_getreg_b32 s6, hwreg(HW_REG_IB_STS2, 6, 4)
	s_mul_i32 s4, ttmp9, s4
	v_lshrrev_b32_e32 v1, 5, v0
	s_add_co_i32 s5, s5, s4
	s_cmp_eq_u32 s6, 0
	s_cselect_b32 s4, ttmp9, s5
	s_delay_alu instid0(VALU_DEP_1) | instid1(SALU_CYCLE_1)
	v_lshl_or_b32 v6, s4, 2, v1
	s_wait_kmcnt 0x0
	s_delay_alu instid0(VALU_DEP_1)
	v_cmp_gt_i32_e32 vcc_lo, s2, v6
	s_and_b32 exec_lo, exec_lo, vcc_lo
	s_cbranch_execz .LBB129_23
; %bb.6:
	s_load_b256 s[4:11], s[0:1], 0x10
	v_ashrrev_i32_e32 v7, 31, v6
	s_cmp_lg_u32 s3, 0
	s_wait_kmcnt 0x0
	s_delay_alu instid0(VALU_DEP_1)
	v_lshl_add_u64 v[8:9], v[6:7], 2, s[4:5]
	v_and_b32_e32 v7, 31, v0
	global_load_b64 v[8:9], v[8:9], off
	s_wait_loadcnt 0x0
	v_subrev_nc_u32_e32 v0, s12, v8
	v_subrev_nc_u32_e32 v14, s12, v9
	s_delay_alu instid0(VALU_DEP_2) | instskip(NEXT) | instid1(VALU_DEP_1)
	v_add_nc_u32_e32 v15, v0, v7
	v_cmp_lt_i32_e64 s2, v15, v14
	s_cbranch_scc0 .LBB129_12
; %bb.7:
	v_mov_b64_e32 v[0:1], 0
	v_mov_b64_e32 v[8:9], 0
	s_and_saveexec_b32 s3, s2
	s_cbranch_execz .LBB129_11
; %bb.8:
	v_mad_u32 v10, v15, 24, 22
	v_mov_b64_e32 v[0:1], 0
	v_mov_b64_e32 v[8:9], 0
	v_dual_mov_b32 v13, 0 :: v_dual_mov_b32 v16, v15
	s_mov_b32 s4, 0
.LBB129_9:                              ; =>This Inner Loop Header: Depth=1
	global_load_b32 v11, v16, s[6:7] scale_offset
	v_subrev_nc_u32_e32 v12, 22, v10
	s_wait_xcnt 0x0
	v_dual_mov_b32 v67, v13 :: v_dual_add_nc_u32 v16, 32, v16
	s_delay_alu instid0(VALU_DEP_2) | instskip(SKIP_1) | instid1(VALU_DEP_3)
	v_lshl_add_u64 v[42:43], v[12:13], 3, s[8:9]
	v_add_nc_u32_e32 v12, -14, v10
	v_cmp_ge_i32_e32 vcc_lo, v16, v14
	s_delay_alu instid0(VALU_DEP_2) | instskip(SKIP_3) | instid1(VALU_DEP_1)
	v_lshl_add_u64 v[50:51], v[12:13], 3, s[8:9]
	s_or_b32 s4, vcc_lo, s4
	s_wait_loadcnt 0x0
	v_subrev_nc_u32_e32 v11, s12, v11
	v_mul_lo_u32 v66, v11, 12
	s_delay_alu instid0(VALU_DEP_1)
	v_dual_mov_b32 v11, v13 :: v_dual_add_nc_u32 v12, 4, v66
	v_lshl_add_u64 v[44:45], v[66:67], 3, s[10:11]
	global_load_b128 v[18:21], v[42:43], off
	global_load_b128 v[22:25], v[44:45], off
	s_clause 0x1
	global_load_b128 v[26:29], v[42:43], off offset:16
	global_load_b128 v[30:33], v[42:43], off offset:32
	;; [unrolled: 1-line block ×4, first 2 shown]
	v_lshl_add_u64 v[62:63], v[12:13], 3, s[10:11]
	global_load_b128 v[42:45], v[50:51], off
	global_load_b128 v[46:49], v[62:63], off
	v_add_nc_u32_e32 v12, -12, v10
	s_wait_xcnt 0x1
	s_delay_alu instid0(VALU_DEP_1)
	v_lshl_add_u64 v[50:51], v[12:13], 3, s[8:9]
	v_add_nc_u32_e32 v12, -10, v10
	global_load_b128 v[50:53], v[50:51], off
	v_lshl_add_u64 v[64:65], v[12:13], 3, s[8:9]
	global_load_b128 v[54:57], v[62:63], off offset:16
	global_load_b128 v[58:61], v[64:65], off
	v_add_nc_u32_e32 v12, -8, v10
	s_wait_xcnt 0x1
	s_delay_alu instid0(VALU_DEP_1) | instskip(SKIP_4) | instid1(VALU_DEP_1)
	v_lshl_add_u64 v[62:63], v[12:13], 3, s[8:9]
	v_add_nc_u32_e32 v12, -6, v10
	global_load_b128 v[62:65], v[62:63], off
	v_lshl_add_u64 v[74:75], v[12:13], 3, s[8:9]
	v_add_nc_u32_e32 v12, 8, v66
	v_lshl_add_u64 v[86:87], v[12:13], 3, s[10:11]
	global_load_b128 v[66:69], v[74:75], off
	global_load_b128 v[70:73], v[86:87], off
	v_add_nc_u32_e32 v12, -4, v10
	s_wait_xcnt 0x1
	s_delay_alu instid0(VALU_DEP_1)
	v_lshl_add_u64 v[74:75], v[12:13], 3, s[8:9]
	v_add_nc_u32_e32 v12, -2, v10
	global_load_b128 v[74:77], v[74:75], off
	v_lshl_add_u64 v[88:89], v[12:13], 3, s[8:9]
	global_load_b128 v[78:81], v[86:87], off offset:16
	global_load_b128 v[82:85], v[88:89], off
	s_wait_loadcnt 0xf
	v_fmac_f64_e32 v[0:1], v[18:19], v[22:23]
	v_fmac_f64_e32 v[8:9], v[20:21], v[22:23]
	v_lshl_add_u64 v[18:19], v[10:11], 3, s[8:9]
	v_add_nc_u32_e32 v10, 0x300, v10
	global_load_b128 v[18:21], v[18:19], off
	s_wait_loadcnt 0xf
	v_fmac_f64_e32 v[0:1], v[26:27], v[24:25]
	v_fmac_f64_e32 v[8:9], v[28:29], v[24:25]
	s_wait_loadcnt 0xd
	s_delay_alu instid0(VALU_DEP_2) | instskip(NEXT) | instid1(VALU_DEP_2)
	v_fmac_f64_e32 v[0:1], v[30:31], v[34:35]
	v_fmac_f64_e32 v[8:9], v[32:33], v[34:35]
	s_wait_loadcnt 0xc
	s_delay_alu instid0(VALU_DEP_2) | instskip(NEXT) | instid1(VALU_DEP_2)
	;; [unrolled: 4-line block ×10, first 2 shown]
	v_fmac_f64_e32 v[0:1], v[18:19], v[80:81]
	v_fmac_f64_e32 v[8:9], v[20:21], v[80:81]
	s_and_not1_b32 exec_lo, exec_lo, s4
	s_cbranch_execnz .LBB129_9
; %bb.10:
	s_or_b32 exec_lo, exec_lo, s4
.LBB129_11:
	s_delay_alu instid0(SALU_CYCLE_1)
	s_or_b32 exec_lo, exec_lo, s3
	s_cbranch_execz .LBB129_13
	s_branch .LBB129_18
.LBB129_12:
                                        ; implicit-def: $vgpr0_vgpr1
                                        ; implicit-def: $vgpr8_vgpr9
.LBB129_13:
	v_mov_b64_e32 v[0:1], 0
	v_mov_b64_e32 v[8:9], 0
	s_and_saveexec_b32 s3, s2
	s_cbranch_execz .LBB129_17
; %bb.14:
	v_mad_u32 v12, v15, 24, 23
	v_mov_b64_e32 v[0:1], 0
	v_mov_b64_e32 v[8:9], 0
	v_mov_b32_e32 v11, 0
	s_mov_b32 s2, 0
.LBB129_15:                             ; =>This Inner Loop Header: Depth=1
	global_load_b32 v13, v15, s[6:7] scale_offset
	v_subrev_nc_u32_e32 v10, 23, v12
	v_dual_mov_b32 v49, v11 :: v_dual_add_nc_u32 v20, -11, v12
	s_wait_xcnt 0x0
	v_dual_add_nc_u32 v78, -3, v12 :: v_dual_add_nc_u32 v15, 32, v15
	s_delay_alu instid0(VALU_DEP_3)
	v_lshl_add_u64 v[50:51], v[10:11], 3, s[8:9]
	s_clause 0x1
	global_load_b128 v[16:19], v[50:51], off
	global_load_b64 v[56:57], v20, s[8:9] scale_offset
	v_add_nc_u32_e32 v10, -10, v12
	v_cmp_ge_i32_e32 vcc_lo, v15, v14
	s_or_b32 s2, vcc_lo, s2
	s_wait_loadcnt 0x2
	v_subrev_nc_u32_e32 v13, s12, v13
	s_delay_alu instid0(VALU_DEP_1)
	v_mul_lo_u32 v48, v13, 12
	v_add_nc_u32_e32 v13, -7, v12
	global_load_b64 v[58:59], v10, s[8:9] scale_offset
	s_wait_xcnt 0x0
	v_add_nc_u32_e32 v10, -9, v12
	v_lshl_add_u64 v[32:33], v[48:49], 3, s[10:11]
	global_load_b128 v[20:23], v[32:33], off
	s_clause 0x1
	global_load_b64 v[60:61], v10, s[8:9] scale_offset
	global_load_b128 v[24:27], v[50:51], off offset:16
	global_load_b128 v[28:31], v[32:33], off offset:16
	s_wait_xcnt 0x2
	v_add_nc_u32_e32 v10, -8, v12
	global_load_b64 v[62:63], v10, s[8:9] scale_offset
	s_wait_xcnt 0x0
	v_add_nc_u32_e32 v10, 4, v48
	s_delay_alu instid0(VALU_DEP_1)
	v_lshl_add_u64 v[52:53], v[10:11], 3, s[10:11]
	s_clause 0x1
	global_load_b64 v[64:65], v13, s[8:9] scale_offset
	global_load_b128 v[32:35], v[50:51], off offset:32
	global_load_b128 v[36:39], v[52:53], off
	s_wait_xcnt 0x2
	v_dual_add_nc_u32 v10, -6, v12 :: v_dual_add_nc_u32 v13, -15, v12
	global_load_b64 v[66:67], v10, s[8:9] scale_offset
	s_wait_xcnt 0x0
	v_add_nc_u32_e32 v10, -5, v12
	s_clause 0x1
	global_load_b64 v[68:69], v10, s[8:9] scale_offset
	global_load_b128 v[40:43], v[50:51], off offset:48
	global_load_b128 v[44:47], v[52:53], off offset:16
	s_wait_xcnt 0x2
	v_add_nc_u32_e32 v10, -4, v12
	global_load_b64 v[70:71], v10, s[8:9] scale_offset
	s_wait_xcnt 0x0
	v_add_nc_u32_e32 v10, 8, v48
	s_delay_alu instid0(VALU_DEP_1)
	v_lshl_add_u64 v[72:73], v[10:11], 3, s[10:11]
	s_clause 0x1
	global_load_b64 v[74:75], v13, s[8:9] scale_offset
	global_load_b64 v[76:77], v78, s[8:9] scale_offset
	s_clause 0x1
	global_load_b128 v[48:51], v[72:73], off
	global_load_b128 v[52:55], v[72:73], off offset:16
	s_wait_xcnt 0x3
	v_dual_add_nc_u32 v10, -14, v12 :: v_dual_add_nc_u32 v13, -2, v12
	s_clause 0x1
	global_load_b64 v[72:73], v10, s[8:9] scale_offset
	global_load_b64 v[78:79], v13, s[8:9] scale_offset
	s_wait_xcnt 0x0
	v_dual_add_nc_u32 v10, -13, v12 :: v_dual_add_nc_u32 v13, -1, v12
	global_load_b64 v[80:81], v10, s[8:9] scale_offset
	s_wait_loadcnt 0x13
	v_fmac_f64_e32 v[8:9], v[56:57], v[20:21]
	global_load_b64 v[56:57], v13, s[8:9] scale_offset
	v_fmac_f64_e32 v[0:1], v[16:17], v[20:21]
	s_wait_xcnt 0x1
	v_add_nc_u32_e32 v10, -12, v12
	v_fmac_f64_e32 v[8:9], v[58:59], v[22:23]
	s_delay_alu instid0(VALU_DEP_3)
	v_fmac_f64_e32 v[0:1], v[18:19], v[22:23]
	s_clause 0x1
	global_load_b64 v[16:17], v10, s[8:9] scale_offset
	global_load_b64 v[18:19], v12, s[8:9] scale_offset
	s_wait_xcnt 0x0
	v_add_nc_u32_e32 v12, 0x300, v12
	s_wait_loadcnt 0x13
	v_fmac_f64_e32 v[8:9], v[60:61], v[28:29]
	v_fmac_f64_e32 v[0:1], v[24:25], v[28:29]
	s_wait_loadcnt 0x12
	s_delay_alu instid0(VALU_DEP_2) | instskip(NEXT) | instid1(VALU_DEP_2)
	v_fmac_f64_e32 v[8:9], v[62:63], v[30:31]
	v_fmac_f64_e32 v[0:1], v[26:27], v[30:31]
	s_wait_loadcnt 0xf
	s_delay_alu instid0(VALU_DEP_2) | instskip(NEXT) | instid1(VALU_DEP_2)
	;; [unrolled: 4-line block ×8, first 2 shown]
	v_fmac_f64_e32 v[8:9], v[56:57], v[52:53]
	v_fmac_f64_e32 v[0:1], v[80:81], v[52:53]
	s_wait_loadcnt 0x1
	s_delay_alu instid0(VALU_DEP_1) | instskip(SKIP_1) | instid1(VALU_DEP_3)
	v_fmac_f64_e32 v[0:1], v[16:17], v[54:55]
	s_wait_loadcnt 0x0
	v_fmac_f64_e32 v[8:9], v[18:19], v[54:55]
	s_and_not1_b32 exec_lo, exec_lo, s2
	s_cbranch_execnz .LBB129_15
; %bb.16:
	s_or_b32 exec_lo, exec_lo, s2
.LBB129_17:
	s_delay_alu instid0(SALU_CYCLE_1)
	s_or_b32 exec_lo, exec_lo, s3
.LBB129_18:
	v_mbcnt_lo_u32_b32 v14, -1, 0
	s_delay_alu instid0(VALU_DEP_1) | instskip(NEXT) | instid1(VALU_DEP_1)
	v_xor_b32_e32 v10, 16, v14
	v_cmp_gt_i32_e32 vcc_lo, 32, v10
	v_cndmask_b32_e32 v10, v14, v10, vcc_lo
	s_delay_alu instid0(VALU_DEP_1)
	v_lshlrev_b32_e32 v13, 2, v10
	ds_bpermute_b32 v10, v13, v0
	ds_bpermute_b32 v11, v13, v1
	s_wait_dscnt 0x0
	v_add_f64_e32 v[0:1], v[0:1], v[10:11]
	v_xor_b32_e32 v10, 8, v14
	s_delay_alu instid0(VALU_DEP_1)
	v_cmp_gt_i32_e32 vcc_lo, 32, v10
	v_cndmask_b32_e32 v10, v14, v10, vcc_lo
	ds_bpermute_b32 v12, v13, v8
	ds_bpermute_b32 v13, v13, v9
	s_wait_dscnt 0x0
	v_dual_add_f64 v[8:9], v[8:9], v[12:13] :: v_dual_lshlrev_b32 v13, 2, v10
	ds_bpermute_b32 v10, v13, v0
	ds_bpermute_b32 v11, v13, v1
	s_wait_dscnt 0x0
	v_add_f64_e32 v[0:1], v[0:1], v[10:11]
	v_xor_b32_e32 v10, 4, v14
	s_delay_alu instid0(VALU_DEP_1)
	v_cmp_gt_i32_e32 vcc_lo, 32, v10
	v_cndmask_b32_e32 v10, v14, v10, vcc_lo
	ds_bpermute_b32 v12, v13, v8
	ds_bpermute_b32 v13, v13, v9
	s_wait_dscnt 0x0
	v_dual_add_f64 v[8:9], v[8:9], v[12:13] :: v_dual_lshlrev_b32 v13, 2, v10
	;; [unrolled: 12-line block ×3, first 2 shown]
	ds_bpermute_b32 v10, v13, v0
	ds_bpermute_b32 v11, v13, v1
	s_wait_dscnt 0x0
	v_add_f64_e32 v[0:1], v[0:1], v[10:11]
	ds_bpermute_b32 v12, v13, v8
	ds_bpermute_b32 v13, v13, v9
	s_wait_dscnt 0x0
	v_dual_add_f64 v[10:11], v[8:9], v[12:13] :: v_dual_bitop2_b32 v8, 1, v14 bitop3:0x14
	s_delay_alu instid0(VALU_DEP_1) | instskip(SKIP_2) | instid1(VALU_DEP_2)
	v_cmp_gt_i32_e32 vcc_lo, 32, v8
	v_cndmask_b32_e32 v8, v14, v8, vcc_lo
	v_cmp_eq_u32_e32 vcc_lo, 31, v7
	v_lshlrev_b32_e32 v13, 2, v8
	ds_bpermute_b32 v8, v13, v0
	ds_bpermute_b32 v9, v13, v1
	;; [unrolled: 1-line block ×4, first 2 shown]
	s_and_b32 exec_lo, exec_lo, vcc_lo
	s_cbranch_execz .LBB129_23
; %bb.19:
	s_wait_dscnt 0x2
	v_add_f64_e32 v[8:9], v[0:1], v[8:9]
	s_wait_dscnt 0x0
	v_add_f64_e32 v[0:1], v[10:11], v[12:13]
	s_load_b64 s[0:1], s[0:1], 0x38
	s_mov_b32 s2, exec_lo
	v_cmpx_eq_f64_e32 0, v[4:5]
	s_xor_b32 s2, exec_lo, s2
	s_cbranch_execz .LBB129_21
; %bb.20:
	s_delay_alu instid0(VALU_DEP_3) | instskip(NEXT) | instid1(VALU_DEP_3)
	v_mul_f64_e32 v[8:9], v[2:3], v[8:9]
	v_dual_mul_f64 v[10:11], v[2:3], v[0:1] :: v_dual_lshlrev_b32 v0, 1, v6
                                        ; implicit-def: $vgpr6
                                        ; implicit-def: $vgpr2_vgpr3
                                        ; implicit-def: $vgpr4_vgpr5
	s_delay_alu instid0(VALU_DEP_1) | instskip(SKIP_1) | instid1(VALU_DEP_1)
	v_ashrrev_i32_e32 v1, 31, v0
	s_wait_kmcnt 0x0
	v_lshl_add_u64 v[0:1], v[0:1], 3, s[0:1]
	global_store_b128 v[0:1], v[8:11], off
                                        ; implicit-def: $vgpr8_vgpr9
                                        ; implicit-def: $vgpr0_vgpr1
.LBB129_21:
	s_wait_xcnt 0x0
	s_and_not1_saveexec_b32 s2, s2
	s_cbranch_execz .LBB129_23
; %bb.22:
	v_lshlrev_b32_e32 v6, 1, v6
	s_delay_alu instid0(VALU_DEP_1) | instskip(SKIP_1) | instid1(VALU_DEP_1)
	v_ashrrev_i32_e32 v7, 31, v6
	s_wait_kmcnt 0x0
	v_lshl_add_u64 v[14:15], v[6:7], 3, s[0:1]
	v_mul_f64_e32 v[6:7], v[2:3], v[8:9]
	v_mul_f64_e32 v[8:9], v[2:3], v[0:1]
	global_load_b128 v[10:13], v[14:15], off
	s_wait_loadcnt 0x0
	v_fmac_f64_e32 v[6:7], v[4:5], v[10:11]
	v_fmac_f64_e32 v[8:9], v[4:5], v[12:13]
	global_store_b128 v[14:15], v[6:9], off
.LBB129_23:
	s_sendmsg sendmsg(MSG_DEALLOC_VGPRS)
	s_endpgm
	.section	.rodata,"a",@progbits
	.p2align	6, 0x0
	.amdhsa_kernel _ZN9rocsparseL19gebsrmvn_2xn_kernelILj128ELj12ELj32EdEEvi20rocsparse_direction_NS_24const_host_device_scalarIT2_EEPKiS6_PKS3_S8_S4_PS3_21rocsparse_index_base_b
		.amdhsa_group_segment_fixed_size 0
		.amdhsa_private_segment_fixed_size 0
		.amdhsa_kernarg_size 72
		.amdhsa_user_sgpr_count 2
		.amdhsa_user_sgpr_dispatch_ptr 0
		.amdhsa_user_sgpr_queue_ptr 0
		.amdhsa_user_sgpr_kernarg_segment_ptr 1
		.amdhsa_user_sgpr_dispatch_id 0
		.amdhsa_user_sgpr_kernarg_preload_length 0
		.amdhsa_user_sgpr_kernarg_preload_offset 0
		.amdhsa_user_sgpr_private_segment_size 0
		.amdhsa_wavefront_size32 1
		.amdhsa_uses_dynamic_stack 0
		.amdhsa_enable_private_segment 0
		.amdhsa_system_sgpr_workgroup_id_x 1
		.amdhsa_system_sgpr_workgroup_id_y 0
		.amdhsa_system_sgpr_workgroup_id_z 0
		.amdhsa_system_sgpr_workgroup_info 0
		.amdhsa_system_vgpr_workitem_id 0
		.amdhsa_next_free_vgpr 90
		.amdhsa_next_free_sgpr 14
		.amdhsa_named_barrier_count 0
		.amdhsa_reserve_vcc 1
		.amdhsa_float_round_mode_32 0
		.amdhsa_float_round_mode_16_64 0
		.amdhsa_float_denorm_mode_32 3
		.amdhsa_float_denorm_mode_16_64 3
		.amdhsa_fp16_overflow 0
		.amdhsa_memory_ordered 1
		.amdhsa_forward_progress 1
		.amdhsa_inst_pref_size 19
		.amdhsa_round_robin_scheduling 0
		.amdhsa_exception_fp_ieee_invalid_op 0
		.amdhsa_exception_fp_denorm_src 0
		.amdhsa_exception_fp_ieee_div_zero 0
		.amdhsa_exception_fp_ieee_overflow 0
		.amdhsa_exception_fp_ieee_underflow 0
		.amdhsa_exception_fp_ieee_inexact 0
		.amdhsa_exception_int_div_zero 0
	.end_amdhsa_kernel
	.section	.text._ZN9rocsparseL19gebsrmvn_2xn_kernelILj128ELj12ELj32EdEEvi20rocsparse_direction_NS_24const_host_device_scalarIT2_EEPKiS6_PKS3_S8_S4_PS3_21rocsparse_index_base_b,"axG",@progbits,_ZN9rocsparseL19gebsrmvn_2xn_kernelILj128ELj12ELj32EdEEvi20rocsparse_direction_NS_24const_host_device_scalarIT2_EEPKiS6_PKS3_S8_S4_PS3_21rocsparse_index_base_b,comdat
.Lfunc_end129:
	.size	_ZN9rocsparseL19gebsrmvn_2xn_kernelILj128ELj12ELj32EdEEvi20rocsparse_direction_NS_24const_host_device_scalarIT2_EEPKiS6_PKS3_S8_S4_PS3_21rocsparse_index_base_b, .Lfunc_end129-_ZN9rocsparseL19gebsrmvn_2xn_kernelILj128ELj12ELj32EdEEvi20rocsparse_direction_NS_24const_host_device_scalarIT2_EEPKiS6_PKS3_S8_S4_PS3_21rocsparse_index_base_b
                                        ; -- End function
	.set _ZN9rocsparseL19gebsrmvn_2xn_kernelILj128ELj12ELj32EdEEvi20rocsparse_direction_NS_24const_host_device_scalarIT2_EEPKiS6_PKS3_S8_S4_PS3_21rocsparse_index_base_b.num_vgpr, 90
	.set _ZN9rocsparseL19gebsrmvn_2xn_kernelILj128ELj12ELj32EdEEvi20rocsparse_direction_NS_24const_host_device_scalarIT2_EEPKiS6_PKS3_S8_S4_PS3_21rocsparse_index_base_b.num_agpr, 0
	.set _ZN9rocsparseL19gebsrmvn_2xn_kernelILj128ELj12ELj32EdEEvi20rocsparse_direction_NS_24const_host_device_scalarIT2_EEPKiS6_PKS3_S8_S4_PS3_21rocsparse_index_base_b.numbered_sgpr, 14
	.set _ZN9rocsparseL19gebsrmvn_2xn_kernelILj128ELj12ELj32EdEEvi20rocsparse_direction_NS_24const_host_device_scalarIT2_EEPKiS6_PKS3_S8_S4_PS3_21rocsparse_index_base_b.num_named_barrier, 0
	.set _ZN9rocsparseL19gebsrmvn_2xn_kernelILj128ELj12ELj32EdEEvi20rocsparse_direction_NS_24const_host_device_scalarIT2_EEPKiS6_PKS3_S8_S4_PS3_21rocsparse_index_base_b.private_seg_size, 0
	.set _ZN9rocsparseL19gebsrmvn_2xn_kernelILj128ELj12ELj32EdEEvi20rocsparse_direction_NS_24const_host_device_scalarIT2_EEPKiS6_PKS3_S8_S4_PS3_21rocsparse_index_base_b.uses_vcc, 1
	.set _ZN9rocsparseL19gebsrmvn_2xn_kernelILj128ELj12ELj32EdEEvi20rocsparse_direction_NS_24const_host_device_scalarIT2_EEPKiS6_PKS3_S8_S4_PS3_21rocsparse_index_base_b.uses_flat_scratch, 0
	.set _ZN9rocsparseL19gebsrmvn_2xn_kernelILj128ELj12ELj32EdEEvi20rocsparse_direction_NS_24const_host_device_scalarIT2_EEPKiS6_PKS3_S8_S4_PS3_21rocsparse_index_base_b.has_dyn_sized_stack, 0
	.set _ZN9rocsparseL19gebsrmvn_2xn_kernelILj128ELj12ELj32EdEEvi20rocsparse_direction_NS_24const_host_device_scalarIT2_EEPKiS6_PKS3_S8_S4_PS3_21rocsparse_index_base_b.has_recursion, 0
	.set _ZN9rocsparseL19gebsrmvn_2xn_kernelILj128ELj12ELj32EdEEvi20rocsparse_direction_NS_24const_host_device_scalarIT2_EEPKiS6_PKS3_S8_S4_PS3_21rocsparse_index_base_b.has_indirect_call, 0
	.section	.AMDGPU.csdata,"",@progbits
; Kernel info:
; codeLenInByte = 2376
; TotalNumSgprs: 16
; NumVgprs: 90
; ScratchSize: 0
; MemoryBound: 1
; FloatMode: 240
; IeeeMode: 1
; LDSByteSize: 0 bytes/workgroup (compile time only)
; SGPRBlocks: 0
; VGPRBlocks: 5
; NumSGPRsForWavesPerEU: 16
; NumVGPRsForWavesPerEU: 90
; NamedBarCnt: 0
; Occupancy: 10
; WaveLimiterHint : 1
; COMPUTE_PGM_RSRC2:SCRATCH_EN: 0
; COMPUTE_PGM_RSRC2:USER_SGPR: 2
; COMPUTE_PGM_RSRC2:TRAP_HANDLER: 0
; COMPUTE_PGM_RSRC2:TGID_X_EN: 1
; COMPUTE_PGM_RSRC2:TGID_Y_EN: 0
; COMPUTE_PGM_RSRC2:TGID_Z_EN: 0
; COMPUTE_PGM_RSRC2:TIDIG_COMP_CNT: 0
	.section	.text._ZN9rocsparseL19gebsrmvn_2xn_kernelILj128ELj12ELj64EdEEvi20rocsparse_direction_NS_24const_host_device_scalarIT2_EEPKiS6_PKS3_S8_S4_PS3_21rocsparse_index_base_b,"axG",@progbits,_ZN9rocsparseL19gebsrmvn_2xn_kernelILj128ELj12ELj64EdEEvi20rocsparse_direction_NS_24const_host_device_scalarIT2_EEPKiS6_PKS3_S8_S4_PS3_21rocsparse_index_base_b,comdat
	.globl	_ZN9rocsparseL19gebsrmvn_2xn_kernelILj128ELj12ELj64EdEEvi20rocsparse_direction_NS_24const_host_device_scalarIT2_EEPKiS6_PKS3_S8_S4_PS3_21rocsparse_index_base_b ; -- Begin function _ZN9rocsparseL19gebsrmvn_2xn_kernelILj128ELj12ELj64EdEEvi20rocsparse_direction_NS_24const_host_device_scalarIT2_EEPKiS6_PKS3_S8_S4_PS3_21rocsparse_index_base_b
	.p2align	8
	.type	_ZN9rocsparseL19gebsrmvn_2xn_kernelILj128ELj12ELj64EdEEvi20rocsparse_direction_NS_24const_host_device_scalarIT2_EEPKiS6_PKS3_S8_S4_PS3_21rocsparse_index_base_b,@function
_ZN9rocsparseL19gebsrmvn_2xn_kernelILj128ELj12ELj64EdEEvi20rocsparse_direction_NS_24const_host_device_scalarIT2_EEPKiS6_PKS3_S8_S4_PS3_21rocsparse_index_base_b: ; @_ZN9rocsparseL19gebsrmvn_2xn_kernelILj128ELj12ELj64EdEEvi20rocsparse_direction_NS_24const_host_device_scalarIT2_EEPKiS6_PKS3_S8_S4_PS3_21rocsparse_index_base_b
; %bb.0:
	s_clause 0x2
	s_load_b64 s[12:13], s[0:1], 0x40
	s_load_b64 s[4:5], s[0:1], 0x8
	;; [unrolled: 1-line block ×3, first 2 shown]
	s_wait_kmcnt 0x0
	s_bitcmp1_b32 s13, 0
	v_mov_b64_e32 v[2:3], s[4:5]
	s_cselect_b32 s6, -1, 0
	s_delay_alu instid0(SALU_CYCLE_1)
	s_and_b32 vcc_lo, exec_lo, s6
	s_xor_b32 s6, s6, -1
	s_cbranch_vccnz .LBB130_2
; %bb.1:
	v_mov_b32_e32 v1, 0
	flat_load_b64 v[2:3], v1, s[4:5]
.LBB130_2:
	v_mov_b64_e32 v[4:5], s[2:3]
	s_and_not1_b32 vcc_lo, exec_lo, s6
	s_cbranch_vccnz .LBB130_4
; %bb.3:
	s_wait_xcnt 0x0
	v_mov_b32_e32 v1, 0
	flat_load_b64 v[4:5], v1, s[2:3]
.LBB130_4:
	s_wait_loadcnt_dscnt 0x0
	v_cmp_neq_f64_e32 vcc_lo, 0, v[2:3]
	s_delay_alu instid0(VALU_DEP_2) | instskip(SKIP_1) | instid1(SALU_CYCLE_1)
	v_cmp_neq_f64_e64 s2, 1.0, v[4:5]
	s_or_b32 s2, vcc_lo, s2
	s_and_saveexec_b32 s3, s2
	s_cbranch_execz .LBB130_23
; %bb.5:
	s_load_b64 s[2:3], s[0:1], 0x0
	s_bfe_u32 s4, ttmp6, 0x4000c
	s_and_b32 s5, ttmp6, 15
	s_add_co_i32 s4, s4, 1
	s_getreg_b32 s6, hwreg(HW_REG_IB_STS2, 6, 4)
	s_mul_i32 s4, ttmp9, s4
	v_lshrrev_b32_e32 v1, 6, v0
	s_add_co_i32 s5, s5, s4
	s_cmp_eq_u32 s6, 0
	s_cselect_b32 s4, ttmp9, s5
	s_delay_alu instid0(VALU_DEP_1) | instid1(SALU_CYCLE_1)
	v_lshl_or_b32 v6, s4, 1, v1
	s_wait_kmcnt 0x0
	s_delay_alu instid0(VALU_DEP_1)
	v_cmp_gt_i32_e32 vcc_lo, s2, v6
	s_and_b32 exec_lo, exec_lo, vcc_lo
	s_cbranch_execz .LBB130_23
; %bb.6:
	s_load_b256 s[4:11], s[0:1], 0x10
	v_ashrrev_i32_e32 v7, 31, v6
	s_cmp_lg_u32 s3, 0
	s_wait_kmcnt 0x0
	s_delay_alu instid0(VALU_DEP_1)
	v_lshl_add_u64 v[8:9], v[6:7], 2, s[4:5]
	v_and_b32_e32 v7, 63, v0
	global_load_b64 v[8:9], v[8:9], off
	s_wait_loadcnt 0x0
	v_subrev_nc_u32_e32 v0, s12, v8
	v_subrev_nc_u32_e32 v14, s12, v9
	s_delay_alu instid0(VALU_DEP_2) | instskip(NEXT) | instid1(VALU_DEP_1)
	v_add_nc_u32_e32 v15, v0, v7
	v_cmp_lt_i32_e64 s2, v15, v14
	s_cbranch_scc0 .LBB130_12
; %bb.7:
	v_mov_b64_e32 v[0:1], 0
	v_mov_b64_e32 v[8:9], 0
	s_and_saveexec_b32 s3, s2
	s_cbranch_execz .LBB130_11
; %bb.8:
	v_mad_u32 v10, v15, 24, 22
	v_mov_b64_e32 v[0:1], 0
	v_mov_b64_e32 v[8:9], 0
	v_dual_mov_b32 v13, 0 :: v_dual_mov_b32 v16, v15
	s_mov_b32 s4, 0
.LBB130_9:                              ; =>This Inner Loop Header: Depth=1
	global_load_b32 v11, v16, s[6:7] scale_offset
	v_subrev_nc_u32_e32 v12, 22, v10
	s_wait_xcnt 0x0
	v_dual_mov_b32 v67, v13 :: v_dual_add_nc_u32 v16, 64, v16
	s_delay_alu instid0(VALU_DEP_2) | instskip(SKIP_1) | instid1(VALU_DEP_3)
	v_lshl_add_u64 v[42:43], v[12:13], 3, s[8:9]
	v_add_nc_u32_e32 v12, -14, v10
	v_cmp_ge_i32_e32 vcc_lo, v16, v14
	s_delay_alu instid0(VALU_DEP_2) | instskip(SKIP_3) | instid1(VALU_DEP_1)
	v_lshl_add_u64 v[50:51], v[12:13], 3, s[8:9]
	s_or_b32 s4, vcc_lo, s4
	s_wait_loadcnt 0x0
	v_subrev_nc_u32_e32 v11, s12, v11
	v_mul_lo_u32 v66, v11, 12
	s_delay_alu instid0(VALU_DEP_1)
	v_dual_mov_b32 v11, v13 :: v_dual_add_nc_u32 v12, 4, v66
	v_lshl_add_u64 v[44:45], v[66:67], 3, s[10:11]
	global_load_b128 v[18:21], v[42:43], off
	global_load_b128 v[22:25], v[44:45], off
	s_clause 0x1
	global_load_b128 v[26:29], v[42:43], off offset:16
	global_load_b128 v[30:33], v[42:43], off offset:32
	;; [unrolled: 1-line block ×4, first 2 shown]
	v_lshl_add_u64 v[62:63], v[12:13], 3, s[10:11]
	global_load_b128 v[42:45], v[50:51], off
	global_load_b128 v[46:49], v[62:63], off
	v_add_nc_u32_e32 v12, -12, v10
	s_wait_xcnt 0x1
	s_delay_alu instid0(VALU_DEP_1)
	v_lshl_add_u64 v[50:51], v[12:13], 3, s[8:9]
	v_add_nc_u32_e32 v12, -10, v10
	global_load_b128 v[50:53], v[50:51], off
	v_lshl_add_u64 v[64:65], v[12:13], 3, s[8:9]
	global_load_b128 v[54:57], v[62:63], off offset:16
	global_load_b128 v[58:61], v[64:65], off
	v_add_nc_u32_e32 v12, -8, v10
	s_wait_xcnt 0x1
	s_delay_alu instid0(VALU_DEP_1) | instskip(SKIP_4) | instid1(VALU_DEP_1)
	v_lshl_add_u64 v[62:63], v[12:13], 3, s[8:9]
	v_add_nc_u32_e32 v12, -6, v10
	global_load_b128 v[62:65], v[62:63], off
	v_lshl_add_u64 v[74:75], v[12:13], 3, s[8:9]
	v_add_nc_u32_e32 v12, 8, v66
	v_lshl_add_u64 v[86:87], v[12:13], 3, s[10:11]
	global_load_b128 v[66:69], v[74:75], off
	global_load_b128 v[70:73], v[86:87], off
	v_add_nc_u32_e32 v12, -4, v10
	s_wait_xcnt 0x1
	s_delay_alu instid0(VALU_DEP_1)
	v_lshl_add_u64 v[74:75], v[12:13], 3, s[8:9]
	v_add_nc_u32_e32 v12, -2, v10
	global_load_b128 v[74:77], v[74:75], off
	v_lshl_add_u64 v[88:89], v[12:13], 3, s[8:9]
	global_load_b128 v[78:81], v[86:87], off offset:16
	global_load_b128 v[82:85], v[88:89], off
	s_wait_loadcnt 0xf
	v_fmac_f64_e32 v[0:1], v[18:19], v[22:23]
	v_fmac_f64_e32 v[8:9], v[20:21], v[22:23]
	v_lshl_add_u64 v[18:19], v[10:11], 3, s[8:9]
	v_add_nc_u32_e32 v10, 0x600, v10
	global_load_b128 v[18:21], v[18:19], off
	s_wait_loadcnt 0xf
	v_fmac_f64_e32 v[0:1], v[26:27], v[24:25]
	v_fmac_f64_e32 v[8:9], v[28:29], v[24:25]
	s_wait_loadcnt 0xd
	s_delay_alu instid0(VALU_DEP_2) | instskip(NEXT) | instid1(VALU_DEP_2)
	v_fmac_f64_e32 v[0:1], v[30:31], v[34:35]
	v_fmac_f64_e32 v[8:9], v[32:33], v[34:35]
	s_wait_loadcnt 0xc
	s_delay_alu instid0(VALU_DEP_2) | instskip(NEXT) | instid1(VALU_DEP_2)
	;; [unrolled: 4-line block ×10, first 2 shown]
	v_fmac_f64_e32 v[0:1], v[18:19], v[80:81]
	v_fmac_f64_e32 v[8:9], v[20:21], v[80:81]
	s_and_not1_b32 exec_lo, exec_lo, s4
	s_cbranch_execnz .LBB130_9
; %bb.10:
	s_or_b32 exec_lo, exec_lo, s4
.LBB130_11:
	s_delay_alu instid0(SALU_CYCLE_1)
	s_or_b32 exec_lo, exec_lo, s3
	s_cbranch_execz .LBB130_13
	s_branch .LBB130_18
.LBB130_12:
                                        ; implicit-def: $vgpr0_vgpr1
                                        ; implicit-def: $vgpr8_vgpr9
.LBB130_13:
	v_mov_b64_e32 v[0:1], 0
	v_mov_b64_e32 v[8:9], 0
	s_and_saveexec_b32 s3, s2
	s_cbranch_execz .LBB130_17
; %bb.14:
	v_mad_u32 v12, v15, 24, 23
	v_mov_b64_e32 v[0:1], 0
	v_mov_b64_e32 v[8:9], 0
	v_mov_b32_e32 v11, 0
	s_mov_b32 s2, 0
.LBB130_15:                             ; =>This Inner Loop Header: Depth=1
	global_load_b32 v13, v15, s[6:7] scale_offset
	v_subrev_nc_u32_e32 v10, 23, v12
	v_dual_mov_b32 v49, v11 :: v_dual_add_nc_u32 v20, -11, v12
	s_wait_xcnt 0x0
	v_dual_add_nc_u32 v78, -3, v12 :: v_dual_add_nc_u32 v15, 64, v15
	s_delay_alu instid0(VALU_DEP_3)
	v_lshl_add_u64 v[50:51], v[10:11], 3, s[8:9]
	s_clause 0x1
	global_load_b128 v[16:19], v[50:51], off
	global_load_b64 v[56:57], v20, s[8:9] scale_offset
	v_add_nc_u32_e32 v10, -10, v12
	v_cmp_ge_i32_e32 vcc_lo, v15, v14
	s_or_b32 s2, vcc_lo, s2
	s_wait_loadcnt 0x2
	v_subrev_nc_u32_e32 v13, s12, v13
	s_delay_alu instid0(VALU_DEP_1)
	v_mul_lo_u32 v48, v13, 12
	v_add_nc_u32_e32 v13, -7, v12
	global_load_b64 v[58:59], v10, s[8:9] scale_offset
	s_wait_xcnt 0x0
	v_add_nc_u32_e32 v10, -9, v12
	v_lshl_add_u64 v[32:33], v[48:49], 3, s[10:11]
	global_load_b128 v[20:23], v[32:33], off
	s_clause 0x1
	global_load_b64 v[60:61], v10, s[8:9] scale_offset
	global_load_b128 v[24:27], v[50:51], off offset:16
	global_load_b128 v[28:31], v[32:33], off offset:16
	s_wait_xcnt 0x2
	v_add_nc_u32_e32 v10, -8, v12
	global_load_b64 v[62:63], v10, s[8:9] scale_offset
	s_wait_xcnt 0x0
	v_add_nc_u32_e32 v10, 4, v48
	s_delay_alu instid0(VALU_DEP_1)
	v_lshl_add_u64 v[52:53], v[10:11], 3, s[10:11]
	s_clause 0x1
	global_load_b64 v[64:65], v13, s[8:9] scale_offset
	global_load_b128 v[32:35], v[50:51], off offset:32
	global_load_b128 v[36:39], v[52:53], off
	s_wait_xcnt 0x2
	v_dual_add_nc_u32 v10, -6, v12 :: v_dual_add_nc_u32 v13, -15, v12
	global_load_b64 v[66:67], v10, s[8:9] scale_offset
	s_wait_xcnt 0x0
	v_add_nc_u32_e32 v10, -5, v12
	s_clause 0x1
	global_load_b64 v[68:69], v10, s[8:9] scale_offset
	global_load_b128 v[40:43], v[50:51], off offset:48
	global_load_b128 v[44:47], v[52:53], off offset:16
	s_wait_xcnt 0x2
	v_add_nc_u32_e32 v10, -4, v12
	global_load_b64 v[70:71], v10, s[8:9] scale_offset
	s_wait_xcnt 0x0
	v_add_nc_u32_e32 v10, 8, v48
	s_delay_alu instid0(VALU_DEP_1)
	v_lshl_add_u64 v[72:73], v[10:11], 3, s[10:11]
	s_clause 0x1
	global_load_b64 v[74:75], v13, s[8:9] scale_offset
	global_load_b64 v[76:77], v78, s[8:9] scale_offset
	s_clause 0x1
	global_load_b128 v[48:51], v[72:73], off
	global_load_b128 v[52:55], v[72:73], off offset:16
	s_wait_xcnt 0x3
	v_dual_add_nc_u32 v10, -14, v12 :: v_dual_add_nc_u32 v13, -2, v12
	s_clause 0x1
	global_load_b64 v[72:73], v10, s[8:9] scale_offset
	global_load_b64 v[78:79], v13, s[8:9] scale_offset
	s_wait_xcnt 0x0
	v_dual_add_nc_u32 v10, -13, v12 :: v_dual_add_nc_u32 v13, -1, v12
	global_load_b64 v[80:81], v10, s[8:9] scale_offset
	s_wait_loadcnt 0x13
	v_fmac_f64_e32 v[8:9], v[56:57], v[20:21]
	global_load_b64 v[56:57], v13, s[8:9] scale_offset
	v_fmac_f64_e32 v[0:1], v[16:17], v[20:21]
	s_wait_xcnt 0x1
	v_add_nc_u32_e32 v10, -12, v12
	v_fmac_f64_e32 v[8:9], v[58:59], v[22:23]
	s_delay_alu instid0(VALU_DEP_3)
	v_fmac_f64_e32 v[0:1], v[18:19], v[22:23]
	s_clause 0x1
	global_load_b64 v[16:17], v10, s[8:9] scale_offset
	global_load_b64 v[18:19], v12, s[8:9] scale_offset
	s_wait_xcnt 0x0
	v_add_nc_u32_e32 v12, 0x600, v12
	s_wait_loadcnt 0x13
	v_fmac_f64_e32 v[8:9], v[60:61], v[28:29]
	v_fmac_f64_e32 v[0:1], v[24:25], v[28:29]
	s_wait_loadcnt 0x12
	s_delay_alu instid0(VALU_DEP_2) | instskip(NEXT) | instid1(VALU_DEP_2)
	v_fmac_f64_e32 v[8:9], v[62:63], v[30:31]
	v_fmac_f64_e32 v[0:1], v[26:27], v[30:31]
	s_wait_loadcnt 0xf
	s_delay_alu instid0(VALU_DEP_2) | instskip(NEXT) | instid1(VALU_DEP_2)
	;; [unrolled: 4-line block ×8, first 2 shown]
	v_fmac_f64_e32 v[8:9], v[56:57], v[52:53]
	v_fmac_f64_e32 v[0:1], v[80:81], v[52:53]
	s_wait_loadcnt 0x1
	s_delay_alu instid0(VALU_DEP_1) | instskip(SKIP_1) | instid1(VALU_DEP_3)
	v_fmac_f64_e32 v[0:1], v[16:17], v[54:55]
	s_wait_loadcnt 0x0
	v_fmac_f64_e32 v[8:9], v[18:19], v[54:55]
	s_and_not1_b32 exec_lo, exec_lo, s2
	s_cbranch_execnz .LBB130_15
; %bb.16:
	s_or_b32 exec_lo, exec_lo, s2
.LBB130_17:
	s_delay_alu instid0(SALU_CYCLE_1)
	s_or_b32 exec_lo, exec_lo, s3
.LBB130_18:
	v_mbcnt_lo_u32_b32 v14, -1, 0
	s_delay_alu instid0(VALU_DEP_1) | instskip(NEXT) | instid1(VALU_DEP_1)
	v_or_b32_e32 v10, 32, v14
	v_cmp_gt_i32_e32 vcc_lo, 32, v10
	v_cndmask_b32_e32 v10, v14, v10, vcc_lo
	s_delay_alu instid0(VALU_DEP_1)
	v_lshlrev_b32_e32 v13, 2, v10
	ds_bpermute_b32 v10, v13, v0
	ds_bpermute_b32 v11, v13, v1
	s_wait_dscnt 0x0
	v_add_f64_e32 v[0:1], v[0:1], v[10:11]
	v_xor_b32_e32 v10, 16, v14
	s_delay_alu instid0(VALU_DEP_1)
	v_cmp_gt_i32_e32 vcc_lo, 32, v10
	v_cndmask_b32_e32 v10, v14, v10, vcc_lo
	ds_bpermute_b32 v12, v13, v8
	ds_bpermute_b32 v13, v13, v9
	s_wait_dscnt 0x0
	v_dual_add_f64 v[8:9], v[8:9], v[12:13] :: v_dual_lshlrev_b32 v13, 2, v10
	ds_bpermute_b32 v10, v13, v0
	ds_bpermute_b32 v11, v13, v1
	s_wait_dscnt 0x0
	v_add_f64_e32 v[0:1], v[0:1], v[10:11]
	v_xor_b32_e32 v10, 8, v14
	s_delay_alu instid0(VALU_DEP_1)
	v_cmp_gt_i32_e32 vcc_lo, 32, v10
	v_cndmask_b32_e32 v10, v14, v10, vcc_lo
	ds_bpermute_b32 v12, v13, v8
	ds_bpermute_b32 v13, v13, v9
	s_wait_dscnt 0x0
	v_dual_add_f64 v[8:9], v[8:9], v[12:13] :: v_dual_lshlrev_b32 v13, 2, v10
	;; [unrolled: 12-line block ×4, first 2 shown]
	ds_bpermute_b32 v10, v13, v0
	ds_bpermute_b32 v11, v13, v1
	s_wait_dscnt 0x0
	v_add_f64_e32 v[0:1], v[0:1], v[10:11]
	ds_bpermute_b32 v12, v13, v8
	ds_bpermute_b32 v13, v13, v9
	s_wait_dscnt 0x0
	v_dual_add_f64 v[10:11], v[8:9], v[12:13] :: v_dual_bitop2_b32 v8, 1, v14 bitop3:0x14
	s_delay_alu instid0(VALU_DEP_1) | instskip(SKIP_2) | instid1(VALU_DEP_2)
	v_cmp_gt_i32_e32 vcc_lo, 32, v8
	v_cndmask_b32_e32 v8, v14, v8, vcc_lo
	v_cmp_eq_u32_e32 vcc_lo, 63, v7
	v_lshlrev_b32_e32 v13, 2, v8
	ds_bpermute_b32 v8, v13, v0
	ds_bpermute_b32 v9, v13, v1
	;; [unrolled: 1-line block ×4, first 2 shown]
	s_and_b32 exec_lo, exec_lo, vcc_lo
	s_cbranch_execz .LBB130_23
; %bb.19:
	s_wait_dscnt 0x2
	v_add_f64_e32 v[8:9], v[0:1], v[8:9]
	s_wait_dscnt 0x0
	v_add_f64_e32 v[0:1], v[10:11], v[12:13]
	s_load_b64 s[0:1], s[0:1], 0x38
	s_mov_b32 s2, exec_lo
	v_cmpx_eq_f64_e32 0, v[4:5]
	s_xor_b32 s2, exec_lo, s2
	s_cbranch_execz .LBB130_21
; %bb.20:
	s_delay_alu instid0(VALU_DEP_3) | instskip(NEXT) | instid1(VALU_DEP_3)
	v_mul_f64_e32 v[8:9], v[2:3], v[8:9]
	v_dual_mul_f64 v[10:11], v[2:3], v[0:1] :: v_dual_lshlrev_b32 v0, 1, v6
                                        ; implicit-def: $vgpr6
                                        ; implicit-def: $vgpr2_vgpr3
                                        ; implicit-def: $vgpr4_vgpr5
	s_delay_alu instid0(VALU_DEP_1) | instskip(SKIP_1) | instid1(VALU_DEP_1)
	v_ashrrev_i32_e32 v1, 31, v0
	s_wait_kmcnt 0x0
	v_lshl_add_u64 v[0:1], v[0:1], 3, s[0:1]
	global_store_b128 v[0:1], v[8:11], off
                                        ; implicit-def: $vgpr8_vgpr9
                                        ; implicit-def: $vgpr0_vgpr1
.LBB130_21:
	s_wait_xcnt 0x0
	s_and_not1_saveexec_b32 s2, s2
	s_cbranch_execz .LBB130_23
; %bb.22:
	v_lshlrev_b32_e32 v6, 1, v6
	s_delay_alu instid0(VALU_DEP_1) | instskip(SKIP_1) | instid1(VALU_DEP_1)
	v_ashrrev_i32_e32 v7, 31, v6
	s_wait_kmcnt 0x0
	v_lshl_add_u64 v[14:15], v[6:7], 3, s[0:1]
	v_mul_f64_e32 v[6:7], v[2:3], v[8:9]
	v_mul_f64_e32 v[8:9], v[2:3], v[0:1]
	global_load_b128 v[10:13], v[14:15], off
	s_wait_loadcnt 0x0
	v_fmac_f64_e32 v[6:7], v[4:5], v[10:11]
	v_fmac_f64_e32 v[8:9], v[4:5], v[12:13]
	global_store_b128 v[14:15], v[6:9], off
.LBB130_23:
	s_sendmsg sendmsg(MSG_DEALLOC_VGPRS)
	s_endpgm
	.section	.rodata,"a",@progbits
	.p2align	6, 0x0
	.amdhsa_kernel _ZN9rocsparseL19gebsrmvn_2xn_kernelILj128ELj12ELj64EdEEvi20rocsparse_direction_NS_24const_host_device_scalarIT2_EEPKiS6_PKS3_S8_S4_PS3_21rocsparse_index_base_b
		.amdhsa_group_segment_fixed_size 0
		.amdhsa_private_segment_fixed_size 0
		.amdhsa_kernarg_size 72
		.amdhsa_user_sgpr_count 2
		.amdhsa_user_sgpr_dispatch_ptr 0
		.amdhsa_user_sgpr_queue_ptr 0
		.amdhsa_user_sgpr_kernarg_segment_ptr 1
		.amdhsa_user_sgpr_dispatch_id 0
		.amdhsa_user_sgpr_kernarg_preload_length 0
		.amdhsa_user_sgpr_kernarg_preload_offset 0
		.amdhsa_user_sgpr_private_segment_size 0
		.amdhsa_wavefront_size32 1
		.amdhsa_uses_dynamic_stack 0
		.amdhsa_enable_private_segment 0
		.amdhsa_system_sgpr_workgroup_id_x 1
		.amdhsa_system_sgpr_workgroup_id_y 0
		.amdhsa_system_sgpr_workgroup_id_z 0
		.amdhsa_system_sgpr_workgroup_info 0
		.amdhsa_system_vgpr_workitem_id 0
		.amdhsa_next_free_vgpr 90
		.amdhsa_next_free_sgpr 14
		.amdhsa_named_barrier_count 0
		.amdhsa_reserve_vcc 1
		.amdhsa_float_round_mode_32 0
		.amdhsa_float_round_mode_16_64 0
		.amdhsa_float_denorm_mode_32 3
		.amdhsa_float_denorm_mode_16_64 3
		.amdhsa_fp16_overflow 0
		.amdhsa_memory_ordered 1
		.amdhsa_forward_progress 1
		.amdhsa_inst_pref_size 20
		.amdhsa_round_robin_scheduling 0
		.amdhsa_exception_fp_ieee_invalid_op 0
		.amdhsa_exception_fp_denorm_src 0
		.amdhsa_exception_fp_ieee_div_zero 0
		.amdhsa_exception_fp_ieee_overflow 0
		.amdhsa_exception_fp_ieee_underflow 0
		.amdhsa_exception_fp_ieee_inexact 0
		.amdhsa_exception_int_div_zero 0
	.end_amdhsa_kernel
	.section	.text._ZN9rocsparseL19gebsrmvn_2xn_kernelILj128ELj12ELj64EdEEvi20rocsparse_direction_NS_24const_host_device_scalarIT2_EEPKiS6_PKS3_S8_S4_PS3_21rocsparse_index_base_b,"axG",@progbits,_ZN9rocsparseL19gebsrmvn_2xn_kernelILj128ELj12ELj64EdEEvi20rocsparse_direction_NS_24const_host_device_scalarIT2_EEPKiS6_PKS3_S8_S4_PS3_21rocsparse_index_base_b,comdat
.Lfunc_end130:
	.size	_ZN9rocsparseL19gebsrmvn_2xn_kernelILj128ELj12ELj64EdEEvi20rocsparse_direction_NS_24const_host_device_scalarIT2_EEPKiS6_PKS3_S8_S4_PS3_21rocsparse_index_base_b, .Lfunc_end130-_ZN9rocsparseL19gebsrmvn_2xn_kernelILj128ELj12ELj64EdEEvi20rocsparse_direction_NS_24const_host_device_scalarIT2_EEPKiS6_PKS3_S8_S4_PS3_21rocsparse_index_base_b
                                        ; -- End function
	.set _ZN9rocsparseL19gebsrmvn_2xn_kernelILj128ELj12ELj64EdEEvi20rocsparse_direction_NS_24const_host_device_scalarIT2_EEPKiS6_PKS3_S8_S4_PS3_21rocsparse_index_base_b.num_vgpr, 90
	.set _ZN9rocsparseL19gebsrmvn_2xn_kernelILj128ELj12ELj64EdEEvi20rocsparse_direction_NS_24const_host_device_scalarIT2_EEPKiS6_PKS3_S8_S4_PS3_21rocsparse_index_base_b.num_agpr, 0
	.set _ZN9rocsparseL19gebsrmvn_2xn_kernelILj128ELj12ELj64EdEEvi20rocsparse_direction_NS_24const_host_device_scalarIT2_EEPKiS6_PKS3_S8_S4_PS3_21rocsparse_index_base_b.numbered_sgpr, 14
	.set _ZN9rocsparseL19gebsrmvn_2xn_kernelILj128ELj12ELj64EdEEvi20rocsparse_direction_NS_24const_host_device_scalarIT2_EEPKiS6_PKS3_S8_S4_PS3_21rocsparse_index_base_b.num_named_barrier, 0
	.set _ZN9rocsparseL19gebsrmvn_2xn_kernelILj128ELj12ELj64EdEEvi20rocsparse_direction_NS_24const_host_device_scalarIT2_EEPKiS6_PKS3_S8_S4_PS3_21rocsparse_index_base_b.private_seg_size, 0
	.set _ZN9rocsparseL19gebsrmvn_2xn_kernelILj128ELj12ELj64EdEEvi20rocsparse_direction_NS_24const_host_device_scalarIT2_EEPKiS6_PKS3_S8_S4_PS3_21rocsparse_index_base_b.uses_vcc, 1
	.set _ZN9rocsparseL19gebsrmvn_2xn_kernelILj128ELj12ELj64EdEEvi20rocsparse_direction_NS_24const_host_device_scalarIT2_EEPKiS6_PKS3_S8_S4_PS3_21rocsparse_index_base_b.uses_flat_scratch, 0
	.set _ZN9rocsparseL19gebsrmvn_2xn_kernelILj128ELj12ELj64EdEEvi20rocsparse_direction_NS_24const_host_device_scalarIT2_EEPKiS6_PKS3_S8_S4_PS3_21rocsparse_index_base_b.has_dyn_sized_stack, 0
	.set _ZN9rocsparseL19gebsrmvn_2xn_kernelILj128ELj12ELj64EdEEvi20rocsparse_direction_NS_24const_host_device_scalarIT2_EEPKiS6_PKS3_S8_S4_PS3_21rocsparse_index_base_b.has_recursion, 0
	.set _ZN9rocsparseL19gebsrmvn_2xn_kernelILj128ELj12ELj64EdEEvi20rocsparse_direction_NS_24const_host_device_scalarIT2_EEPKiS6_PKS3_S8_S4_PS3_21rocsparse_index_base_b.has_indirect_call, 0
	.section	.AMDGPU.csdata,"",@progbits
; Kernel info:
; codeLenInByte = 2448
; TotalNumSgprs: 16
; NumVgprs: 90
; ScratchSize: 0
; MemoryBound: 1
; FloatMode: 240
; IeeeMode: 1
; LDSByteSize: 0 bytes/workgroup (compile time only)
; SGPRBlocks: 0
; VGPRBlocks: 5
; NumSGPRsForWavesPerEU: 16
; NumVGPRsForWavesPerEU: 90
; NamedBarCnt: 0
; Occupancy: 10
; WaveLimiterHint : 1
; COMPUTE_PGM_RSRC2:SCRATCH_EN: 0
; COMPUTE_PGM_RSRC2:USER_SGPR: 2
; COMPUTE_PGM_RSRC2:TRAP_HANDLER: 0
; COMPUTE_PGM_RSRC2:TGID_X_EN: 1
; COMPUTE_PGM_RSRC2:TGID_Y_EN: 0
; COMPUTE_PGM_RSRC2:TGID_Z_EN: 0
; COMPUTE_PGM_RSRC2:TIDIG_COMP_CNT: 0
	.section	.text._ZN9rocsparseL19gebsrmvn_2xn_kernelILj128ELj13ELj4EdEEvi20rocsparse_direction_NS_24const_host_device_scalarIT2_EEPKiS6_PKS3_S8_S4_PS3_21rocsparse_index_base_b,"axG",@progbits,_ZN9rocsparseL19gebsrmvn_2xn_kernelILj128ELj13ELj4EdEEvi20rocsparse_direction_NS_24const_host_device_scalarIT2_EEPKiS6_PKS3_S8_S4_PS3_21rocsparse_index_base_b,comdat
	.globl	_ZN9rocsparseL19gebsrmvn_2xn_kernelILj128ELj13ELj4EdEEvi20rocsparse_direction_NS_24const_host_device_scalarIT2_EEPKiS6_PKS3_S8_S4_PS3_21rocsparse_index_base_b ; -- Begin function _ZN9rocsparseL19gebsrmvn_2xn_kernelILj128ELj13ELj4EdEEvi20rocsparse_direction_NS_24const_host_device_scalarIT2_EEPKiS6_PKS3_S8_S4_PS3_21rocsparse_index_base_b
	.p2align	8
	.type	_ZN9rocsparseL19gebsrmvn_2xn_kernelILj128ELj13ELj4EdEEvi20rocsparse_direction_NS_24const_host_device_scalarIT2_EEPKiS6_PKS3_S8_S4_PS3_21rocsparse_index_base_b,@function
_ZN9rocsparseL19gebsrmvn_2xn_kernelILj128ELj13ELj4EdEEvi20rocsparse_direction_NS_24const_host_device_scalarIT2_EEPKiS6_PKS3_S8_S4_PS3_21rocsparse_index_base_b: ; @_ZN9rocsparseL19gebsrmvn_2xn_kernelILj128ELj13ELj4EdEEvi20rocsparse_direction_NS_24const_host_device_scalarIT2_EEPKiS6_PKS3_S8_S4_PS3_21rocsparse_index_base_b
; %bb.0:
	s_clause 0x2
	s_load_b64 s[12:13], s[0:1], 0x40
	s_load_b64 s[4:5], s[0:1], 0x8
	;; [unrolled: 1-line block ×3, first 2 shown]
	s_wait_kmcnt 0x0
	s_bitcmp1_b32 s13, 0
	v_mov_b64_e32 v[2:3], s[4:5]
	s_cselect_b32 s6, -1, 0
	s_delay_alu instid0(SALU_CYCLE_1)
	s_and_b32 vcc_lo, exec_lo, s6
	s_xor_b32 s6, s6, -1
	s_cbranch_vccnz .LBB131_2
; %bb.1:
	v_mov_b32_e32 v1, 0
	flat_load_b64 v[2:3], v1, s[4:5]
.LBB131_2:
	v_mov_b64_e32 v[4:5], s[2:3]
	s_and_not1_b32 vcc_lo, exec_lo, s6
	s_cbranch_vccnz .LBB131_4
; %bb.3:
	s_wait_xcnt 0x0
	v_mov_b32_e32 v1, 0
	flat_load_b64 v[4:5], v1, s[2:3]
.LBB131_4:
	s_wait_loadcnt_dscnt 0x0
	v_cmp_neq_f64_e32 vcc_lo, 0, v[2:3]
	s_delay_alu instid0(VALU_DEP_2) | instskip(SKIP_1) | instid1(SALU_CYCLE_1)
	v_cmp_neq_f64_e64 s2, 1.0, v[4:5]
	s_or_b32 s2, vcc_lo, s2
	s_and_saveexec_b32 s3, s2
	s_cbranch_execz .LBB131_23
; %bb.5:
	s_load_b64 s[2:3], s[0:1], 0x0
	s_bfe_u32 s4, ttmp6, 0x4000c
	s_and_b32 s5, ttmp6, 15
	s_add_co_i32 s4, s4, 1
	s_getreg_b32 s6, hwreg(HW_REG_IB_STS2, 6, 4)
	s_mul_i32 s4, ttmp9, s4
	v_lshrrev_b32_e32 v1, 2, v0
	s_add_co_i32 s5, s5, s4
	s_cmp_eq_u32 s6, 0
	s_cselect_b32 s4, ttmp9, s5
	s_delay_alu instid0(VALU_DEP_1) | instid1(SALU_CYCLE_1)
	v_lshl_or_b32 v6, s4, 5, v1
	s_wait_kmcnt 0x0
	s_delay_alu instid0(VALU_DEP_1)
	v_cmp_gt_i32_e32 vcc_lo, s2, v6
	s_and_b32 exec_lo, exec_lo, vcc_lo
	s_cbranch_execz .LBB131_23
; %bb.6:
	s_load_b256 s[4:11], s[0:1], 0x10
	v_ashrrev_i32_e32 v7, 31, v6
	s_cmp_lg_u32 s3, 0
	s_wait_kmcnt 0x0
	s_delay_alu instid0(VALU_DEP_1)
	v_lshl_add_u64 v[8:9], v[6:7], 2, s[4:5]
	v_and_b32_e32 v7, 3, v0
	global_load_b64 v[8:9], v[8:9], off
	s_wait_loadcnt 0x0
	v_subrev_nc_u32_e32 v0, s12, v8
	v_subrev_nc_u32_e32 v14, s12, v9
	s_delay_alu instid0(VALU_DEP_2) | instskip(NEXT) | instid1(VALU_DEP_1)
	v_add_nc_u32_e32 v15, v0, v7
	v_cmp_lt_i32_e64 s2, v15, v14
	s_cbranch_scc0 .LBB131_12
; %bb.7:
	v_mov_b64_e32 v[0:1], 0
	v_mov_b64_e32 v[8:9], 0
	s_and_saveexec_b32 s3, s2
	s_cbranch_execz .LBB131_11
; %bb.8:
	v_mad_u32 v10, v15, 26, 24
	v_mov_b64_e32 v[0:1], 0
	v_mov_b64_e32 v[8:9], 0
	v_dual_mov_b32 v13, 0 :: v_dual_mov_b32 v16, v15
	s_mov_b32 s4, 0
.LBB131_9:                              ; =>This Inner Loop Header: Depth=1
	global_load_b32 v11, v16, s[6:7] scale_offset
	v_subrev_nc_u32_e32 v12, 24, v10
	s_wait_xcnt 0x0
	v_add_nc_u32_e32 v16, 4, v16
	s_delay_alu instid0(VALU_DEP_2) | instskip(SKIP_1) | instid1(VALU_DEP_3)
	v_lshl_add_u64 v[22:23], v[12:13], 3, s[8:9]
	v_subrev_nc_u32_e32 v12, 22, v10
	v_cmp_ge_i32_e32 vcc_lo, v16, v14
	s_delay_alu instid0(VALU_DEP_2) | instskip(SKIP_2) | instid1(VALU_DEP_1)
	v_lshl_add_u64 v[26:27], v[12:13], 3, s[8:9]
	v_subrev_nc_u32_e32 v12, 20, v10
	s_or_b32 s4, vcc_lo, s4
	v_lshl_add_u64 v[30:31], v[12:13], 3, s[8:9]
	v_subrev_nc_u32_e32 v12, 18, v10
	s_delay_alu instid0(VALU_DEP_1) | instskip(SKIP_1) | instid1(VALU_DEP_1)
	v_lshl_add_u64 v[34:35], v[12:13], 3, s[8:9]
	v_add_nc_u32_e32 v12, -16, v10
	v_lshl_add_u64 v[38:39], v[12:13], 3, s[8:9]
	v_add_nc_u32_e32 v12, -14, v10
	s_delay_alu instid0(VALU_DEP_1) | instskip(SKIP_1) | instid1(VALU_DEP_1)
	v_lshl_add_u64 v[42:43], v[12:13], 3, s[8:9]
	v_add_nc_u32_e32 v12, -12, v10
	v_lshl_add_u64 v[46:47], v[12:13], 3, s[8:9]
	v_add_nc_u32_e32 v12, -10, v10
	;; [unrolled: 5-line block ×4, first 2 shown]
	s_wait_loadcnt 0x0
	v_subrev_nc_u32_e32 v11, s12, v11
	s_delay_alu instid0(VALU_DEP_1)
	v_mul_lo_u32 v17, v11, 13
	global_load_b128 v[18:21], v[22:23], off
	global_load_b64 v[62:63], v17, s[10:11] scale_offset
	v_add_nc_u32_e32 v11, 1, v17
	global_load_b128 v[22:25], v[26:27], off
	global_load_b64 v[64:65], v11, s[10:11] scale_offset
	s_wait_xcnt 0x0
	v_add_nc_u32_e32 v11, 2, v17
	global_load_b128 v[26:29], v[30:31], off
	global_load_b64 v[66:67], v11, s[10:11] scale_offset
	s_wait_xcnt 0x0
	;; [unrolled: 4-line block ×10, first 2 shown]
	v_add_nc_u32_e32 v11, 11, v17
	s_wait_loadcnt 0x14
	v_fmac_f64_e32 v[0:1], v[18:19], v[62:63]
	v_fmac_f64_e32 v[8:9], v[20:21], v[62:63]
	v_lshl_add_u64 v[62:63], v[12:13], 3, s[8:9]
	global_load_b128 v[18:21], v[62:63], off
	global_load_b64 v[82:83], v11, s[10:11] scale_offset
	s_wait_xcnt 0x0
	v_mov_b32_e32 v11, v13
	s_delay_alu instid0(VALU_DEP_1)
	v_lshl_add_u64 v[62:63], v[10:11], 3, s[8:9]
	v_add_nc_u32_e32 v11, 12, v17
	v_add_nc_u32_e32 v10, 0x68, v10
	s_wait_loadcnt 0x14
	v_fmac_f64_e32 v[0:1], v[22:23], v[64:65]
	v_fmac_f64_e32 v[8:9], v[24:25], v[64:65]
	global_load_b128 v[22:25], v[62:63], off
	global_load_b64 v[64:65], v11, s[10:11] scale_offset
	s_wait_loadcnt 0x14
	v_fmac_f64_e32 v[0:1], v[26:27], v[66:67]
	v_fmac_f64_e32 v[8:9], v[28:29], v[66:67]
	s_wait_loadcnt 0x12
	s_delay_alu instid0(VALU_DEP_2) | instskip(NEXT) | instid1(VALU_DEP_2)
	v_fmac_f64_e32 v[0:1], v[30:31], v[68:69]
	v_fmac_f64_e32 v[8:9], v[32:33], v[68:69]
	s_wait_loadcnt 0x10
	s_delay_alu instid0(VALU_DEP_2) | instskip(NEXT) | instid1(VALU_DEP_2)
	;; [unrolled: 4-line block ×10, first 2 shown]
	v_fmac_f64_e32 v[0:1], v[22:23], v[64:65]
	v_fmac_f64_e32 v[8:9], v[24:25], v[64:65]
	s_and_not1_b32 exec_lo, exec_lo, s4
	s_cbranch_execnz .LBB131_9
; %bb.10:
	s_or_b32 exec_lo, exec_lo, s4
.LBB131_11:
	s_delay_alu instid0(SALU_CYCLE_1)
	s_or_b32 exec_lo, exec_lo, s3
	s_cbranch_execz .LBB131_13
	s_branch .LBB131_18
.LBB131_12:
                                        ; implicit-def: $vgpr0_vgpr1
                                        ; implicit-def: $vgpr8_vgpr9
.LBB131_13:
	v_mov_b64_e32 v[0:1], 0
	v_mov_b64_e32 v[8:9], 0
	s_and_saveexec_b32 s3, s2
	s_cbranch_execz .LBB131_17
; %bb.14:
	v_mad_u32 v12, v15, 26, 25
	v_mov_b64_e32 v[0:1], 0
	v_mov_b64_e32 v[8:9], 0
	v_mov_b32_e32 v11, 0
	s_mov_b32 s2, 0
.LBB131_15:                             ; =>This Inner Loop Header: Depth=1
	global_load_b32 v13, v15, s[6:7] scale_offset
	v_subrev_nc_u32_e32 v10, 25, v12
	s_wait_xcnt 0x0
	v_dual_add_nc_u32 v26, -12, v12 :: v_dual_add_nc_u32 v15, 4, v15
	v_dual_add_nc_u32 v34, -10, v12 :: v_dual_add_nc_u32 v40, -9, v12
	s_delay_alu instid0(VALU_DEP_3)
	v_lshl_add_u64 v[20:21], v[10:11], 3, s[8:9]
	v_dual_add_nc_u32 v10, -11, v12 :: v_dual_add_nc_u32 v46, -8, v12
	v_dual_add_nc_u32 v52, -7, v12 :: v_dual_add_nc_u32 v58, -6, v12
	;; [unrolled: 1-line block ×3, first 2 shown]
	v_cmp_ge_i32_e32 vcc_lo, v15, v14
	v_add_nc_u32_e32 v80, -2, v12
	s_or_b32 s2, vcc_lo, s2
	s_wait_loadcnt 0x0
	v_subrev_nc_u32_e32 v13, s12, v13
	s_delay_alu instid0(VALU_DEP_1)
	v_mul_lo_u32 v13, v13, 13
	s_clause 0x1
	global_load_b128 v[16:19], v[20:21], off
	global_load_b64 v[22:23], v26, s[8:9] scale_offset
	global_load_b64 v[24:25], v13, s[10:11] scale_offset
	v_dual_add_nc_u32 v76, -3, v12 :: v_dual_add_nc_u32 v77, 9, v13
	v_add_nc_u32_e32 v28, 1, v13
	global_load_b64 v[20:21], v10, s[8:9] scale_offset
	global_load_b64 v[26:27], v28, s[10:11] scale_offset
	s_wait_xcnt 0x1
	v_subrev_nc_u32_e32 v10, 23, v12
	v_add_nc_u32_e32 v35, 2, v13
	s_clause 0x1
	global_load_b64 v[28:29], v10, s[8:9] scale_offset
	global_load_b64 v[30:31], v34, s[8:9] scale_offset
	global_load_b64 v[32:33], v35, s[10:11] scale_offset
	s_wait_xcnt 0x2
	v_subrev_nc_u32_e32 v10, 22, v12
	v_add_nc_u32_e32 v41, 3, v13
	s_clause 0x1
	global_load_b64 v[34:35], v10, s[8:9] scale_offset
	;; [unrolled: 7-line block ×7, first 2 shown]
	global_load_b64 v[66:67], v70, s[8:9] scale_offset
	global_load_b64 v[68:69], v71, s[10:11] scale_offset
	s_wait_xcnt 0x2
	v_add_nc_u32_e32 v10, -16, v12
	s_clause 0x1
	global_load_b64 v[70:71], v10, s[8:9] scale_offset
	global_load_b64 v[72:73], v76, s[8:9] scale_offset
	;; [unrolled: 1-line block ×3, first 2 shown]
	s_wait_xcnt 0x2
	v_add_nc_u32_e32 v10, -15, v12
	s_clause 0x1
	global_load_b64 v[76:77], v10, s[8:9] scale_offset
	global_load_b64 v[78:79], v80, s[8:9] scale_offset
	s_wait_xcnt 0x1
	v_add_nc_u32_e32 v10, 10, v13
	s_wait_loadcnt 0x1c
	v_fmac_f64_e32 v[0:1], v[16:17], v[24:25]
	v_fmac_f64_e32 v[8:9], v[22:23], v[24:25]
	v_add_nc_u32_e32 v24, -1, v12
	global_load_b64 v[80:81], v10, s[10:11] scale_offset
	s_wait_xcnt 0x0
	v_dual_add_nc_u32 v10, -14, v12 :: v_dual_add_nc_u32 v25, 11, v13
	v_add_nc_u32_e32 v13, 12, v13
	global_load_b64 v[16:17], v10, s[8:9] scale_offset
	s_wait_xcnt 0x0
	v_add_nc_u32_e32 v10, -13, v12
	s_wait_loadcnt 0x1c
	v_fmac_f64_e32 v[0:1], v[18:19], v[26:27]
	global_load_b64 v[18:19], v24, s[8:9] scale_offset
	global_load_b64 v[22:23], v25, s[10:11] scale_offset
	v_fmac_f64_e32 v[8:9], v[20:21], v[26:27]
	s_clause 0x1
	global_load_b64 v[20:21], v12, s[8:9] scale_offset
	global_load_b64 v[24:25], v10, s[8:9] scale_offset
	;; [unrolled: 1-line block ×3, first 2 shown]
	s_wait_xcnt 0x2
	v_add_nc_u32_e32 v12, 0x68, v12
	s_wait_loadcnt 0x1e
	v_fmac_f64_e32 v[0:1], v[28:29], v[32:33]
	v_fmac_f64_e32 v[8:9], v[30:31], v[32:33]
	s_wait_loadcnt 0x1b
	s_delay_alu instid0(VALU_DEP_2) | instskip(NEXT) | instid1(VALU_DEP_2)
	v_fmac_f64_e32 v[0:1], v[34:35], v[38:39]
	v_fmac_f64_e32 v[8:9], v[36:37], v[38:39]
	s_wait_loadcnt 0x18
	s_delay_alu instid0(VALU_DEP_2) | instskip(NEXT) | instid1(VALU_DEP_2)
	;; [unrolled: 4-line block ×10, first 2 shown]
	v_fmac_f64_e32 v[0:1], v[24:25], v[26:27]
	v_fmac_f64_e32 v[8:9], v[20:21], v[26:27]
	s_and_not1_b32 exec_lo, exec_lo, s2
	s_cbranch_execnz .LBB131_15
; %bb.16:
	s_or_b32 exec_lo, exec_lo, s2
.LBB131_17:
	s_delay_alu instid0(SALU_CYCLE_1)
	s_or_b32 exec_lo, exec_lo, s3
.LBB131_18:
	v_mbcnt_lo_u32_b32 v14, -1, 0
	s_delay_alu instid0(VALU_DEP_1) | instskip(NEXT) | instid1(VALU_DEP_1)
	v_xor_b32_e32 v10, 2, v14
	v_cmp_gt_i32_e32 vcc_lo, 32, v10
	v_cndmask_b32_e32 v10, v14, v10, vcc_lo
	s_delay_alu instid0(VALU_DEP_1)
	v_lshlrev_b32_e32 v13, 2, v10
	ds_bpermute_b32 v10, v13, v0
	ds_bpermute_b32 v11, v13, v1
	;; [unrolled: 1-line block ×4, first 2 shown]
	s_wait_dscnt 0x2
	v_add_f64_e32 v[0:1], v[0:1], v[10:11]
	s_wait_dscnt 0x0
	v_dual_add_f64 v[10:11], v[8:9], v[12:13] :: v_dual_bitop2_b32 v8, 1, v14 bitop3:0x14
	s_delay_alu instid0(VALU_DEP_1) | instskip(SKIP_2) | instid1(VALU_DEP_2)
	v_cmp_gt_i32_e32 vcc_lo, 32, v8
	v_cndmask_b32_e32 v8, v14, v8, vcc_lo
	v_cmp_eq_u32_e32 vcc_lo, 3, v7
	v_lshlrev_b32_e32 v13, 2, v8
	ds_bpermute_b32 v8, v13, v0
	ds_bpermute_b32 v9, v13, v1
	;; [unrolled: 1-line block ×4, first 2 shown]
	s_and_b32 exec_lo, exec_lo, vcc_lo
	s_cbranch_execz .LBB131_23
; %bb.19:
	s_wait_dscnt 0x2
	v_add_f64_e32 v[8:9], v[0:1], v[8:9]
	s_wait_dscnt 0x0
	v_add_f64_e32 v[0:1], v[10:11], v[12:13]
	s_load_b64 s[0:1], s[0:1], 0x38
	s_mov_b32 s2, exec_lo
	v_cmpx_eq_f64_e32 0, v[4:5]
	s_xor_b32 s2, exec_lo, s2
	s_cbranch_execz .LBB131_21
; %bb.20:
	s_delay_alu instid0(VALU_DEP_3) | instskip(NEXT) | instid1(VALU_DEP_3)
	v_mul_f64_e32 v[8:9], v[2:3], v[8:9]
	v_dual_mul_f64 v[10:11], v[2:3], v[0:1] :: v_dual_lshlrev_b32 v0, 1, v6
                                        ; implicit-def: $vgpr6
                                        ; implicit-def: $vgpr2_vgpr3
                                        ; implicit-def: $vgpr4_vgpr5
	s_delay_alu instid0(VALU_DEP_1) | instskip(SKIP_1) | instid1(VALU_DEP_1)
	v_ashrrev_i32_e32 v1, 31, v0
	s_wait_kmcnt 0x0
	v_lshl_add_u64 v[0:1], v[0:1], 3, s[0:1]
	global_store_b128 v[0:1], v[8:11], off
                                        ; implicit-def: $vgpr8_vgpr9
                                        ; implicit-def: $vgpr0_vgpr1
.LBB131_21:
	s_wait_xcnt 0x0
	s_and_not1_saveexec_b32 s2, s2
	s_cbranch_execz .LBB131_23
; %bb.22:
	v_lshlrev_b32_e32 v6, 1, v6
	s_delay_alu instid0(VALU_DEP_1) | instskip(SKIP_1) | instid1(VALU_DEP_1)
	v_ashrrev_i32_e32 v7, 31, v6
	s_wait_kmcnt 0x0
	v_lshl_add_u64 v[14:15], v[6:7], 3, s[0:1]
	v_mul_f64_e32 v[6:7], v[2:3], v[8:9]
	v_mul_f64_e32 v[8:9], v[2:3], v[0:1]
	global_load_b128 v[10:13], v[14:15], off
	s_wait_loadcnt 0x0
	v_fmac_f64_e32 v[6:7], v[4:5], v[10:11]
	v_fmac_f64_e32 v[8:9], v[4:5], v[12:13]
	global_store_b128 v[14:15], v[6:9], off
.LBB131_23:
	s_sendmsg sendmsg(MSG_DEALLOC_VGPRS)
	s_endpgm
	.section	.rodata,"a",@progbits
	.p2align	6, 0x0
	.amdhsa_kernel _ZN9rocsparseL19gebsrmvn_2xn_kernelILj128ELj13ELj4EdEEvi20rocsparse_direction_NS_24const_host_device_scalarIT2_EEPKiS6_PKS3_S8_S4_PS3_21rocsparse_index_base_b
		.amdhsa_group_segment_fixed_size 0
		.amdhsa_private_segment_fixed_size 0
		.amdhsa_kernarg_size 72
		.amdhsa_user_sgpr_count 2
		.amdhsa_user_sgpr_dispatch_ptr 0
		.amdhsa_user_sgpr_queue_ptr 0
		.amdhsa_user_sgpr_kernarg_segment_ptr 1
		.amdhsa_user_sgpr_dispatch_id 0
		.amdhsa_user_sgpr_kernarg_preload_length 0
		.amdhsa_user_sgpr_kernarg_preload_offset 0
		.amdhsa_user_sgpr_private_segment_size 0
		.amdhsa_wavefront_size32 1
		.amdhsa_uses_dynamic_stack 0
		.amdhsa_enable_private_segment 0
		.amdhsa_system_sgpr_workgroup_id_x 1
		.amdhsa_system_sgpr_workgroup_id_y 0
		.amdhsa_system_sgpr_workgroup_id_z 0
		.amdhsa_system_sgpr_workgroup_info 0
		.amdhsa_system_vgpr_workitem_id 0
		.amdhsa_next_free_vgpr 86
		.amdhsa_next_free_sgpr 14
		.amdhsa_named_barrier_count 0
		.amdhsa_reserve_vcc 1
		.amdhsa_float_round_mode_32 0
		.amdhsa_float_round_mode_16_64 0
		.amdhsa_float_denorm_mode_32 3
		.amdhsa_float_denorm_mode_16_64 3
		.amdhsa_fp16_overflow 0
		.amdhsa_memory_ordered 1
		.amdhsa_forward_progress 1
		.amdhsa_inst_pref_size 21
		.amdhsa_round_robin_scheduling 0
		.amdhsa_exception_fp_ieee_invalid_op 0
		.amdhsa_exception_fp_denorm_src 0
		.amdhsa_exception_fp_ieee_div_zero 0
		.amdhsa_exception_fp_ieee_overflow 0
		.amdhsa_exception_fp_ieee_underflow 0
		.amdhsa_exception_fp_ieee_inexact 0
		.amdhsa_exception_int_div_zero 0
	.end_amdhsa_kernel
	.section	.text._ZN9rocsparseL19gebsrmvn_2xn_kernelILj128ELj13ELj4EdEEvi20rocsparse_direction_NS_24const_host_device_scalarIT2_EEPKiS6_PKS3_S8_S4_PS3_21rocsparse_index_base_b,"axG",@progbits,_ZN9rocsparseL19gebsrmvn_2xn_kernelILj128ELj13ELj4EdEEvi20rocsparse_direction_NS_24const_host_device_scalarIT2_EEPKiS6_PKS3_S8_S4_PS3_21rocsparse_index_base_b,comdat
.Lfunc_end131:
	.size	_ZN9rocsparseL19gebsrmvn_2xn_kernelILj128ELj13ELj4EdEEvi20rocsparse_direction_NS_24const_host_device_scalarIT2_EEPKiS6_PKS3_S8_S4_PS3_21rocsparse_index_base_b, .Lfunc_end131-_ZN9rocsparseL19gebsrmvn_2xn_kernelILj128ELj13ELj4EdEEvi20rocsparse_direction_NS_24const_host_device_scalarIT2_EEPKiS6_PKS3_S8_S4_PS3_21rocsparse_index_base_b
                                        ; -- End function
	.set _ZN9rocsparseL19gebsrmvn_2xn_kernelILj128ELj13ELj4EdEEvi20rocsparse_direction_NS_24const_host_device_scalarIT2_EEPKiS6_PKS3_S8_S4_PS3_21rocsparse_index_base_b.num_vgpr, 86
	.set _ZN9rocsparseL19gebsrmvn_2xn_kernelILj128ELj13ELj4EdEEvi20rocsparse_direction_NS_24const_host_device_scalarIT2_EEPKiS6_PKS3_S8_S4_PS3_21rocsparse_index_base_b.num_agpr, 0
	.set _ZN9rocsparseL19gebsrmvn_2xn_kernelILj128ELj13ELj4EdEEvi20rocsparse_direction_NS_24const_host_device_scalarIT2_EEPKiS6_PKS3_S8_S4_PS3_21rocsparse_index_base_b.numbered_sgpr, 14
	.set _ZN9rocsparseL19gebsrmvn_2xn_kernelILj128ELj13ELj4EdEEvi20rocsparse_direction_NS_24const_host_device_scalarIT2_EEPKiS6_PKS3_S8_S4_PS3_21rocsparse_index_base_b.num_named_barrier, 0
	.set _ZN9rocsparseL19gebsrmvn_2xn_kernelILj128ELj13ELj4EdEEvi20rocsparse_direction_NS_24const_host_device_scalarIT2_EEPKiS6_PKS3_S8_S4_PS3_21rocsparse_index_base_b.private_seg_size, 0
	.set _ZN9rocsparseL19gebsrmvn_2xn_kernelILj128ELj13ELj4EdEEvi20rocsparse_direction_NS_24const_host_device_scalarIT2_EEPKiS6_PKS3_S8_S4_PS3_21rocsparse_index_base_b.uses_vcc, 1
	.set _ZN9rocsparseL19gebsrmvn_2xn_kernelILj128ELj13ELj4EdEEvi20rocsparse_direction_NS_24const_host_device_scalarIT2_EEPKiS6_PKS3_S8_S4_PS3_21rocsparse_index_base_b.uses_flat_scratch, 0
	.set _ZN9rocsparseL19gebsrmvn_2xn_kernelILj128ELj13ELj4EdEEvi20rocsparse_direction_NS_24const_host_device_scalarIT2_EEPKiS6_PKS3_S8_S4_PS3_21rocsparse_index_base_b.has_dyn_sized_stack, 0
	.set _ZN9rocsparseL19gebsrmvn_2xn_kernelILj128ELj13ELj4EdEEvi20rocsparse_direction_NS_24const_host_device_scalarIT2_EEPKiS6_PKS3_S8_S4_PS3_21rocsparse_index_base_b.has_recursion, 0
	.set _ZN9rocsparseL19gebsrmvn_2xn_kernelILj128ELj13ELj4EdEEvi20rocsparse_direction_NS_24const_host_device_scalarIT2_EEPKiS6_PKS3_S8_S4_PS3_21rocsparse_index_base_b.has_indirect_call, 0
	.section	.AMDGPU.csdata,"",@progbits
; Kernel info:
; codeLenInByte = 2588
; TotalNumSgprs: 16
; NumVgprs: 86
; ScratchSize: 0
; MemoryBound: 0
; FloatMode: 240
; IeeeMode: 1
; LDSByteSize: 0 bytes/workgroup (compile time only)
; SGPRBlocks: 0
; VGPRBlocks: 5
; NumSGPRsForWavesPerEU: 16
; NumVGPRsForWavesPerEU: 86
; NamedBarCnt: 0
; Occupancy: 10
; WaveLimiterHint : 1
; COMPUTE_PGM_RSRC2:SCRATCH_EN: 0
; COMPUTE_PGM_RSRC2:USER_SGPR: 2
; COMPUTE_PGM_RSRC2:TRAP_HANDLER: 0
; COMPUTE_PGM_RSRC2:TGID_X_EN: 1
; COMPUTE_PGM_RSRC2:TGID_Y_EN: 0
; COMPUTE_PGM_RSRC2:TGID_Z_EN: 0
; COMPUTE_PGM_RSRC2:TIDIG_COMP_CNT: 0
	.section	.text._ZN9rocsparseL19gebsrmvn_2xn_kernelILj128ELj13ELj8EdEEvi20rocsparse_direction_NS_24const_host_device_scalarIT2_EEPKiS6_PKS3_S8_S4_PS3_21rocsparse_index_base_b,"axG",@progbits,_ZN9rocsparseL19gebsrmvn_2xn_kernelILj128ELj13ELj8EdEEvi20rocsparse_direction_NS_24const_host_device_scalarIT2_EEPKiS6_PKS3_S8_S4_PS3_21rocsparse_index_base_b,comdat
	.globl	_ZN9rocsparseL19gebsrmvn_2xn_kernelILj128ELj13ELj8EdEEvi20rocsparse_direction_NS_24const_host_device_scalarIT2_EEPKiS6_PKS3_S8_S4_PS3_21rocsparse_index_base_b ; -- Begin function _ZN9rocsparseL19gebsrmvn_2xn_kernelILj128ELj13ELj8EdEEvi20rocsparse_direction_NS_24const_host_device_scalarIT2_EEPKiS6_PKS3_S8_S4_PS3_21rocsparse_index_base_b
	.p2align	8
	.type	_ZN9rocsparseL19gebsrmvn_2xn_kernelILj128ELj13ELj8EdEEvi20rocsparse_direction_NS_24const_host_device_scalarIT2_EEPKiS6_PKS3_S8_S4_PS3_21rocsparse_index_base_b,@function
_ZN9rocsparseL19gebsrmvn_2xn_kernelILj128ELj13ELj8EdEEvi20rocsparse_direction_NS_24const_host_device_scalarIT2_EEPKiS6_PKS3_S8_S4_PS3_21rocsparse_index_base_b: ; @_ZN9rocsparseL19gebsrmvn_2xn_kernelILj128ELj13ELj8EdEEvi20rocsparse_direction_NS_24const_host_device_scalarIT2_EEPKiS6_PKS3_S8_S4_PS3_21rocsparse_index_base_b
; %bb.0:
	s_clause 0x2
	s_load_b64 s[12:13], s[0:1], 0x40
	s_load_b64 s[4:5], s[0:1], 0x8
	;; [unrolled: 1-line block ×3, first 2 shown]
	s_wait_kmcnt 0x0
	s_bitcmp1_b32 s13, 0
	v_mov_b64_e32 v[2:3], s[4:5]
	s_cselect_b32 s6, -1, 0
	s_delay_alu instid0(SALU_CYCLE_1)
	s_and_b32 vcc_lo, exec_lo, s6
	s_xor_b32 s6, s6, -1
	s_cbranch_vccnz .LBB132_2
; %bb.1:
	v_mov_b32_e32 v1, 0
	flat_load_b64 v[2:3], v1, s[4:5]
.LBB132_2:
	v_mov_b64_e32 v[4:5], s[2:3]
	s_and_not1_b32 vcc_lo, exec_lo, s6
	s_cbranch_vccnz .LBB132_4
; %bb.3:
	s_wait_xcnt 0x0
	v_mov_b32_e32 v1, 0
	flat_load_b64 v[4:5], v1, s[2:3]
.LBB132_4:
	s_wait_loadcnt_dscnt 0x0
	v_cmp_neq_f64_e32 vcc_lo, 0, v[2:3]
	s_delay_alu instid0(VALU_DEP_2) | instskip(SKIP_1) | instid1(SALU_CYCLE_1)
	v_cmp_neq_f64_e64 s2, 1.0, v[4:5]
	s_or_b32 s2, vcc_lo, s2
	s_and_saveexec_b32 s3, s2
	s_cbranch_execz .LBB132_23
; %bb.5:
	s_load_b64 s[2:3], s[0:1], 0x0
	s_bfe_u32 s4, ttmp6, 0x4000c
	s_and_b32 s5, ttmp6, 15
	s_add_co_i32 s4, s4, 1
	s_getreg_b32 s6, hwreg(HW_REG_IB_STS2, 6, 4)
	s_mul_i32 s4, ttmp9, s4
	v_lshrrev_b32_e32 v1, 3, v0
	s_add_co_i32 s5, s5, s4
	s_cmp_eq_u32 s6, 0
	s_cselect_b32 s4, ttmp9, s5
	s_delay_alu instid0(VALU_DEP_1) | instid1(SALU_CYCLE_1)
	v_lshl_or_b32 v6, s4, 4, v1
	s_wait_kmcnt 0x0
	s_delay_alu instid0(VALU_DEP_1)
	v_cmp_gt_i32_e32 vcc_lo, s2, v6
	s_and_b32 exec_lo, exec_lo, vcc_lo
	s_cbranch_execz .LBB132_23
; %bb.6:
	s_load_b256 s[4:11], s[0:1], 0x10
	v_ashrrev_i32_e32 v7, 31, v6
	s_cmp_lg_u32 s3, 0
	s_wait_kmcnt 0x0
	s_delay_alu instid0(VALU_DEP_1)
	v_lshl_add_u64 v[8:9], v[6:7], 2, s[4:5]
	v_and_b32_e32 v7, 7, v0
	global_load_b64 v[8:9], v[8:9], off
	s_wait_loadcnt 0x0
	v_subrev_nc_u32_e32 v0, s12, v8
	v_subrev_nc_u32_e32 v14, s12, v9
	s_delay_alu instid0(VALU_DEP_2) | instskip(NEXT) | instid1(VALU_DEP_1)
	v_add_nc_u32_e32 v15, v0, v7
	v_cmp_lt_i32_e64 s2, v15, v14
	s_cbranch_scc0 .LBB132_12
; %bb.7:
	v_mov_b64_e32 v[0:1], 0
	v_mov_b64_e32 v[8:9], 0
	s_and_saveexec_b32 s3, s2
	s_cbranch_execz .LBB132_11
; %bb.8:
	v_mad_u32 v10, v15, 26, 24
	v_mov_b64_e32 v[0:1], 0
	v_mov_b64_e32 v[8:9], 0
	v_dual_mov_b32 v13, 0 :: v_dual_mov_b32 v16, v15
	s_mov_b32 s4, 0
.LBB132_9:                              ; =>This Inner Loop Header: Depth=1
	global_load_b32 v11, v16, s[6:7] scale_offset
	v_subrev_nc_u32_e32 v12, 24, v10
	s_wait_xcnt 0x0
	v_add_nc_u32_e32 v16, 8, v16
	s_delay_alu instid0(VALU_DEP_2) | instskip(SKIP_1) | instid1(VALU_DEP_3)
	v_lshl_add_u64 v[22:23], v[12:13], 3, s[8:9]
	v_subrev_nc_u32_e32 v12, 22, v10
	v_cmp_ge_i32_e32 vcc_lo, v16, v14
	s_delay_alu instid0(VALU_DEP_2) | instskip(SKIP_2) | instid1(VALU_DEP_1)
	v_lshl_add_u64 v[26:27], v[12:13], 3, s[8:9]
	v_subrev_nc_u32_e32 v12, 20, v10
	s_or_b32 s4, vcc_lo, s4
	v_lshl_add_u64 v[30:31], v[12:13], 3, s[8:9]
	v_subrev_nc_u32_e32 v12, 18, v10
	s_delay_alu instid0(VALU_DEP_1) | instskip(SKIP_1) | instid1(VALU_DEP_1)
	v_lshl_add_u64 v[34:35], v[12:13], 3, s[8:9]
	v_add_nc_u32_e32 v12, -16, v10
	v_lshl_add_u64 v[38:39], v[12:13], 3, s[8:9]
	v_add_nc_u32_e32 v12, -14, v10
	s_delay_alu instid0(VALU_DEP_1) | instskip(SKIP_1) | instid1(VALU_DEP_1)
	v_lshl_add_u64 v[42:43], v[12:13], 3, s[8:9]
	v_add_nc_u32_e32 v12, -12, v10
	v_lshl_add_u64 v[46:47], v[12:13], 3, s[8:9]
	v_add_nc_u32_e32 v12, -10, v10
	;; [unrolled: 5-line block ×4, first 2 shown]
	s_wait_loadcnt 0x0
	v_subrev_nc_u32_e32 v11, s12, v11
	s_delay_alu instid0(VALU_DEP_1)
	v_mul_lo_u32 v17, v11, 13
	global_load_b128 v[18:21], v[22:23], off
	global_load_b64 v[62:63], v17, s[10:11] scale_offset
	v_add_nc_u32_e32 v11, 1, v17
	global_load_b128 v[22:25], v[26:27], off
	global_load_b64 v[64:65], v11, s[10:11] scale_offset
	s_wait_xcnt 0x0
	v_add_nc_u32_e32 v11, 2, v17
	global_load_b128 v[26:29], v[30:31], off
	global_load_b64 v[66:67], v11, s[10:11] scale_offset
	s_wait_xcnt 0x0
	;; [unrolled: 4-line block ×10, first 2 shown]
	v_add_nc_u32_e32 v11, 11, v17
	s_wait_loadcnt 0x14
	v_fmac_f64_e32 v[0:1], v[18:19], v[62:63]
	v_fmac_f64_e32 v[8:9], v[20:21], v[62:63]
	v_lshl_add_u64 v[62:63], v[12:13], 3, s[8:9]
	global_load_b128 v[18:21], v[62:63], off
	global_load_b64 v[82:83], v11, s[10:11] scale_offset
	s_wait_xcnt 0x0
	v_mov_b32_e32 v11, v13
	s_delay_alu instid0(VALU_DEP_1)
	v_lshl_add_u64 v[62:63], v[10:11], 3, s[8:9]
	v_add_nc_u32_e32 v11, 12, v17
	v_add_nc_u32_e32 v10, 0xd0, v10
	s_wait_loadcnt 0x14
	v_fmac_f64_e32 v[0:1], v[22:23], v[64:65]
	v_fmac_f64_e32 v[8:9], v[24:25], v[64:65]
	global_load_b128 v[22:25], v[62:63], off
	global_load_b64 v[64:65], v11, s[10:11] scale_offset
	s_wait_loadcnt 0x14
	v_fmac_f64_e32 v[0:1], v[26:27], v[66:67]
	v_fmac_f64_e32 v[8:9], v[28:29], v[66:67]
	s_wait_loadcnt 0x12
	s_delay_alu instid0(VALU_DEP_2) | instskip(NEXT) | instid1(VALU_DEP_2)
	v_fmac_f64_e32 v[0:1], v[30:31], v[68:69]
	v_fmac_f64_e32 v[8:9], v[32:33], v[68:69]
	s_wait_loadcnt 0x10
	s_delay_alu instid0(VALU_DEP_2) | instskip(NEXT) | instid1(VALU_DEP_2)
	;; [unrolled: 4-line block ×10, first 2 shown]
	v_fmac_f64_e32 v[0:1], v[22:23], v[64:65]
	v_fmac_f64_e32 v[8:9], v[24:25], v[64:65]
	s_and_not1_b32 exec_lo, exec_lo, s4
	s_cbranch_execnz .LBB132_9
; %bb.10:
	s_or_b32 exec_lo, exec_lo, s4
.LBB132_11:
	s_delay_alu instid0(SALU_CYCLE_1)
	s_or_b32 exec_lo, exec_lo, s3
	s_cbranch_execz .LBB132_13
	s_branch .LBB132_18
.LBB132_12:
                                        ; implicit-def: $vgpr0_vgpr1
                                        ; implicit-def: $vgpr8_vgpr9
.LBB132_13:
	v_mov_b64_e32 v[0:1], 0
	v_mov_b64_e32 v[8:9], 0
	s_and_saveexec_b32 s3, s2
	s_cbranch_execz .LBB132_17
; %bb.14:
	v_mad_u32 v12, v15, 26, 25
	v_mov_b64_e32 v[0:1], 0
	v_mov_b64_e32 v[8:9], 0
	v_mov_b32_e32 v11, 0
	s_mov_b32 s2, 0
.LBB132_15:                             ; =>This Inner Loop Header: Depth=1
	global_load_b32 v13, v15, s[6:7] scale_offset
	v_subrev_nc_u32_e32 v10, 25, v12
	s_wait_xcnt 0x0
	v_dual_add_nc_u32 v26, -12, v12 :: v_dual_add_nc_u32 v15, 8, v15
	v_dual_add_nc_u32 v34, -10, v12 :: v_dual_add_nc_u32 v40, -9, v12
	s_delay_alu instid0(VALU_DEP_3)
	v_lshl_add_u64 v[20:21], v[10:11], 3, s[8:9]
	v_dual_add_nc_u32 v10, -11, v12 :: v_dual_add_nc_u32 v46, -8, v12
	v_dual_add_nc_u32 v52, -7, v12 :: v_dual_add_nc_u32 v58, -6, v12
	;; [unrolled: 1-line block ×3, first 2 shown]
	v_cmp_ge_i32_e32 vcc_lo, v15, v14
	v_add_nc_u32_e32 v80, -2, v12
	s_or_b32 s2, vcc_lo, s2
	s_wait_loadcnt 0x0
	v_subrev_nc_u32_e32 v13, s12, v13
	s_delay_alu instid0(VALU_DEP_1)
	v_mul_lo_u32 v13, v13, 13
	s_clause 0x1
	global_load_b128 v[16:19], v[20:21], off
	global_load_b64 v[22:23], v26, s[8:9] scale_offset
	global_load_b64 v[24:25], v13, s[10:11] scale_offset
	v_dual_add_nc_u32 v76, -3, v12 :: v_dual_add_nc_u32 v77, 9, v13
	v_add_nc_u32_e32 v28, 1, v13
	global_load_b64 v[20:21], v10, s[8:9] scale_offset
	global_load_b64 v[26:27], v28, s[10:11] scale_offset
	s_wait_xcnt 0x1
	v_subrev_nc_u32_e32 v10, 23, v12
	v_add_nc_u32_e32 v35, 2, v13
	s_clause 0x1
	global_load_b64 v[28:29], v10, s[8:9] scale_offset
	global_load_b64 v[30:31], v34, s[8:9] scale_offset
	global_load_b64 v[32:33], v35, s[10:11] scale_offset
	s_wait_xcnt 0x2
	v_subrev_nc_u32_e32 v10, 22, v12
	v_add_nc_u32_e32 v41, 3, v13
	s_clause 0x1
	global_load_b64 v[34:35], v10, s[8:9] scale_offset
	;; [unrolled: 7-line block ×7, first 2 shown]
	global_load_b64 v[66:67], v70, s[8:9] scale_offset
	global_load_b64 v[68:69], v71, s[10:11] scale_offset
	s_wait_xcnt 0x2
	v_add_nc_u32_e32 v10, -16, v12
	s_clause 0x1
	global_load_b64 v[70:71], v10, s[8:9] scale_offset
	global_load_b64 v[72:73], v76, s[8:9] scale_offset
	;; [unrolled: 1-line block ×3, first 2 shown]
	s_wait_xcnt 0x2
	v_add_nc_u32_e32 v10, -15, v12
	s_clause 0x1
	global_load_b64 v[76:77], v10, s[8:9] scale_offset
	global_load_b64 v[78:79], v80, s[8:9] scale_offset
	s_wait_xcnt 0x1
	v_add_nc_u32_e32 v10, 10, v13
	s_wait_loadcnt 0x1c
	v_fmac_f64_e32 v[0:1], v[16:17], v[24:25]
	v_fmac_f64_e32 v[8:9], v[22:23], v[24:25]
	v_add_nc_u32_e32 v24, -1, v12
	global_load_b64 v[80:81], v10, s[10:11] scale_offset
	s_wait_xcnt 0x0
	v_dual_add_nc_u32 v10, -14, v12 :: v_dual_add_nc_u32 v25, 11, v13
	v_add_nc_u32_e32 v13, 12, v13
	global_load_b64 v[16:17], v10, s[8:9] scale_offset
	s_wait_xcnt 0x0
	v_add_nc_u32_e32 v10, -13, v12
	s_wait_loadcnt 0x1c
	v_fmac_f64_e32 v[0:1], v[18:19], v[26:27]
	global_load_b64 v[18:19], v24, s[8:9] scale_offset
	global_load_b64 v[22:23], v25, s[10:11] scale_offset
	v_fmac_f64_e32 v[8:9], v[20:21], v[26:27]
	s_clause 0x1
	global_load_b64 v[20:21], v12, s[8:9] scale_offset
	global_load_b64 v[24:25], v10, s[8:9] scale_offset
	;; [unrolled: 1-line block ×3, first 2 shown]
	s_wait_xcnt 0x2
	v_add_nc_u32_e32 v12, 0xd0, v12
	s_wait_loadcnt 0x1e
	v_fmac_f64_e32 v[0:1], v[28:29], v[32:33]
	v_fmac_f64_e32 v[8:9], v[30:31], v[32:33]
	s_wait_loadcnt 0x1b
	s_delay_alu instid0(VALU_DEP_2) | instskip(NEXT) | instid1(VALU_DEP_2)
	v_fmac_f64_e32 v[0:1], v[34:35], v[38:39]
	v_fmac_f64_e32 v[8:9], v[36:37], v[38:39]
	s_wait_loadcnt 0x18
	s_delay_alu instid0(VALU_DEP_2) | instskip(NEXT) | instid1(VALU_DEP_2)
	v_fmac_f64_e32 v[0:1], v[40:41], v[44:45]
	v_fmac_f64_e32 v[8:9], v[42:43], v[44:45]
	s_wait_loadcnt 0x15
	s_delay_alu instid0(VALU_DEP_2) | instskip(NEXT) | instid1(VALU_DEP_2)
	v_fmac_f64_e32 v[0:1], v[46:47], v[50:51]
	v_fmac_f64_e32 v[8:9], v[48:49], v[50:51]
	s_wait_loadcnt 0x12
	s_delay_alu instid0(VALU_DEP_2) | instskip(NEXT) | instid1(VALU_DEP_2)
	v_fmac_f64_e32 v[0:1], v[52:53], v[56:57]
	v_fmac_f64_e32 v[8:9], v[54:55], v[56:57]
	s_wait_loadcnt 0xf
	s_delay_alu instid0(VALU_DEP_2) | instskip(NEXT) | instid1(VALU_DEP_2)
	v_fmac_f64_e32 v[0:1], v[58:59], v[62:63]
	v_fmac_f64_e32 v[8:9], v[60:61], v[62:63]
	s_wait_loadcnt 0xc
	s_delay_alu instid0(VALU_DEP_2) | instskip(NEXT) | instid1(VALU_DEP_2)
	v_fmac_f64_e32 v[0:1], v[64:65], v[68:69]
	v_fmac_f64_e32 v[8:9], v[66:67], v[68:69]
	s_wait_loadcnt 0x9
	s_delay_alu instid0(VALU_DEP_2) | instskip(NEXT) | instid1(VALU_DEP_2)
	v_fmac_f64_e32 v[0:1], v[70:71], v[74:75]
	v_fmac_f64_e32 v[8:9], v[72:73], v[74:75]
	s_wait_loadcnt 0x6
	s_delay_alu instid0(VALU_DEP_2) | instskip(NEXT) | instid1(VALU_DEP_2)
	v_fmac_f64_e32 v[0:1], v[76:77], v[80:81]
	v_fmac_f64_e32 v[8:9], v[78:79], v[80:81]
	s_wait_loadcnt 0x3
	s_delay_alu instid0(VALU_DEP_2) | instskip(NEXT) | instid1(VALU_DEP_2)
	v_fmac_f64_e32 v[0:1], v[16:17], v[22:23]
	v_fmac_f64_e32 v[8:9], v[18:19], v[22:23]
	s_wait_loadcnt 0x0
	s_delay_alu instid0(VALU_DEP_2) | instskip(NEXT) | instid1(VALU_DEP_2)
	v_fmac_f64_e32 v[0:1], v[24:25], v[26:27]
	v_fmac_f64_e32 v[8:9], v[20:21], v[26:27]
	s_and_not1_b32 exec_lo, exec_lo, s2
	s_cbranch_execnz .LBB132_15
; %bb.16:
	s_or_b32 exec_lo, exec_lo, s2
.LBB132_17:
	s_delay_alu instid0(SALU_CYCLE_1)
	s_or_b32 exec_lo, exec_lo, s3
.LBB132_18:
	v_mbcnt_lo_u32_b32 v14, -1, 0
	s_delay_alu instid0(VALU_DEP_1) | instskip(NEXT) | instid1(VALU_DEP_1)
	v_xor_b32_e32 v10, 4, v14
	v_cmp_gt_i32_e32 vcc_lo, 32, v10
	v_cndmask_b32_e32 v10, v14, v10, vcc_lo
	s_delay_alu instid0(VALU_DEP_1)
	v_lshlrev_b32_e32 v13, 2, v10
	ds_bpermute_b32 v10, v13, v0
	ds_bpermute_b32 v11, v13, v1
	s_wait_dscnt 0x0
	v_add_f64_e32 v[0:1], v[0:1], v[10:11]
	v_xor_b32_e32 v10, 2, v14
	s_delay_alu instid0(VALU_DEP_1)
	v_cmp_gt_i32_e32 vcc_lo, 32, v10
	v_cndmask_b32_e32 v10, v14, v10, vcc_lo
	ds_bpermute_b32 v12, v13, v8
	ds_bpermute_b32 v13, v13, v9
	s_wait_dscnt 0x0
	v_dual_add_f64 v[8:9], v[8:9], v[12:13] :: v_dual_lshlrev_b32 v13, 2, v10
	ds_bpermute_b32 v10, v13, v0
	ds_bpermute_b32 v11, v13, v1
	s_wait_dscnt 0x0
	v_add_f64_e32 v[0:1], v[0:1], v[10:11]
	ds_bpermute_b32 v12, v13, v8
	ds_bpermute_b32 v13, v13, v9
	s_wait_dscnt 0x0
	v_dual_add_f64 v[10:11], v[8:9], v[12:13] :: v_dual_bitop2_b32 v8, 1, v14 bitop3:0x14
	s_delay_alu instid0(VALU_DEP_1) | instskip(SKIP_2) | instid1(VALU_DEP_2)
	v_cmp_gt_i32_e32 vcc_lo, 32, v8
	v_cndmask_b32_e32 v8, v14, v8, vcc_lo
	v_cmp_eq_u32_e32 vcc_lo, 7, v7
	v_lshlrev_b32_e32 v13, 2, v8
	ds_bpermute_b32 v8, v13, v0
	ds_bpermute_b32 v9, v13, v1
	;; [unrolled: 1-line block ×4, first 2 shown]
	s_and_b32 exec_lo, exec_lo, vcc_lo
	s_cbranch_execz .LBB132_23
; %bb.19:
	s_wait_dscnt 0x2
	v_add_f64_e32 v[8:9], v[0:1], v[8:9]
	s_wait_dscnt 0x0
	v_add_f64_e32 v[0:1], v[10:11], v[12:13]
	s_load_b64 s[0:1], s[0:1], 0x38
	s_mov_b32 s2, exec_lo
	v_cmpx_eq_f64_e32 0, v[4:5]
	s_xor_b32 s2, exec_lo, s2
	s_cbranch_execz .LBB132_21
; %bb.20:
	s_delay_alu instid0(VALU_DEP_3) | instskip(NEXT) | instid1(VALU_DEP_3)
	v_mul_f64_e32 v[8:9], v[2:3], v[8:9]
	v_dual_mul_f64 v[10:11], v[2:3], v[0:1] :: v_dual_lshlrev_b32 v0, 1, v6
                                        ; implicit-def: $vgpr6
                                        ; implicit-def: $vgpr2_vgpr3
                                        ; implicit-def: $vgpr4_vgpr5
	s_delay_alu instid0(VALU_DEP_1) | instskip(SKIP_1) | instid1(VALU_DEP_1)
	v_ashrrev_i32_e32 v1, 31, v0
	s_wait_kmcnt 0x0
	v_lshl_add_u64 v[0:1], v[0:1], 3, s[0:1]
	global_store_b128 v[0:1], v[8:11], off
                                        ; implicit-def: $vgpr8_vgpr9
                                        ; implicit-def: $vgpr0_vgpr1
.LBB132_21:
	s_wait_xcnt 0x0
	s_and_not1_saveexec_b32 s2, s2
	s_cbranch_execz .LBB132_23
; %bb.22:
	v_lshlrev_b32_e32 v6, 1, v6
	s_delay_alu instid0(VALU_DEP_1) | instskip(SKIP_1) | instid1(VALU_DEP_1)
	v_ashrrev_i32_e32 v7, 31, v6
	s_wait_kmcnt 0x0
	v_lshl_add_u64 v[14:15], v[6:7], 3, s[0:1]
	v_mul_f64_e32 v[6:7], v[2:3], v[8:9]
	v_mul_f64_e32 v[8:9], v[2:3], v[0:1]
	global_load_b128 v[10:13], v[14:15], off
	s_wait_loadcnt 0x0
	v_fmac_f64_e32 v[6:7], v[4:5], v[10:11]
	v_fmac_f64_e32 v[8:9], v[4:5], v[12:13]
	global_store_b128 v[14:15], v[6:9], off
.LBB132_23:
	s_sendmsg sendmsg(MSG_DEALLOC_VGPRS)
	s_endpgm
	.section	.rodata,"a",@progbits
	.p2align	6, 0x0
	.amdhsa_kernel _ZN9rocsparseL19gebsrmvn_2xn_kernelILj128ELj13ELj8EdEEvi20rocsparse_direction_NS_24const_host_device_scalarIT2_EEPKiS6_PKS3_S8_S4_PS3_21rocsparse_index_base_b
		.amdhsa_group_segment_fixed_size 0
		.amdhsa_private_segment_fixed_size 0
		.amdhsa_kernarg_size 72
		.amdhsa_user_sgpr_count 2
		.amdhsa_user_sgpr_dispatch_ptr 0
		.amdhsa_user_sgpr_queue_ptr 0
		.amdhsa_user_sgpr_kernarg_segment_ptr 1
		.amdhsa_user_sgpr_dispatch_id 0
		.amdhsa_user_sgpr_kernarg_preload_length 0
		.amdhsa_user_sgpr_kernarg_preload_offset 0
		.amdhsa_user_sgpr_private_segment_size 0
		.amdhsa_wavefront_size32 1
		.amdhsa_uses_dynamic_stack 0
		.amdhsa_enable_private_segment 0
		.amdhsa_system_sgpr_workgroup_id_x 1
		.amdhsa_system_sgpr_workgroup_id_y 0
		.amdhsa_system_sgpr_workgroup_id_z 0
		.amdhsa_system_sgpr_workgroup_info 0
		.amdhsa_system_vgpr_workitem_id 0
		.amdhsa_next_free_vgpr 86
		.amdhsa_next_free_sgpr 14
		.amdhsa_named_barrier_count 0
		.amdhsa_reserve_vcc 1
		.amdhsa_float_round_mode_32 0
		.amdhsa_float_round_mode_16_64 0
		.amdhsa_float_denorm_mode_32 3
		.amdhsa_float_denorm_mode_16_64 3
		.amdhsa_fp16_overflow 0
		.amdhsa_memory_ordered 1
		.amdhsa_forward_progress 1
		.amdhsa_inst_pref_size 21
		.amdhsa_round_robin_scheduling 0
		.amdhsa_exception_fp_ieee_invalid_op 0
		.amdhsa_exception_fp_denorm_src 0
		.amdhsa_exception_fp_ieee_div_zero 0
		.amdhsa_exception_fp_ieee_overflow 0
		.amdhsa_exception_fp_ieee_underflow 0
		.amdhsa_exception_fp_ieee_inexact 0
		.amdhsa_exception_int_div_zero 0
	.end_amdhsa_kernel
	.section	.text._ZN9rocsparseL19gebsrmvn_2xn_kernelILj128ELj13ELj8EdEEvi20rocsparse_direction_NS_24const_host_device_scalarIT2_EEPKiS6_PKS3_S8_S4_PS3_21rocsparse_index_base_b,"axG",@progbits,_ZN9rocsparseL19gebsrmvn_2xn_kernelILj128ELj13ELj8EdEEvi20rocsparse_direction_NS_24const_host_device_scalarIT2_EEPKiS6_PKS3_S8_S4_PS3_21rocsparse_index_base_b,comdat
.Lfunc_end132:
	.size	_ZN9rocsparseL19gebsrmvn_2xn_kernelILj128ELj13ELj8EdEEvi20rocsparse_direction_NS_24const_host_device_scalarIT2_EEPKiS6_PKS3_S8_S4_PS3_21rocsparse_index_base_b, .Lfunc_end132-_ZN9rocsparseL19gebsrmvn_2xn_kernelILj128ELj13ELj8EdEEvi20rocsparse_direction_NS_24const_host_device_scalarIT2_EEPKiS6_PKS3_S8_S4_PS3_21rocsparse_index_base_b
                                        ; -- End function
	.set _ZN9rocsparseL19gebsrmvn_2xn_kernelILj128ELj13ELj8EdEEvi20rocsparse_direction_NS_24const_host_device_scalarIT2_EEPKiS6_PKS3_S8_S4_PS3_21rocsparse_index_base_b.num_vgpr, 86
	.set _ZN9rocsparseL19gebsrmvn_2xn_kernelILj128ELj13ELj8EdEEvi20rocsparse_direction_NS_24const_host_device_scalarIT2_EEPKiS6_PKS3_S8_S4_PS3_21rocsparse_index_base_b.num_agpr, 0
	.set _ZN9rocsparseL19gebsrmvn_2xn_kernelILj128ELj13ELj8EdEEvi20rocsparse_direction_NS_24const_host_device_scalarIT2_EEPKiS6_PKS3_S8_S4_PS3_21rocsparse_index_base_b.numbered_sgpr, 14
	.set _ZN9rocsparseL19gebsrmvn_2xn_kernelILj128ELj13ELj8EdEEvi20rocsparse_direction_NS_24const_host_device_scalarIT2_EEPKiS6_PKS3_S8_S4_PS3_21rocsparse_index_base_b.num_named_barrier, 0
	.set _ZN9rocsparseL19gebsrmvn_2xn_kernelILj128ELj13ELj8EdEEvi20rocsparse_direction_NS_24const_host_device_scalarIT2_EEPKiS6_PKS3_S8_S4_PS3_21rocsparse_index_base_b.private_seg_size, 0
	.set _ZN9rocsparseL19gebsrmvn_2xn_kernelILj128ELj13ELj8EdEEvi20rocsparse_direction_NS_24const_host_device_scalarIT2_EEPKiS6_PKS3_S8_S4_PS3_21rocsparse_index_base_b.uses_vcc, 1
	.set _ZN9rocsparseL19gebsrmvn_2xn_kernelILj128ELj13ELj8EdEEvi20rocsparse_direction_NS_24const_host_device_scalarIT2_EEPKiS6_PKS3_S8_S4_PS3_21rocsparse_index_base_b.uses_flat_scratch, 0
	.set _ZN9rocsparseL19gebsrmvn_2xn_kernelILj128ELj13ELj8EdEEvi20rocsparse_direction_NS_24const_host_device_scalarIT2_EEPKiS6_PKS3_S8_S4_PS3_21rocsparse_index_base_b.has_dyn_sized_stack, 0
	.set _ZN9rocsparseL19gebsrmvn_2xn_kernelILj128ELj13ELj8EdEEvi20rocsparse_direction_NS_24const_host_device_scalarIT2_EEPKiS6_PKS3_S8_S4_PS3_21rocsparse_index_base_b.has_recursion, 0
	.set _ZN9rocsparseL19gebsrmvn_2xn_kernelILj128ELj13ELj8EdEEvi20rocsparse_direction_NS_24const_host_device_scalarIT2_EEPKiS6_PKS3_S8_S4_PS3_21rocsparse_index_base_b.has_indirect_call, 0
	.section	.AMDGPU.csdata,"",@progbits
; Kernel info:
; codeLenInByte = 2660
; TotalNumSgprs: 16
; NumVgprs: 86
; ScratchSize: 0
; MemoryBound: 0
; FloatMode: 240
; IeeeMode: 1
; LDSByteSize: 0 bytes/workgroup (compile time only)
; SGPRBlocks: 0
; VGPRBlocks: 5
; NumSGPRsForWavesPerEU: 16
; NumVGPRsForWavesPerEU: 86
; NamedBarCnt: 0
; Occupancy: 10
; WaveLimiterHint : 1
; COMPUTE_PGM_RSRC2:SCRATCH_EN: 0
; COMPUTE_PGM_RSRC2:USER_SGPR: 2
; COMPUTE_PGM_RSRC2:TRAP_HANDLER: 0
; COMPUTE_PGM_RSRC2:TGID_X_EN: 1
; COMPUTE_PGM_RSRC2:TGID_Y_EN: 0
; COMPUTE_PGM_RSRC2:TGID_Z_EN: 0
; COMPUTE_PGM_RSRC2:TIDIG_COMP_CNT: 0
	.section	.text._ZN9rocsparseL19gebsrmvn_2xn_kernelILj128ELj13ELj16EdEEvi20rocsparse_direction_NS_24const_host_device_scalarIT2_EEPKiS6_PKS3_S8_S4_PS3_21rocsparse_index_base_b,"axG",@progbits,_ZN9rocsparseL19gebsrmvn_2xn_kernelILj128ELj13ELj16EdEEvi20rocsparse_direction_NS_24const_host_device_scalarIT2_EEPKiS6_PKS3_S8_S4_PS3_21rocsparse_index_base_b,comdat
	.globl	_ZN9rocsparseL19gebsrmvn_2xn_kernelILj128ELj13ELj16EdEEvi20rocsparse_direction_NS_24const_host_device_scalarIT2_EEPKiS6_PKS3_S8_S4_PS3_21rocsparse_index_base_b ; -- Begin function _ZN9rocsparseL19gebsrmvn_2xn_kernelILj128ELj13ELj16EdEEvi20rocsparse_direction_NS_24const_host_device_scalarIT2_EEPKiS6_PKS3_S8_S4_PS3_21rocsparse_index_base_b
	.p2align	8
	.type	_ZN9rocsparseL19gebsrmvn_2xn_kernelILj128ELj13ELj16EdEEvi20rocsparse_direction_NS_24const_host_device_scalarIT2_EEPKiS6_PKS3_S8_S4_PS3_21rocsparse_index_base_b,@function
_ZN9rocsparseL19gebsrmvn_2xn_kernelILj128ELj13ELj16EdEEvi20rocsparse_direction_NS_24const_host_device_scalarIT2_EEPKiS6_PKS3_S8_S4_PS3_21rocsparse_index_base_b: ; @_ZN9rocsparseL19gebsrmvn_2xn_kernelILj128ELj13ELj16EdEEvi20rocsparse_direction_NS_24const_host_device_scalarIT2_EEPKiS6_PKS3_S8_S4_PS3_21rocsparse_index_base_b
; %bb.0:
	s_clause 0x2
	s_load_b64 s[12:13], s[0:1], 0x40
	s_load_b64 s[4:5], s[0:1], 0x8
	;; [unrolled: 1-line block ×3, first 2 shown]
	s_wait_kmcnt 0x0
	s_bitcmp1_b32 s13, 0
	v_mov_b64_e32 v[2:3], s[4:5]
	s_cselect_b32 s6, -1, 0
	s_delay_alu instid0(SALU_CYCLE_1)
	s_and_b32 vcc_lo, exec_lo, s6
	s_xor_b32 s6, s6, -1
	s_cbranch_vccnz .LBB133_2
; %bb.1:
	v_mov_b32_e32 v1, 0
	flat_load_b64 v[2:3], v1, s[4:5]
.LBB133_2:
	v_mov_b64_e32 v[4:5], s[2:3]
	s_and_not1_b32 vcc_lo, exec_lo, s6
	s_cbranch_vccnz .LBB133_4
; %bb.3:
	s_wait_xcnt 0x0
	v_mov_b32_e32 v1, 0
	flat_load_b64 v[4:5], v1, s[2:3]
.LBB133_4:
	s_wait_loadcnt_dscnt 0x0
	v_cmp_neq_f64_e32 vcc_lo, 0, v[2:3]
	s_delay_alu instid0(VALU_DEP_2) | instskip(SKIP_1) | instid1(SALU_CYCLE_1)
	v_cmp_neq_f64_e64 s2, 1.0, v[4:5]
	s_or_b32 s2, vcc_lo, s2
	s_and_saveexec_b32 s3, s2
	s_cbranch_execz .LBB133_23
; %bb.5:
	s_load_b64 s[2:3], s[0:1], 0x0
	s_bfe_u32 s4, ttmp6, 0x4000c
	s_and_b32 s5, ttmp6, 15
	s_add_co_i32 s4, s4, 1
	s_getreg_b32 s6, hwreg(HW_REG_IB_STS2, 6, 4)
	s_mul_i32 s4, ttmp9, s4
	v_lshrrev_b32_e32 v1, 4, v0
	s_add_co_i32 s5, s5, s4
	s_cmp_eq_u32 s6, 0
	s_cselect_b32 s4, ttmp9, s5
	s_delay_alu instid0(VALU_DEP_1) | instid1(SALU_CYCLE_1)
	v_lshl_or_b32 v6, s4, 3, v1
	s_wait_kmcnt 0x0
	s_delay_alu instid0(VALU_DEP_1)
	v_cmp_gt_i32_e32 vcc_lo, s2, v6
	s_and_b32 exec_lo, exec_lo, vcc_lo
	s_cbranch_execz .LBB133_23
; %bb.6:
	s_load_b256 s[4:11], s[0:1], 0x10
	v_ashrrev_i32_e32 v7, 31, v6
	s_cmp_lg_u32 s3, 0
	s_wait_kmcnt 0x0
	s_delay_alu instid0(VALU_DEP_1)
	v_lshl_add_u64 v[8:9], v[6:7], 2, s[4:5]
	v_and_b32_e32 v7, 15, v0
	global_load_b64 v[8:9], v[8:9], off
	s_wait_loadcnt 0x0
	v_subrev_nc_u32_e32 v0, s12, v8
	v_subrev_nc_u32_e32 v14, s12, v9
	s_delay_alu instid0(VALU_DEP_2) | instskip(NEXT) | instid1(VALU_DEP_1)
	v_add_nc_u32_e32 v15, v0, v7
	v_cmp_lt_i32_e64 s2, v15, v14
	s_cbranch_scc0 .LBB133_12
; %bb.7:
	v_mov_b64_e32 v[0:1], 0
	v_mov_b64_e32 v[8:9], 0
	s_and_saveexec_b32 s3, s2
	s_cbranch_execz .LBB133_11
; %bb.8:
	v_mad_u32 v10, v15, 26, 24
	v_mov_b64_e32 v[0:1], 0
	v_mov_b64_e32 v[8:9], 0
	v_dual_mov_b32 v13, 0 :: v_dual_mov_b32 v16, v15
	s_mov_b32 s4, 0
.LBB133_9:                              ; =>This Inner Loop Header: Depth=1
	global_load_b32 v11, v16, s[6:7] scale_offset
	v_subrev_nc_u32_e32 v12, 24, v10
	s_wait_xcnt 0x0
	v_add_nc_u32_e32 v16, 16, v16
	s_delay_alu instid0(VALU_DEP_2) | instskip(SKIP_1) | instid1(VALU_DEP_3)
	v_lshl_add_u64 v[22:23], v[12:13], 3, s[8:9]
	v_subrev_nc_u32_e32 v12, 22, v10
	v_cmp_ge_i32_e32 vcc_lo, v16, v14
	s_delay_alu instid0(VALU_DEP_2) | instskip(SKIP_2) | instid1(VALU_DEP_1)
	v_lshl_add_u64 v[26:27], v[12:13], 3, s[8:9]
	v_subrev_nc_u32_e32 v12, 20, v10
	s_or_b32 s4, vcc_lo, s4
	v_lshl_add_u64 v[30:31], v[12:13], 3, s[8:9]
	v_subrev_nc_u32_e32 v12, 18, v10
	s_delay_alu instid0(VALU_DEP_1) | instskip(SKIP_1) | instid1(VALU_DEP_1)
	v_lshl_add_u64 v[34:35], v[12:13], 3, s[8:9]
	v_add_nc_u32_e32 v12, -16, v10
	v_lshl_add_u64 v[38:39], v[12:13], 3, s[8:9]
	v_add_nc_u32_e32 v12, -14, v10
	s_delay_alu instid0(VALU_DEP_1) | instskip(SKIP_1) | instid1(VALU_DEP_1)
	v_lshl_add_u64 v[42:43], v[12:13], 3, s[8:9]
	v_add_nc_u32_e32 v12, -12, v10
	v_lshl_add_u64 v[46:47], v[12:13], 3, s[8:9]
	v_add_nc_u32_e32 v12, -10, v10
	;; [unrolled: 5-line block ×4, first 2 shown]
	s_wait_loadcnt 0x0
	v_subrev_nc_u32_e32 v11, s12, v11
	s_delay_alu instid0(VALU_DEP_1)
	v_mul_lo_u32 v17, v11, 13
	global_load_b128 v[18:21], v[22:23], off
	global_load_b64 v[62:63], v17, s[10:11] scale_offset
	v_add_nc_u32_e32 v11, 1, v17
	global_load_b128 v[22:25], v[26:27], off
	global_load_b64 v[64:65], v11, s[10:11] scale_offset
	s_wait_xcnt 0x0
	v_add_nc_u32_e32 v11, 2, v17
	global_load_b128 v[26:29], v[30:31], off
	global_load_b64 v[66:67], v11, s[10:11] scale_offset
	s_wait_xcnt 0x0
	;; [unrolled: 4-line block ×10, first 2 shown]
	v_add_nc_u32_e32 v11, 11, v17
	s_wait_loadcnt 0x14
	v_fmac_f64_e32 v[0:1], v[18:19], v[62:63]
	v_fmac_f64_e32 v[8:9], v[20:21], v[62:63]
	v_lshl_add_u64 v[62:63], v[12:13], 3, s[8:9]
	global_load_b128 v[18:21], v[62:63], off
	global_load_b64 v[82:83], v11, s[10:11] scale_offset
	s_wait_xcnt 0x0
	v_mov_b32_e32 v11, v13
	s_delay_alu instid0(VALU_DEP_1)
	v_lshl_add_u64 v[62:63], v[10:11], 3, s[8:9]
	v_add_nc_u32_e32 v11, 12, v17
	v_add_nc_u32_e32 v10, 0x1a0, v10
	s_wait_loadcnt 0x14
	v_fmac_f64_e32 v[0:1], v[22:23], v[64:65]
	v_fmac_f64_e32 v[8:9], v[24:25], v[64:65]
	global_load_b128 v[22:25], v[62:63], off
	global_load_b64 v[64:65], v11, s[10:11] scale_offset
	s_wait_loadcnt 0x14
	v_fmac_f64_e32 v[0:1], v[26:27], v[66:67]
	v_fmac_f64_e32 v[8:9], v[28:29], v[66:67]
	s_wait_loadcnt 0x12
	s_delay_alu instid0(VALU_DEP_2) | instskip(NEXT) | instid1(VALU_DEP_2)
	v_fmac_f64_e32 v[0:1], v[30:31], v[68:69]
	v_fmac_f64_e32 v[8:9], v[32:33], v[68:69]
	s_wait_loadcnt 0x10
	s_delay_alu instid0(VALU_DEP_2) | instskip(NEXT) | instid1(VALU_DEP_2)
	;; [unrolled: 4-line block ×10, first 2 shown]
	v_fmac_f64_e32 v[0:1], v[22:23], v[64:65]
	v_fmac_f64_e32 v[8:9], v[24:25], v[64:65]
	s_and_not1_b32 exec_lo, exec_lo, s4
	s_cbranch_execnz .LBB133_9
; %bb.10:
	s_or_b32 exec_lo, exec_lo, s4
.LBB133_11:
	s_delay_alu instid0(SALU_CYCLE_1)
	s_or_b32 exec_lo, exec_lo, s3
	s_cbranch_execz .LBB133_13
	s_branch .LBB133_18
.LBB133_12:
                                        ; implicit-def: $vgpr0_vgpr1
                                        ; implicit-def: $vgpr8_vgpr9
.LBB133_13:
	v_mov_b64_e32 v[0:1], 0
	v_mov_b64_e32 v[8:9], 0
	s_and_saveexec_b32 s3, s2
	s_cbranch_execz .LBB133_17
; %bb.14:
	v_mad_u32 v12, v15, 26, 25
	v_mov_b64_e32 v[0:1], 0
	v_mov_b64_e32 v[8:9], 0
	v_mov_b32_e32 v11, 0
	s_mov_b32 s2, 0
.LBB133_15:                             ; =>This Inner Loop Header: Depth=1
	global_load_b32 v13, v15, s[6:7] scale_offset
	v_subrev_nc_u32_e32 v10, 25, v12
	s_wait_xcnt 0x0
	v_dual_add_nc_u32 v26, -12, v12 :: v_dual_add_nc_u32 v15, 16, v15
	v_dual_add_nc_u32 v34, -10, v12 :: v_dual_add_nc_u32 v40, -9, v12
	s_delay_alu instid0(VALU_DEP_3)
	v_lshl_add_u64 v[20:21], v[10:11], 3, s[8:9]
	v_dual_add_nc_u32 v10, -11, v12 :: v_dual_add_nc_u32 v46, -8, v12
	v_dual_add_nc_u32 v52, -7, v12 :: v_dual_add_nc_u32 v58, -6, v12
	;; [unrolled: 1-line block ×3, first 2 shown]
	v_cmp_ge_i32_e32 vcc_lo, v15, v14
	v_add_nc_u32_e32 v80, -2, v12
	s_or_b32 s2, vcc_lo, s2
	s_wait_loadcnt 0x0
	v_subrev_nc_u32_e32 v13, s12, v13
	s_delay_alu instid0(VALU_DEP_1)
	v_mul_lo_u32 v13, v13, 13
	s_clause 0x1
	global_load_b128 v[16:19], v[20:21], off
	global_load_b64 v[22:23], v26, s[8:9] scale_offset
	global_load_b64 v[24:25], v13, s[10:11] scale_offset
	v_dual_add_nc_u32 v76, -3, v12 :: v_dual_add_nc_u32 v77, 9, v13
	v_add_nc_u32_e32 v28, 1, v13
	global_load_b64 v[20:21], v10, s[8:9] scale_offset
	global_load_b64 v[26:27], v28, s[10:11] scale_offset
	s_wait_xcnt 0x1
	v_subrev_nc_u32_e32 v10, 23, v12
	v_add_nc_u32_e32 v35, 2, v13
	s_clause 0x1
	global_load_b64 v[28:29], v10, s[8:9] scale_offset
	global_load_b64 v[30:31], v34, s[8:9] scale_offset
	global_load_b64 v[32:33], v35, s[10:11] scale_offset
	s_wait_xcnt 0x2
	v_subrev_nc_u32_e32 v10, 22, v12
	v_add_nc_u32_e32 v41, 3, v13
	s_clause 0x1
	global_load_b64 v[34:35], v10, s[8:9] scale_offset
	;; [unrolled: 7-line block ×7, first 2 shown]
	global_load_b64 v[66:67], v70, s[8:9] scale_offset
	global_load_b64 v[68:69], v71, s[10:11] scale_offset
	s_wait_xcnt 0x2
	v_add_nc_u32_e32 v10, -16, v12
	s_clause 0x1
	global_load_b64 v[70:71], v10, s[8:9] scale_offset
	global_load_b64 v[72:73], v76, s[8:9] scale_offset
	;; [unrolled: 1-line block ×3, first 2 shown]
	s_wait_xcnt 0x2
	v_add_nc_u32_e32 v10, -15, v12
	s_clause 0x1
	global_load_b64 v[76:77], v10, s[8:9] scale_offset
	global_load_b64 v[78:79], v80, s[8:9] scale_offset
	s_wait_xcnt 0x1
	v_add_nc_u32_e32 v10, 10, v13
	s_wait_loadcnt 0x1c
	v_fmac_f64_e32 v[0:1], v[16:17], v[24:25]
	v_fmac_f64_e32 v[8:9], v[22:23], v[24:25]
	v_add_nc_u32_e32 v24, -1, v12
	global_load_b64 v[80:81], v10, s[10:11] scale_offset
	s_wait_xcnt 0x0
	v_dual_add_nc_u32 v10, -14, v12 :: v_dual_add_nc_u32 v25, 11, v13
	v_add_nc_u32_e32 v13, 12, v13
	global_load_b64 v[16:17], v10, s[8:9] scale_offset
	s_wait_xcnt 0x0
	v_add_nc_u32_e32 v10, -13, v12
	s_wait_loadcnt 0x1c
	v_fmac_f64_e32 v[0:1], v[18:19], v[26:27]
	global_load_b64 v[18:19], v24, s[8:9] scale_offset
	global_load_b64 v[22:23], v25, s[10:11] scale_offset
	v_fmac_f64_e32 v[8:9], v[20:21], v[26:27]
	s_clause 0x1
	global_load_b64 v[20:21], v12, s[8:9] scale_offset
	global_load_b64 v[24:25], v10, s[8:9] scale_offset
	;; [unrolled: 1-line block ×3, first 2 shown]
	s_wait_xcnt 0x2
	v_add_nc_u32_e32 v12, 0x1a0, v12
	s_wait_loadcnt 0x1e
	v_fmac_f64_e32 v[0:1], v[28:29], v[32:33]
	v_fmac_f64_e32 v[8:9], v[30:31], v[32:33]
	s_wait_loadcnt 0x1b
	s_delay_alu instid0(VALU_DEP_2) | instskip(NEXT) | instid1(VALU_DEP_2)
	v_fmac_f64_e32 v[0:1], v[34:35], v[38:39]
	v_fmac_f64_e32 v[8:9], v[36:37], v[38:39]
	s_wait_loadcnt 0x18
	s_delay_alu instid0(VALU_DEP_2) | instskip(NEXT) | instid1(VALU_DEP_2)
	;; [unrolled: 4-line block ×10, first 2 shown]
	v_fmac_f64_e32 v[0:1], v[24:25], v[26:27]
	v_fmac_f64_e32 v[8:9], v[20:21], v[26:27]
	s_and_not1_b32 exec_lo, exec_lo, s2
	s_cbranch_execnz .LBB133_15
; %bb.16:
	s_or_b32 exec_lo, exec_lo, s2
.LBB133_17:
	s_delay_alu instid0(SALU_CYCLE_1)
	s_or_b32 exec_lo, exec_lo, s3
.LBB133_18:
	v_mbcnt_lo_u32_b32 v14, -1, 0
	s_delay_alu instid0(VALU_DEP_1) | instskip(NEXT) | instid1(VALU_DEP_1)
	v_xor_b32_e32 v10, 8, v14
	v_cmp_gt_i32_e32 vcc_lo, 32, v10
	v_cndmask_b32_e32 v10, v14, v10, vcc_lo
	s_delay_alu instid0(VALU_DEP_1)
	v_lshlrev_b32_e32 v13, 2, v10
	ds_bpermute_b32 v10, v13, v0
	ds_bpermute_b32 v11, v13, v1
	s_wait_dscnt 0x0
	v_add_f64_e32 v[0:1], v[0:1], v[10:11]
	v_xor_b32_e32 v10, 4, v14
	s_delay_alu instid0(VALU_DEP_1)
	v_cmp_gt_i32_e32 vcc_lo, 32, v10
	v_cndmask_b32_e32 v10, v14, v10, vcc_lo
	ds_bpermute_b32 v12, v13, v8
	ds_bpermute_b32 v13, v13, v9
	s_wait_dscnt 0x0
	v_dual_add_f64 v[8:9], v[8:9], v[12:13] :: v_dual_lshlrev_b32 v13, 2, v10
	ds_bpermute_b32 v10, v13, v0
	ds_bpermute_b32 v11, v13, v1
	s_wait_dscnt 0x0
	v_add_f64_e32 v[0:1], v[0:1], v[10:11]
	v_xor_b32_e32 v10, 2, v14
	s_delay_alu instid0(VALU_DEP_1)
	v_cmp_gt_i32_e32 vcc_lo, 32, v10
	v_cndmask_b32_e32 v10, v14, v10, vcc_lo
	ds_bpermute_b32 v12, v13, v8
	ds_bpermute_b32 v13, v13, v9
	s_wait_dscnt 0x0
	v_dual_add_f64 v[8:9], v[8:9], v[12:13] :: v_dual_lshlrev_b32 v13, 2, v10
	ds_bpermute_b32 v10, v13, v0
	ds_bpermute_b32 v11, v13, v1
	s_wait_dscnt 0x0
	v_add_f64_e32 v[0:1], v[0:1], v[10:11]
	ds_bpermute_b32 v12, v13, v8
	ds_bpermute_b32 v13, v13, v9
	s_wait_dscnt 0x0
	v_dual_add_f64 v[10:11], v[8:9], v[12:13] :: v_dual_bitop2_b32 v8, 1, v14 bitop3:0x14
	s_delay_alu instid0(VALU_DEP_1) | instskip(SKIP_2) | instid1(VALU_DEP_2)
	v_cmp_gt_i32_e32 vcc_lo, 32, v8
	v_cndmask_b32_e32 v8, v14, v8, vcc_lo
	v_cmp_eq_u32_e32 vcc_lo, 15, v7
	v_lshlrev_b32_e32 v13, 2, v8
	ds_bpermute_b32 v8, v13, v0
	ds_bpermute_b32 v9, v13, v1
	;; [unrolled: 1-line block ×4, first 2 shown]
	s_and_b32 exec_lo, exec_lo, vcc_lo
	s_cbranch_execz .LBB133_23
; %bb.19:
	s_wait_dscnt 0x2
	v_add_f64_e32 v[8:9], v[0:1], v[8:9]
	s_wait_dscnt 0x0
	v_add_f64_e32 v[0:1], v[10:11], v[12:13]
	s_load_b64 s[0:1], s[0:1], 0x38
	s_mov_b32 s2, exec_lo
	v_cmpx_eq_f64_e32 0, v[4:5]
	s_xor_b32 s2, exec_lo, s2
	s_cbranch_execz .LBB133_21
; %bb.20:
	s_delay_alu instid0(VALU_DEP_3) | instskip(NEXT) | instid1(VALU_DEP_3)
	v_mul_f64_e32 v[8:9], v[2:3], v[8:9]
	v_dual_mul_f64 v[10:11], v[2:3], v[0:1] :: v_dual_lshlrev_b32 v0, 1, v6
                                        ; implicit-def: $vgpr6
                                        ; implicit-def: $vgpr2_vgpr3
                                        ; implicit-def: $vgpr4_vgpr5
	s_delay_alu instid0(VALU_DEP_1) | instskip(SKIP_1) | instid1(VALU_DEP_1)
	v_ashrrev_i32_e32 v1, 31, v0
	s_wait_kmcnt 0x0
	v_lshl_add_u64 v[0:1], v[0:1], 3, s[0:1]
	global_store_b128 v[0:1], v[8:11], off
                                        ; implicit-def: $vgpr8_vgpr9
                                        ; implicit-def: $vgpr0_vgpr1
.LBB133_21:
	s_wait_xcnt 0x0
	s_and_not1_saveexec_b32 s2, s2
	s_cbranch_execz .LBB133_23
; %bb.22:
	v_lshlrev_b32_e32 v6, 1, v6
	s_delay_alu instid0(VALU_DEP_1) | instskip(SKIP_1) | instid1(VALU_DEP_1)
	v_ashrrev_i32_e32 v7, 31, v6
	s_wait_kmcnt 0x0
	v_lshl_add_u64 v[14:15], v[6:7], 3, s[0:1]
	v_mul_f64_e32 v[6:7], v[2:3], v[8:9]
	v_mul_f64_e32 v[8:9], v[2:3], v[0:1]
	global_load_b128 v[10:13], v[14:15], off
	s_wait_loadcnt 0x0
	v_fmac_f64_e32 v[6:7], v[4:5], v[10:11]
	v_fmac_f64_e32 v[8:9], v[4:5], v[12:13]
	global_store_b128 v[14:15], v[6:9], off
.LBB133_23:
	s_sendmsg sendmsg(MSG_DEALLOC_VGPRS)
	s_endpgm
	.section	.rodata,"a",@progbits
	.p2align	6, 0x0
	.amdhsa_kernel _ZN9rocsparseL19gebsrmvn_2xn_kernelILj128ELj13ELj16EdEEvi20rocsparse_direction_NS_24const_host_device_scalarIT2_EEPKiS6_PKS3_S8_S4_PS3_21rocsparse_index_base_b
		.amdhsa_group_segment_fixed_size 0
		.amdhsa_private_segment_fixed_size 0
		.amdhsa_kernarg_size 72
		.amdhsa_user_sgpr_count 2
		.amdhsa_user_sgpr_dispatch_ptr 0
		.amdhsa_user_sgpr_queue_ptr 0
		.amdhsa_user_sgpr_kernarg_segment_ptr 1
		.amdhsa_user_sgpr_dispatch_id 0
		.amdhsa_user_sgpr_kernarg_preload_length 0
		.amdhsa_user_sgpr_kernarg_preload_offset 0
		.amdhsa_user_sgpr_private_segment_size 0
		.amdhsa_wavefront_size32 1
		.amdhsa_uses_dynamic_stack 0
		.amdhsa_enable_private_segment 0
		.amdhsa_system_sgpr_workgroup_id_x 1
		.amdhsa_system_sgpr_workgroup_id_y 0
		.amdhsa_system_sgpr_workgroup_id_z 0
		.amdhsa_system_sgpr_workgroup_info 0
		.amdhsa_system_vgpr_workitem_id 0
		.amdhsa_next_free_vgpr 86
		.amdhsa_next_free_sgpr 14
		.amdhsa_named_barrier_count 0
		.amdhsa_reserve_vcc 1
		.amdhsa_float_round_mode_32 0
		.amdhsa_float_round_mode_16_64 0
		.amdhsa_float_denorm_mode_32 3
		.amdhsa_float_denorm_mode_16_64 3
		.amdhsa_fp16_overflow 0
		.amdhsa_memory_ordered 1
		.amdhsa_forward_progress 1
		.amdhsa_inst_pref_size 22
		.amdhsa_round_robin_scheduling 0
		.amdhsa_exception_fp_ieee_invalid_op 0
		.amdhsa_exception_fp_denorm_src 0
		.amdhsa_exception_fp_ieee_div_zero 0
		.amdhsa_exception_fp_ieee_overflow 0
		.amdhsa_exception_fp_ieee_underflow 0
		.amdhsa_exception_fp_ieee_inexact 0
		.amdhsa_exception_int_div_zero 0
	.end_amdhsa_kernel
	.section	.text._ZN9rocsparseL19gebsrmvn_2xn_kernelILj128ELj13ELj16EdEEvi20rocsparse_direction_NS_24const_host_device_scalarIT2_EEPKiS6_PKS3_S8_S4_PS3_21rocsparse_index_base_b,"axG",@progbits,_ZN9rocsparseL19gebsrmvn_2xn_kernelILj128ELj13ELj16EdEEvi20rocsparse_direction_NS_24const_host_device_scalarIT2_EEPKiS6_PKS3_S8_S4_PS3_21rocsparse_index_base_b,comdat
.Lfunc_end133:
	.size	_ZN9rocsparseL19gebsrmvn_2xn_kernelILj128ELj13ELj16EdEEvi20rocsparse_direction_NS_24const_host_device_scalarIT2_EEPKiS6_PKS3_S8_S4_PS3_21rocsparse_index_base_b, .Lfunc_end133-_ZN9rocsparseL19gebsrmvn_2xn_kernelILj128ELj13ELj16EdEEvi20rocsparse_direction_NS_24const_host_device_scalarIT2_EEPKiS6_PKS3_S8_S4_PS3_21rocsparse_index_base_b
                                        ; -- End function
	.set _ZN9rocsparseL19gebsrmvn_2xn_kernelILj128ELj13ELj16EdEEvi20rocsparse_direction_NS_24const_host_device_scalarIT2_EEPKiS6_PKS3_S8_S4_PS3_21rocsparse_index_base_b.num_vgpr, 86
	.set _ZN9rocsparseL19gebsrmvn_2xn_kernelILj128ELj13ELj16EdEEvi20rocsparse_direction_NS_24const_host_device_scalarIT2_EEPKiS6_PKS3_S8_S4_PS3_21rocsparse_index_base_b.num_agpr, 0
	.set _ZN9rocsparseL19gebsrmvn_2xn_kernelILj128ELj13ELj16EdEEvi20rocsparse_direction_NS_24const_host_device_scalarIT2_EEPKiS6_PKS3_S8_S4_PS3_21rocsparse_index_base_b.numbered_sgpr, 14
	.set _ZN9rocsparseL19gebsrmvn_2xn_kernelILj128ELj13ELj16EdEEvi20rocsparse_direction_NS_24const_host_device_scalarIT2_EEPKiS6_PKS3_S8_S4_PS3_21rocsparse_index_base_b.num_named_barrier, 0
	.set _ZN9rocsparseL19gebsrmvn_2xn_kernelILj128ELj13ELj16EdEEvi20rocsparse_direction_NS_24const_host_device_scalarIT2_EEPKiS6_PKS3_S8_S4_PS3_21rocsparse_index_base_b.private_seg_size, 0
	.set _ZN9rocsparseL19gebsrmvn_2xn_kernelILj128ELj13ELj16EdEEvi20rocsparse_direction_NS_24const_host_device_scalarIT2_EEPKiS6_PKS3_S8_S4_PS3_21rocsparse_index_base_b.uses_vcc, 1
	.set _ZN9rocsparseL19gebsrmvn_2xn_kernelILj128ELj13ELj16EdEEvi20rocsparse_direction_NS_24const_host_device_scalarIT2_EEPKiS6_PKS3_S8_S4_PS3_21rocsparse_index_base_b.uses_flat_scratch, 0
	.set _ZN9rocsparseL19gebsrmvn_2xn_kernelILj128ELj13ELj16EdEEvi20rocsparse_direction_NS_24const_host_device_scalarIT2_EEPKiS6_PKS3_S8_S4_PS3_21rocsparse_index_base_b.has_dyn_sized_stack, 0
	.set _ZN9rocsparseL19gebsrmvn_2xn_kernelILj128ELj13ELj16EdEEvi20rocsparse_direction_NS_24const_host_device_scalarIT2_EEPKiS6_PKS3_S8_S4_PS3_21rocsparse_index_base_b.has_recursion, 0
	.set _ZN9rocsparseL19gebsrmvn_2xn_kernelILj128ELj13ELj16EdEEvi20rocsparse_direction_NS_24const_host_device_scalarIT2_EEPKiS6_PKS3_S8_S4_PS3_21rocsparse_index_base_b.has_indirect_call, 0
	.section	.AMDGPU.csdata,"",@progbits
; Kernel info:
; codeLenInByte = 2732
; TotalNumSgprs: 16
; NumVgprs: 86
; ScratchSize: 0
; MemoryBound: 0
; FloatMode: 240
; IeeeMode: 1
; LDSByteSize: 0 bytes/workgroup (compile time only)
; SGPRBlocks: 0
; VGPRBlocks: 5
; NumSGPRsForWavesPerEU: 16
; NumVGPRsForWavesPerEU: 86
; NamedBarCnt: 0
; Occupancy: 10
; WaveLimiterHint : 1
; COMPUTE_PGM_RSRC2:SCRATCH_EN: 0
; COMPUTE_PGM_RSRC2:USER_SGPR: 2
; COMPUTE_PGM_RSRC2:TRAP_HANDLER: 0
; COMPUTE_PGM_RSRC2:TGID_X_EN: 1
; COMPUTE_PGM_RSRC2:TGID_Y_EN: 0
; COMPUTE_PGM_RSRC2:TGID_Z_EN: 0
; COMPUTE_PGM_RSRC2:TIDIG_COMP_CNT: 0
	.section	.text._ZN9rocsparseL19gebsrmvn_2xn_kernelILj128ELj13ELj32EdEEvi20rocsparse_direction_NS_24const_host_device_scalarIT2_EEPKiS6_PKS3_S8_S4_PS3_21rocsparse_index_base_b,"axG",@progbits,_ZN9rocsparseL19gebsrmvn_2xn_kernelILj128ELj13ELj32EdEEvi20rocsparse_direction_NS_24const_host_device_scalarIT2_EEPKiS6_PKS3_S8_S4_PS3_21rocsparse_index_base_b,comdat
	.globl	_ZN9rocsparseL19gebsrmvn_2xn_kernelILj128ELj13ELj32EdEEvi20rocsparse_direction_NS_24const_host_device_scalarIT2_EEPKiS6_PKS3_S8_S4_PS3_21rocsparse_index_base_b ; -- Begin function _ZN9rocsparseL19gebsrmvn_2xn_kernelILj128ELj13ELj32EdEEvi20rocsparse_direction_NS_24const_host_device_scalarIT2_EEPKiS6_PKS3_S8_S4_PS3_21rocsparse_index_base_b
	.p2align	8
	.type	_ZN9rocsparseL19gebsrmvn_2xn_kernelILj128ELj13ELj32EdEEvi20rocsparse_direction_NS_24const_host_device_scalarIT2_EEPKiS6_PKS3_S8_S4_PS3_21rocsparse_index_base_b,@function
_ZN9rocsparseL19gebsrmvn_2xn_kernelILj128ELj13ELj32EdEEvi20rocsparse_direction_NS_24const_host_device_scalarIT2_EEPKiS6_PKS3_S8_S4_PS3_21rocsparse_index_base_b: ; @_ZN9rocsparseL19gebsrmvn_2xn_kernelILj128ELj13ELj32EdEEvi20rocsparse_direction_NS_24const_host_device_scalarIT2_EEPKiS6_PKS3_S8_S4_PS3_21rocsparse_index_base_b
; %bb.0:
	s_clause 0x2
	s_load_b64 s[12:13], s[0:1], 0x40
	s_load_b64 s[4:5], s[0:1], 0x8
	;; [unrolled: 1-line block ×3, first 2 shown]
	s_wait_kmcnt 0x0
	s_bitcmp1_b32 s13, 0
	v_mov_b64_e32 v[2:3], s[4:5]
	s_cselect_b32 s6, -1, 0
	s_delay_alu instid0(SALU_CYCLE_1)
	s_and_b32 vcc_lo, exec_lo, s6
	s_xor_b32 s6, s6, -1
	s_cbranch_vccnz .LBB134_2
; %bb.1:
	v_mov_b32_e32 v1, 0
	flat_load_b64 v[2:3], v1, s[4:5]
.LBB134_2:
	v_mov_b64_e32 v[4:5], s[2:3]
	s_and_not1_b32 vcc_lo, exec_lo, s6
	s_cbranch_vccnz .LBB134_4
; %bb.3:
	s_wait_xcnt 0x0
	v_mov_b32_e32 v1, 0
	flat_load_b64 v[4:5], v1, s[2:3]
.LBB134_4:
	s_wait_loadcnt_dscnt 0x0
	v_cmp_neq_f64_e32 vcc_lo, 0, v[2:3]
	s_delay_alu instid0(VALU_DEP_2) | instskip(SKIP_1) | instid1(SALU_CYCLE_1)
	v_cmp_neq_f64_e64 s2, 1.0, v[4:5]
	s_or_b32 s2, vcc_lo, s2
	s_and_saveexec_b32 s3, s2
	s_cbranch_execz .LBB134_23
; %bb.5:
	s_load_b64 s[2:3], s[0:1], 0x0
	s_bfe_u32 s4, ttmp6, 0x4000c
	s_and_b32 s5, ttmp6, 15
	s_add_co_i32 s4, s4, 1
	s_getreg_b32 s6, hwreg(HW_REG_IB_STS2, 6, 4)
	s_mul_i32 s4, ttmp9, s4
	v_lshrrev_b32_e32 v1, 5, v0
	s_add_co_i32 s5, s5, s4
	s_cmp_eq_u32 s6, 0
	s_cselect_b32 s4, ttmp9, s5
	s_delay_alu instid0(VALU_DEP_1) | instid1(SALU_CYCLE_1)
	v_lshl_or_b32 v6, s4, 2, v1
	s_wait_kmcnt 0x0
	s_delay_alu instid0(VALU_DEP_1)
	v_cmp_gt_i32_e32 vcc_lo, s2, v6
	s_and_b32 exec_lo, exec_lo, vcc_lo
	s_cbranch_execz .LBB134_23
; %bb.6:
	s_load_b256 s[4:11], s[0:1], 0x10
	v_ashrrev_i32_e32 v7, 31, v6
	s_cmp_lg_u32 s3, 0
	s_wait_kmcnt 0x0
	s_delay_alu instid0(VALU_DEP_1)
	v_lshl_add_u64 v[8:9], v[6:7], 2, s[4:5]
	v_and_b32_e32 v7, 31, v0
	global_load_b64 v[8:9], v[8:9], off
	s_wait_loadcnt 0x0
	v_subrev_nc_u32_e32 v0, s12, v8
	v_subrev_nc_u32_e32 v14, s12, v9
	s_delay_alu instid0(VALU_DEP_2) | instskip(NEXT) | instid1(VALU_DEP_1)
	v_add_nc_u32_e32 v15, v0, v7
	v_cmp_lt_i32_e64 s2, v15, v14
	s_cbranch_scc0 .LBB134_12
; %bb.7:
	v_mov_b64_e32 v[0:1], 0
	v_mov_b64_e32 v[8:9], 0
	s_and_saveexec_b32 s3, s2
	s_cbranch_execz .LBB134_11
; %bb.8:
	v_mad_u32 v10, v15, 26, 24
	v_mov_b64_e32 v[0:1], 0
	v_mov_b64_e32 v[8:9], 0
	v_dual_mov_b32 v13, 0 :: v_dual_mov_b32 v16, v15
	s_mov_b32 s4, 0
.LBB134_9:                              ; =>This Inner Loop Header: Depth=1
	global_load_b32 v11, v16, s[6:7] scale_offset
	v_subrev_nc_u32_e32 v12, 24, v10
	s_wait_xcnt 0x0
	v_add_nc_u32_e32 v16, 32, v16
	s_delay_alu instid0(VALU_DEP_2) | instskip(SKIP_1) | instid1(VALU_DEP_3)
	v_lshl_add_u64 v[22:23], v[12:13], 3, s[8:9]
	v_subrev_nc_u32_e32 v12, 22, v10
	v_cmp_ge_i32_e32 vcc_lo, v16, v14
	s_delay_alu instid0(VALU_DEP_2) | instskip(SKIP_2) | instid1(VALU_DEP_1)
	v_lshl_add_u64 v[26:27], v[12:13], 3, s[8:9]
	v_subrev_nc_u32_e32 v12, 20, v10
	s_or_b32 s4, vcc_lo, s4
	v_lshl_add_u64 v[30:31], v[12:13], 3, s[8:9]
	v_subrev_nc_u32_e32 v12, 18, v10
	s_delay_alu instid0(VALU_DEP_1) | instskip(SKIP_1) | instid1(VALU_DEP_1)
	v_lshl_add_u64 v[34:35], v[12:13], 3, s[8:9]
	v_add_nc_u32_e32 v12, -16, v10
	v_lshl_add_u64 v[38:39], v[12:13], 3, s[8:9]
	v_add_nc_u32_e32 v12, -14, v10
	s_delay_alu instid0(VALU_DEP_1) | instskip(SKIP_1) | instid1(VALU_DEP_1)
	v_lshl_add_u64 v[42:43], v[12:13], 3, s[8:9]
	v_add_nc_u32_e32 v12, -12, v10
	v_lshl_add_u64 v[46:47], v[12:13], 3, s[8:9]
	v_add_nc_u32_e32 v12, -10, v10
	;; [unrolled: 5-line block ×4, first 2 shown]
	s_wait_loadcnt 0x0
	v_subrev_nc_u32_e32 v11, s12, v11
	s_delay_alu instid0(VALU_DEP_1)
	v_mul_lo_u32 v17, v11, 13
	global_load_b128 v[18:21], v[22:23], off
	global_load_b64 v[62:63], v17, s[10:11] scale_offset
	v_add_nc_u32_e32 v11, 1, v17
	global_load_b128 v[22:25], v[26:27], off
	global_load_b64 v[64:65], v11, s[10:11] scale_offset
	s_wait_xcnt 0x0
	v_add_nc_u32_e32 v11, 2, v17
	global_load_b128 v[26:29], v[30:31], off
	global_load_b64 v[66:67], v11, s[10:11] scale_offset
	s_wait_xcnt 0x0
	;; [unrolled: 4-line block ×10, first 2 shown]
	v_add_nc_u32_e32 v11, 11, v17
	s_wait_loadcnt 0x14
	v_fmac_f64_e32 v[0:1], v[18:19], v[62:63]
	v_fmac_f64_e32 v[8:9], v[20:21], v[62:63]
	v_lshl_add_u64 v[62:63], v[12:13], 3, s[8:9]
	global_load_b128 v[18:21], v[62:63], off
	global_load_b64 v[82:83], v11, s[10:11] scale_offset
	s_wait_xcnt 0x0
	v_mov_b32_e32 v11, v13
	s_delay_alu instid0(VALU_DEP_1)
	v_lshl_add_u64 v[62:63], v[10:11], 3, s[8:9]
	v_add_nc_u32_e32 v11, 12, v17
	v_add_nc_u32_e32 v10, 0x340, v10
	s_wait_loadcnt 0x14
	v_fmac_f64_e32 v[0:1], v[22:23], v[64:65]
	v_fmac_f64_e32 v[8:9], v[24:25], v[64:65]
	global_load_b128 v[22:25], v[62:63], off
	global_load_b64 v[64:65], v11, s[10:11] scale_offset
	s_wait_loadcnt 0x14
	v_fmac_f64_e32 v[0:1], v[26:27], v[66:67]
	v_fmac_f64_e32 v[8:9], v[28:29], v[66:67]
	s_wait_loadcnt 0x12
	s_delay_alu instid0(VALU_DEP_2) | instskip(NEXT) | instid1(VALU_DEP_2)
	v_fmac_f64_e32 v[0:1], v[30:31], v[68:69]
	v_fmac_f64_e32 v[8:9], v[32:33], v[68:69]
	s_wait_loadcnt 0x10
	s_delay_alu instid0(VALU_DEP_2) | instskip(NEXT) | instid1(VALU_DEP_2)
	;; [unrolled: 4-line block ×10, first 2 shown]
	v_fmac_f64_e32 v[0:1], v[22:23], v[64:65]
	v_fmac_f64_e32 v[8:9], v[24:25], v[64:65]
	s_and_not1_b32 exec_lo, exec_lo, s4
	s_cbranch_execnz .LBB134_9
; %bb.10:
	s_or_b32 exec_lo, exec_lo, s4
.LBB134_11:
	s_delay_alu instid0(SALU_CYCLE_1)
	s_or_b32 exec_lo, exec_lo, s3
	s_cbranch_execz .LBB134_13
	s_branch .LBB134_18
.LBB134_12:
                                        ; implicit-def: $vgpr0_vgpr1
                                        ; implicit-def: $vgpr8_vgpr9
.LBB134_13:
	v_mov_b64_e32 v[0:1], 0
	v_mov_b64_e32 v[8:9], 0
	s_and_saveexec_b32 s3, s2
	s_cbranch_execz .LBB134_17
; %bb.14:
	v_mad_u32 v12, v15, 26, 25
	v_mov_b64_e32 v[0:1], 0
	v_mov_b64_e32 v[8:9], 0
	v_mov_b32_e32 v11, 0
	s_mov_b32 s2, 0
.LBB134_15:                             ; =>This Inner Loop Header: Depth=1
	global_load_b32 v13, v15, s[6:7] scale_offset
	v_subrev_nc_u32_e32 v10, 25, v12
	s_wait_xcnt 0x0
	v_dual_add_nc_u32 v26, -12, v12 :: v_dual_add_nc_u32 v15, 32, v15
	v_dual_add_nc_u32 v34, -10, v12 :: v_dual_add_nc_u32 v40, -9, v12
	s_delay_alu instid0(VALU_DEP_3)
	v_lshl_add_u64 v[20:21], v[10:11], 3, s[8:9]
	v_dual_add_nc_u32 v10, -11, v12 :: v_dual_add_nc_u32 v46, -8, v12
	v_dual_add_nc_u32 v52, -7, v12 :: v_dual_add_nc_u32 v58, -6, v12
	;; [unrolled: 1-line block ×3, first 2 shown]
	v_cmp_ge_i32_e32 vcc_lo, v15, v14
	v_add_nc_u32_e32 v80, -2, v12
	s_or_b32 s2, vcc_lo, s2
	s_wait_loadcnt 0x0
	v_subrev_nc_u32_e32 v13, s12, v13
	s_delay_alu instid0(VALU_DEP_1)
	v_mul_lo_u32 v13, v13, 13
	s_clause 0x1
	global_load_b128 v[16:19], v[20:21], off
	global_load_b64 v[22:23], v26, s[8:9] scale_offset
	global_load_b64 v[24:25], v13, s[10:11] scale_offset
	v_dual_add_nc_u32 v76, -3, v12 :: v_dual_add_nc_u32 v77, 9, v13
	v_add_nc_u32_e32 v28, 1, v13
	global_load_b64 v[20:21], v10, s[8:9] scale_offset
	global_load_b64 v[26:27], v28, s[10:11] scale_offset
	s_wait_xcnt 0x1
	v_subrev_nc_u32_e32 v10, 23, v12
	v_add_nc_u32_e32 v35, 2, v13
	s_clause 0x1
	global_load_b64 v[28:29], v10, s[8:9] scale_offset
	global_load_b64 v[30:31], v34, s[8:9] scale_offset
	global_load_b64 v[32:33], v35, s[10:11] scale_offset
	s_wait_xcnt 0x2
	v_subrev_nc_u32_e32 v10, 22, v12
	v_add_nc_u32_e32 v41, 3, v13
	s_clause 0x1
	global_load_b64 v[34:35], v10, s[8:9] scale_offset
	;; [unrolled: 7-line block ×7, first 2 shown]
	global_load_b64 v[66:67], v70, s[8:9] scale_offset
	global_load_b64 v[68:69], v71, s[10:11] scale_offset
	s_wait_xcnt 0x2
	v_add_nc_u32_e32 v10, -16, v12
	s_clause 0x1
	global_load_b64 v[70:71], v10, s[8:9] scale_offset
	global_load_b64 v[72:73], v76, s[8:9] scale_offset
	;; [unrolled: 1-line block ×3, first 2 shown]
	s_wait_xcnt 0x2
	v_add_nc_u32_e32 v10, -15, v12
	s_clause 0x1
	global_load_b64 v[76:77], v10, s[8:9] scale_offset
	global_load_b64 v[78:79], v80, s[8:9] scale_offset
	s_wait_xcnt 0x1
	v_add_nc_u32_e32 v10, 10, v13
	s_wait_loadcnt 0x1c
	v_fmac_f64_e32 v[0:1], v[16:17], v[24:25]
	v_fmac_f64_e32 v[8:9], v[22:23], v[24:25]
	v_add_nc_u32_e32 v24, -1, v12
	global_load_b64 v[80:81], v10, s[10:11] scale_offset
	s_wait_xcnt 0x0
	v_dual_add_nc_u32 v10, -14, v12 :: v_dual_add_nc_u32 v25, 11, v13
	v_add_nc_u32_e32 v13, 12, v13
	global_load_b64 v[16:17], v10, s[8:9] scale_offset
	s_wait_xcnt 0x0
	v_add_nc_u32_e32 v10, -13, v12
	s_wait_loadcnt 0x1c
	v_fmac_f64_e32 v[0:1], v[18:19], v[26:27]
	global_load_b64 v[18:19], v24, s[8:9] scale_offset
	global_load_b64 v[22:23], v25, s[10:11] scale_offset
	v_fmac_f64_e32 v[8:9], v[20:21], v[26:27]
	s_clause 0x1
	global_load_b64 v[20:21], v12, s[8:9] scale_offset
	global_load_b64 v[24:25], v10, s[8:9] scale_offset
	;; [unrolled: 1-line block ×3, first 2 shown]
	s_wait_xcnt 0x2
	v_add_nc_u32_e32 v12, 0x340, v12
	s_wait_loadcnt 0x1e
	v_fmac_f64_e32 v[0:1], v[28:29], v[32:33]
	v_fmac_f64_e32 v[8:9], v[30:31], v[32:33]
	s_wait_loadcnt 0x1b
	s_delay_alu instid0(VALU_DEP_2) | instskip(NEXT) | instid1(VALU_DEP_2)
	v_fmac_f64_e32 v[0:1], v[34:35], v[38:39]
	v_fmac_f64_e32 v[8:9], v[36:37], v[38:39]
	s_wait_loadcnt 0x18
	s_delay_alu instid0(VALU_DEP_2) | instskip(NEXT) | instid1(VALU_DEP_2)
	;; [unrolled: 4-line block ×10, first 2 shown]
	v_fmac_f64_e32 v[0:1], v[24:25], v[26:27]
	v_fmac_f64_e32 v[8:9], v[20:21], v[26:27]
	s_and_not1_b32 exec_lo, exec_lo, s2
	s_cbranch_execnz .LBB134_15
; %bb.16:
	s_or_b32 exec_lo, exec_lo, s2
.LBB134_17:
	s_delay_alu instid0(SALU_CYCLE_1)
	s_or_b32 exec_lo, exec_lo, s3
.LBB134_18:
	v_mbcnt_lo_u32_b32 v14, -1, 0
	s_delay_alu instid0(VALU_DEP_1) | instskip(NEXT) | instid1(VALU_DEP_1)
	v_xor_b32_e32 v10, 16, v14
	v_cmp_gt_i32_e32 vcc_lo, 32, v10
	v_cndmask_b32_e32 v10, v14, v10, vcc_lo
	s_delay_alu instid0(VALU_DEP_1)
	v_lshlrev_b32_e32 v13, 2, v10
	ds_bpermute_b32 v10, v13, v0
	ds_bpermute_b32 v11, v13, v1
	s_wait_dscnt 0x0
	v_add_f64_e32 v[0:1], v[0:1], v[10:11]
	v_xor_b32_e32 v10, 8, v14
	s_delay_alu instid0(VALU_DEP_1)
	v_cmp_gt_i32_e32 vcc_lo, 32, v10
	v_cndmask_b32_e32 v10, v14, v10, vcc_lo
	ds_bpermute_b32 v12, v13, v8
	ds_bpermute_b32 v13, v13, v9
	s_wait_dscnt 0x0
	v_dual_add_f64 v[8:9], v[8:9], v[12:13] :: v_dual_lshlrev_b32 v13, 2, v10
	ds_bpermute_b32 v10, v13, v0
	ds_bpermute_b32 v11, v13, v1
	s_wait_dscnt 0x0
	v_add_f64_e32 v[0:1], v[0:1], v[10:11]
	v_xor_b32_e32 v10, 4, v14
	s_delay_alu instid0(VALU_DEP_1)
	v_cmp_gt_i32_e32 vcc_lo, 32, v10
	v_cndmask_b32_e32 v10, v14, v10, vcc_lo
	ds_bpermute_b32 v12, v13, v8
	ds_bpermute_b32 v13, v13, v9
	s_wait_dscnt 0x0
	v_dual_add_f64 v[8:9], v[8:9], v[12:13] :: v_dual_lshlrev_b32 v13, 2, v10
	;; [unrolled: 12-line block ×3, first 2 shown]
	ds_bpermute_b32 v10, v13, v0
	ds_bpermute_b32 v11, v13, v1
	s_wait_dscnt 0x0
	v_add_f64_e32 v[0:1], v[0:1], v[10:11]
	ds_bpermute_b32 v12, v13, v8
	ds_bpermute_b32 v13, v13, v9
	s_wait_dscnt 0x0
	v_dual_add_f64 v[10:11], v[8:9], v[12:13] :: v_dual_bitop2_b32 v8, 1, v14 bitop3:0x14
	s_delay_alu instid0(VALU_DEP_1) | instskip(SKIP_2) | instid1(VALU_DEP_2)
	v_cmp_gt_i32_e32 vcc_lo, 32, v8
	v_cndmask_b32_e32 v8, v14, v8, vcc_lo
	v_cmp_eq_u32_e32 vcc_lo, 31, v7
	v_lshlrev_b32_e32 v13, 2, v8
	ds_bpermute_b32 v8, v13, v0
	ds_bpermute_b32 v9, v13, v1
	;; [unrolled: 1-line block ×4, first 2 shown]
	s_and_b32 exec_lo, exec_lo, vcc_lo
	s_cbranch_execz .LBB134_23
; %bb.19:
	s_wait_dscnt 0x2
	v_add_f64_e32 v[8:9], v[0:1], v[8:9]
	s_wait_dscnt 0x0
	v_add_f64_e32 v[0:1], v[10:11], v[12:13]
	s_load_b64 s[0:1], s[0:1], 0x38
	s_mov_b32 s2, exec_lo
	v_cmpx_eq_f64_e32 0, v[4:5]
	s_xor_b32 s2, exec_lo, s2
	s_cbranch_execz .LBB134_21
; %bb.20:
	s_delay_alu instid0(VALU_DEP_3) | instskip(NEXT) | instid1(VALU_DEP_3)
	v_mul_f64_e32 v[8:9], v[2:3], v[8:9]
	v_dual_mul_f64 v[10:11], v[2:3], v[0:1] :: v_dual_lshlrev_b32 v0, 1, v6
                                        ; implicit-def: $vgpr6
                                        ; implicit-def: $vgpr2_vgpr3
                                        ; implicit-def: $vgpr4_vgpr5
	s_delay_alu instid0(VALU_DEP_1) | instskip(SKIP_1) | instid1(VALU_DEP_1)
	v_ashrrev_i32_e32 v1, 31, v0
	s_wait_kmcnt 0x0
	v_lshl_add_u64 v[0:1], v[0:1], 3, s[0:1]
	global_store_b128 v[0:1], v[8:11], off
                                        ; implicit-def: $vgpr8_vgpr9
                                        ; implicit-def: $vgpr0_vgpr1
.LBB134_21:
	s_wait_xcnt 0x0
	s_and_not1_saveexec_b32 s2, s2
	s_cbranch_execz .LBB134_23
; %bb.22:
	v_lshlrev_b32_e32 v6, 1, v6
	s_delay_alu instid0(VALU_DEP_1) | instskip(SKIP_1) | instid1(VALU_DEP_1)
	v_ashrrev_i32_e32 v7, 31, v6
	s_wait_kmcnt 0x0
	v_lshl_add_u64 v[14:15], v[6:7], 3, s[0:1]
	v_mul_f64_e32 v[6:7], v[2:3], v[8:9]
	v_mul_f64_e32 v[8:9], v[2:3], v[0:1]
	global_load_b128 v[10:13], v[14:15], off
	s_wait_loadcnt 0x0
	v_fmac_f64_e32 v[6:7], v[4:5], v[10:11]
	v_fmac_f64_e32 v[8:9], v[4:5], v[12:13]
	global_store_b128 v[14:15], v[6:9], off
.LBB134_23:
	s_sendmsg sendmsg(MSG_DEALLOC_VGPRS)
	s_endpgm
	.section	.rodata,"a",@progbits
	.p2align	6, 0x0
	.amdhsa_kernel _ZN9rocsparseL19gebsrmvn_2xn_kernelILj128ELj13ELj32EdEEvi20rocsparse_direction_NS_24const_host_device_scalarIT2_EEPKiS6_PKS3_S8_S4_PS3_21rocsparse_index_base_b
		.amdhsa_group_segment_fixed_size 0
		.amdhsa_private_segment_fixed_size 0
		.amdhsa_kernarg_size 72
		.amdhsa_user_sgpr_count 2
		.amdhsa_user_sgpr_dispatch_ptr 0
		.amdhsa_user_sgpr_queue_ptr 0
		.amdhsa_user_sgpr_kernarg_segment_ptr 1
		.amdhsa_user_sgpr_dispatch_id 0
		.amdhsa_user_sgpr_kernarg_preload_length 0
		.amdhsa_user_sgpr_kernarg_preload_offset 0
		.amdhsa_user_sgpr_private_segment_size 0
		.amdhsa_wavefront_size32 1
		.amdhsa_uses_dynamic_stack 0
		.amdhsa_enable_private_segment 0
		.amdhsa_system_sgpr_workgroup_id_x 1
		.amdhsa_system_sgpr_workgroup_id_y 0
		.amdhsa_system_sgpr_workgroup_id_z 0
		.amdhsa_system_sgpr_workgroup_info 0
		.amdhsa_system_vgpr_workitem_id 0
		.amdhsa_next_free_vgpr 86
		.amdhsa_next_free_sgpr 14
		.amdhsa_named_barrier_count 0
		.amdhsa_reserve_vcc 1
		.amdhsa_float_round_mode_32 0
		.amdhsa_float_round_mode_16_64 0
		.amdhsa_float_denorm_mode_32 3
		.amdhsa_float_denorm_mode_16_64 3
		.amdhsa_fp16_overflow 0
		.amdhsa_memory_ordered 1
		.amdhsa_forward_progress 1
		.amdhsa_inst_pref_size 22
		.amdhsa_round_robin_scheduling 0
		.amdhsa_exception_fp_ieee_invalid_op 0
		.amdhsa_exception_fp_denorm_src 0
		.amdhsa_exception_fp_ieee_div_zero 0
		.amdhsa_exception_fp_ieee_overflow 0
		.amdhsa_exception_fp_ieee_underflow 0
		.amdhsa_exception_fp_ieee_inexact 0
		.amdhsa_exception_int_div_zero 0
	.end_amdhsa_kernel
	.section	.text._ZN9rocsparseL19gebsrmvn_2xn_kernelILj128ELj13ELj32EdEEvi20rocsparse_direction_NS_24const_host_device_scalarIT2_EEPKiS6_PKS3_S8_S4_PS3_21rocsparse_index_base_b,"axG",@progbits,_ZN9rocsparseL19gebsrmvn_2xn_kernelILj128ELj13ELj32EdEEvi20rocsparse_direction_NS_24const_host_device_scalarIT2_EEPKiS6_PKS3_S8_S4_PS3_21rocsparse_index_base_b,comdat
.Lfunc_end134:
	.size	_ZN9rocsparseL19gebsrmvn_2xn_kernelILj128ELj13ELj32EdEEvi20rocsparse_direction_NS_24const_host_device_scalarIT2_EEPKiS6_PKS3_S8_S4_PS3_21rocsparse_index_base_b, .Lfunc_end134-_ZN9rocsparseL19gebsrmvn_2xn_kernelILj128ELj13ELj32EdEEvi20rocsparse_direction_NS_24const_host_device_scalarIT2_EEPKiS6_PKS3_S8_S4_PS3_21rocsparse_index_base_b
                                        ; -- End function
	.set _ZN9rocsparseL19gebsrmvn_2xn_kernelILj128ELj13ELj32EdEEvi20rocsparse_direction_NS_24const_host_device_scalarIT2_EEPKiS6_PKS3_S8_S4_PS3_21rocsparse_index_base_b.num_vgpr, 86
	.set _ZN9rocsparseL19gebsrmvn_2xn_kernelILj128ELj13ELj32EdEEvi20rocsparse_direction_NS_24const_host_device_scalarIT2_EEPKiS6_PKS3_S8_S4_PS3_21rocsparse_index_base_b.num_agpr, 0
	.set _ZN9rocsparseL19gebsrmvn_2xn_kernelILj128ELj13ELj32EdEEvi20rocsparse_direction_NS_24const_host_device_scalarIT2_EEPKiS6_PKS3_S8_S4_PS3_21rocsparse_index_base_b.numbered_sgpr, 14
	.set _ZN9rocsparseL19gebsrmvn_2xn_kernelILj128ELj13ELj32EdEEvi20rocsparse_direction_NS_24const_host_device_scalarIT2_EEPKiS6_PKS3_S8_S4_PS3_21rocsparse_index_base_b.num_named_barrier, 0
	.set _ZN9rocsparseL19gebsrmvn_2xn_kernelILj128ELj13ELj32EdEEvi20rocsparse_direction_NS_24const_host_device_scalarIT2_EEPKiS6_PKS3_S8_S4_PS3_21rocsparse_index_base_b.private_seg_size, 0
	.set _ZN9rocsparseL19gebsrmvn_2xn_kernelILj128ELj13ELj32EdEEvi20rocsparse_direction_NS_24const_host_device_scalarIT2_EEPKiS6_PKS3_S8_S4_PS3_21rocsparse_index_base_b.uses_vcc, 1
	.set _ZN9rocsparseL19gebsrmvn_2xn_kernelILj128ELj13ELj32EdEEvi20rocsparse_direction_NS_24const_host_device_scalarIT2_EEPKiS6_PKS3_S8_S4_PS3_21rocsparse_index_base_b.uses_flat_scratch, 0
	.set _ZN9rocsparseL19gebsrmvn_2xn_kernelILj128ELj13ELj32EdEEvi20rocsparse_direction_NS_24const_host_device_scalarIT2_EEPKiS6_PKS3_S8_S4_PS3_21rocsparse_index_base_b.has_dyn_sized_stack, 0
	.set _ZN9rocsparseL19gebsrmvn_2xn_kernelILj128ELj13ELj32EdEEvi20rocsparse_direction_NS_24const_host_device_scalarIT2_EEPKiS6_PKS3_S8_S4_PS3_21rocsparse_index_base_b.has_recursion, 0
	.set _ZN9rocsparseL19gebsrmvn_2xn_kernelILj128ELj13ELj32EdEEvi20rocsparse_direction_NS_24const_host_device_scalarIT2_EEPKiS6_PKS3_S8_S4_PS3_21rocsparse_index_base_b.has_indirect_call, 0
	.section	.AMDGPU.csdata,"",@progbits
; Kernel info:
; codeLenInByte = 2804
; TotalNumSgprs: 16
; NumVgprs: 86
; ScratchSize: 0
; MemoryBound: 0
; FloatMode: 240
; IeeeMode: 1
; LDSByteSize: 0 bytes/workgroup (compile time only)
; SGPRBlocks: 0
; VGPRBlocks: 5
; NumSGPRsForWavesPerEU: 16
; NumVGPRsForWavesPerEU: 86
; NamedBarCnt: 0
; Occupancy: 10
; WaveLimiterHint : 1
; COMPUTE_PGM_RSRC2:SCRATCH_EN: 0
; COMPUTE_PGM_RSRC2:USER_SGPR: 2
; COMPUTE_PGM_RSRC2:TRAP_HANDLER: 0
; COMPUTE_PGM_RSRC2:TGID_X_EN: 1
; COMPUTE_PGM_RSRC2:TGID_Y_EN: 0
; COMPUTE_PGM_RSRC2:TGID_Z_EN: 0
; COMPUTE_PGM_RSRC2:TIDIG_COMP_CNT: 0
	.section	.text._ZN9rocsparseL19gebsrmvn_2xn_kernelILj128ELj13ELj64EdEEvi20rocsparse_direction_NS_24const_host_device_scalarIT2_EEPKiS6_PKS3_S8_S4_PS3_21rocsparse_index_base_b,"axG",@progbits,_ZN9rocsparseL19gebsrmvn_2xn_kernelILj128ELj13ELj64EdEEvi20rocsparse_direction_NS_24const_host_device_scalarIT2_EEPKiS6_PKS3_S8_S4_PS3_21rocsparse_index_base_b,comdat
	.globl	_ZN9rocsparseL19gebsrmvn_2xn_kernelILj128ELj13ELj64EdEEvi20rocsparse_direction_NS_24const_host_device_scalarIT2_EEPKiS6_PKS3_S8_S4_PS3_21rocsparse_index_base_b ; -- Begin function _ZN9rocsparseL19gebsrmvn_2xn_kernelILj128ELj13ELj64EdEEvi20rocsparse_direction_NS_24const_host_device_scalarIT2_EEPKiS6_PKS3_S8_S4_PS3_21rocsparse_index_base_b
	.p2align	8
	.type	_ZN9rocsparseL19gebsrmvn_2xn_kernelILj128ELj13ELj64EdEEvi20rocsparse_direction_NS_24const_host_device_scalarIT2_EEPKiS6_PKS3_S8_S4_PS3_21rocsparse_index_base_b,@function
_ZN9rocsparseL19gebsrmvn_2xn_kernelILj128ELj13ELj64EdEEvi20rocsparse_direction_NS_24const_host_device_scalarIT2_EEPKiS6_PKS3_S8_S4_PS3_21rocsparse_index_base_b: ; @_ZN9rocsparseL19gebsrmvn_2xn_kernelILj128ELj13ELj64EdEEvi20rocsparse_direction_NS_24const_host_device_scalarIT2_EEPKiS6_PKS3_S8_S4_PS3_21rocsparse_index_base_b
; %bb.0:
	s_clause 0x2
	s_load_b64 s[12:13], s[0:1], 0x40
	s_load_b64 s[4:5], s[0:1], 0x8
	;; [unrolled: 1-line block ×3, first 2 shown]
	s_wait_kmcnt 0x0
	s_bitcmp1_b32 s13, 0
	v_mov_b64_e32 v[2:3], s[4:5]
	s_cselect_b32 s6, -1, 0
	s_delay_alu instid0(SALU_CYCLE_1)
	s_and_b32 vcc_lo, exec_lo, s6
	s_xor_b32 s6, s6, -1
	s_cbranch_vccnz .LBB135_2
; %bb.1:
	v_mov_b32_e32 v1, 0
	flat_load_b64 v[2:3], v1, s[4:5]
.LBB135_2:
	v_mov_b64_e32 v[4:5], s[2:3]
	s_and_not1_b32 vcc_lo, exec_lo, s6
	s_cbranch_vccnz .LBB135_4
; %bb.3:
	s_wait_xcnt 0x0
	v_mov_b32_e32 v1, 0
	flat_load_b64 v[4:5], v1, s[2:3]
.LBB135_4:
	s_wait_loadcnt_dscnt 0x0
	v_cmp_neq_f64_e32 vcc_lo, 0, v[2:3]
	s_delay_alu instid0(VALU_DEP_2) | instskip(SKIP_1) | instid1(SALU_CYCLE_1)
	v_cmp_neq_f64_e64 s2, 1.0, v[4:5]
	s_or_b32 s2, vcc_lo, s2
	s_and_saveexec_b32 s3, s2
	s_cbranch_execz .LBB135_23
; %bb.5:
	s_load_b64 s[2:3], s[0:1], 0x0
	s_bfe_u32 s4, ttmp6, 0x4000c
	s_and_b32 s5, ttmp6, 15
	s_add_co_i32 s4, s4, 1
	s_getreg_b32 s6, hwreg(HW_REG_IB_STS2, 6, 4)
	s_mul_i32 s4, ttmp9, s4
	v_lshrrev_b32_e32 v1, 6, v0
	s_add_co_i32 s5, s5, s4
	s_cmp_eq_u32 s6, 0
	s_cselect_b32 s4, ttmp9, s5
	s_delay_alu instid0(VALU_DEP_1) | instid1(SALU_CYCLE_1)
	v_lshl_or_b32 v6, s4, 1, v1
	s_wait_kmcnt 0x0
	s_delay_alu instid0(VALU_DEP_1)
	v_cmp_gt_i32_e32 vcc_lo, s2, v6
	s_and_b32 exec_lo, exec_lo, vcc_lo
	s_cbranch_execz .LBB135_23
; %bb.6:
	s_load_b256 s[4:11], s[0:1], 0x10
	v_ashrrev_i32_e32 v7, 31, v6
	s_cmp_lg_u32 s3, 0
	s_wait_kmcnt 0x0
	s_delay_alu instid0(VALU_DEP_1)
	v_lshl_add_u64 v[8:9], v[6:7], 2, s[4:5]
	v_and_b32_e32 v7, 63, v0
	global_load_b64 v[8:9], v[8:9], off
	s_wait_loadcnt 0x0
	v_subrev_nc_u32_e32 v0, s12, v8
	v_subrev_nc_u32_e32 v14, s12, v9
	s_delay_alu instid0(VALU_DEP_2) | instskip(NEXT) | instid1(VALU_DEP_1)
	v_add_nc_u32_e32 v15, v0, v7
	v_cmp_lt_i32_e64 s2, v15, v14
	s_cbranch_scc0 .LBB135_12
; %bb.7:
	v_mov_b64_e32 v[0:1], 0
	v_mov_b64_e32 v[8:9], 0
	s_and_saveexec_b32 s3, s2
	s_cbranch_execz .LBB135_11
; %bb.8:
	v_mad_u32 v10, v15, 26, 24
	v_mov_b64_e32 v[0:1], 0
	v_mov_b64_e32 v[8:9], 0
	v_dual_mov_b32 v13, 0 :: v_dual_mov_b32 v16, v15
	s_mov_b32 s4, 0
.LBB135_9:                              ; =>This Inner Loop Header: Depth=1
	global_load_b32 v11, v16, s[6:7] scale_offset
	v_subrev_nc_u32_e32 v12, 24, v10
	s_wait_xcnt 0x0
	v_add_nc_u32_e32 v16, 64, v16
	s_delay_alu instid0(VALU_DEP_2) | instskip(SKIP_1) | instid1(VALU_DEP_3)
	v_lshl_add_u64 v[22:23], v[12:13], 3, s[8:9]
	v_subrev_nc_u32_e32 v12, 22, v10
	v_cmp_ge_i32_e32 vcc_lo, v16, v14
	s_delay_alu instid0(VALU_DEP_2) | instskip(SKIP_2) | instid1(VALU_DEP_1)
	v_lshl_add_u64 v[26:27], v[12:13], 3, s[8:9]
	v_subrev_nc_u32_e32 v12, 20, v10
	s_or_b32 s4, vcc_lo, s4
	v_lshl_add_u64 v[30:31], v[12:13], 3, s[8:9]
	v_subrev_nc_u32_e32 v12, 18, v10
	s_delay_alu instid0(VALU_DEP_1) | instskip(SKIP_1) | instid1(VALU_DEP_1)
	v_lshl_add_u64 v[34:35], v[12:13], 3, s[8:9]
	v_add_nc_u32_e32 v12, -16, v10
	v_lshl_add_u64 v[38:39], v[12:13], 3, s[8:9]
	v_add_nc_u32_e32 v12, -14, v10
	s_delay_alu instid0(VALU_DEP_1) | instskip(SKIP_1) | instid1(VALU_DEP_1)
	v_lshl_add_u64 v[42:43], v[12:13], 3, s[8:9]
	v_add_nc_u32_e32 v12, -12, v10
	v_lshl_add_u64 v[46:47], v[12:13], 3, s[8:9]
	v_add_nc_u32_e32 v12, -10, v10
	;; [unrolled: 5-line block ×4, first 2 shown]
	s_wait_loadcnt 0x0
	v_subrev_nc_u32_e32 v11, s12, v11
	s_delay_alu instid0(VALU_DEP_1)
	v_mul_lo_u32 v17, v11, 13
	global_load_b128 v[18:21], v[22:23], off
	global_load_b64 v[62:63], v17, s[10:11] scale_offset
	v_add_nc_u32_e32 v11, 1, v17
	global_load_b128 v[22:25], v[26:27], off
	global_load_b64 v[64:65], v11, s[10:11] scale_offset
	s_wait_xcnt 0x0
	v_add_nc_u32_e32 v11, 2, v17
	global_load_b128 v[26:29], v[30:31], off
	global_load_b64 v[66:67], v11, s[10:11] scale_offset
	s_wait_xcnt 0x0
	;; [unrolled: 4-line block ×10, first 2 shown]
	v_add_nc_u32_e32 v11, 11, v17
	s_wait_loadcnt 0x14
	v_fmac_f64_e32 v[0:1], v[18:19], v[62:63]
	v_fmac_f64_e32 v[8:9], v[20:21], v[62:63]
	v_lshl_add_u64 v[62:63], v[12:13], 3, s[8:9]
	global_load_b128 v[18:21], v[62:63], off
	global_load_b64 v[82:83], v11, s[10:11] scale_offset
	s_wait_xcnt 0x0
	v_mov_b32_e32 v11, v13
	s_delay_alu instid0(VALU_DEP_1)
	v_lshl_add_u64 v[62:63], v[10:11], 3, s[8:9]
	v_add_nc_u32_e32 v11, 12, v17
	v_add_nc_u32_e32 v10, 0x680, v10
	s_wait_loadcnt 0x14
	v_fmac_f64_e32 v[0:1], v[22:23], v[64:65]
	v_fmac_f64_e32 v[8:9], v[24:25], v[64:65]
	global_load_b128 v[22:25], v[62:63], off
	global_load_b64 v[64:65], v11, s[10:11] scale_offset
	s_wait_loadcnt 0x14
	v_fmac_f64_e32 v[0:1], v[26:27], v[66:67]
	v_fmac_f64_e32 v[8:9], v[28:29], v[66:67]
	s_wait_loadcnt 0x12
	s_delay_alu instid0(VALU_DEP_2) | instskip(NEXT) | instid1(VALU_DEP_2)
	v_fmac_f64_e32 v[0:1], v[30:31], v[68:69]
	v_fmac_f64_e32 v[8:9], v[32:33], v[68:69]
	s_wait_loadcnt 0x10
	s_delay_alu instid0(VALU_DEP_2) | instskip(NEXT) | instid1(VALU_DEP_2)
	;; [unrolled: 4-line block ×10, first 2 shown]
	v_fmac_f64_e32 v[0:1], v[22:23], v[64:65]
	v_fmac_f64_e32 v[8:9], v[24:25], v[64:65]
	s_and_not1_b32 exec_lo, exec_lo, s4
	s_cbranch_execnz .LBB135_9
; %bb.10:
	s_or_b32 exec_lo, exec_lo, s4
.LBB135_11:
	s_delay_alu instid0(SALU_CYCLE_1)
	s_or_b32 exec_lo, exec_lo, s3
	s_cbranch_execz .LBB135_13
	s_branch .LBB135_18
.LBB135_12:
                                        ; implicit-def: $vgpr0_vgpr1
                                        ; implicit-def: $vgpr8_vgpr9
.LBB135_13:
	v_mov_b64_e32 v[0:1], 0
	v_mov_b64_e32 v[8:9], 0
	s_and_saveexec_b32 s3, s2
	s_cbranch_execz .LBB135_17
; %bb.14:
	v_mad_u32 v12, v15, 26, 25
	v_mov_b64_e32 v[0:1], 0
	v_mov_b64_e32 v[8:9], 0
	v_mov_b32_e32 v11, 0
	s_mov_b32 s2, 0
.LBB135_15:                             ; =>This Inner Loop Header: Depth=1
	global_load_b32 v13, v15, s[6:7] scale_offset
	v_subrev_nc_u32_e32 v10, 25, v12
	s_wait_xcnt 0x0
	v_dual_add_nc_u32 v26, -12, v12 :: v_dual_add_nc_u32 v15, 64, v15
	v_dual_add_nc_u32 v34, -10, v12 :: v_dual_add_nc_u32 v40, -9, v12
	s_delay_alu instid0(VALU_DEP_3)
	v_lshl_add_u64 v[20:21], v[10:11], 3, s[8:9]
	v_dual_add_nc_u32 v10, -11, v12 :: v_dual_add_nc_u32 v46, -8, v12
	v_dual_add_nc_u32 v52, -7, v12 :: v_dual_add_nc_u32 v58, -6, v12
	;; [unrolled: 1-line block ×3, first 2 shown]
	v_cmp_ge_i32_e32 vcc_lo, v15, v14
	v_add_nc_u32_e32 v80, -2, v12
	s_or_b32 s2, vcc_lo, s2
	s_wait_loadcnt 0x0
	v_subrev_nc_u32_e32 v13, s12, v13
	s_delay_alu instid0(VALU_DEP_1)
	v_mul_lo_u32 v13, v13, 13
	s_clause 0x1
	global_load_b128 v[16:19], v[20:21], off
	global_load_b64 v[22:23], v26, s[8:9] scale_offset
	global_load_b64 v[24:25], v13, s[10:11] scale_offset
	v_dual_add_nc_u32 v76, -3, v12 :: v_dual_add_nc_u32 v77, 9, v13
	v_add_nc_u32_e32 v28, 1, v13
	global_load_b64 v[20:21], v10, s[8:9] scale_offset
	global_load_b64 v[26:27], v28, s[10:11] scale_offset
	s_wait_xcnt 0x1
	v_subrev_nc_u32_e32 v10, 23, v12
	v_add_nc_u32_e32 v35, 2, v13
	s_clause 0x1
	global_load_b64 v[28:29], v10, s[8:9] scale_offset
	global_load_b64 v[30:31], v34, s[8:9] scale_offset
	global_load_b64 v[32:33], v35, s[10:11] scale_offset
	s_wait_xcnt 0x2
	v_subrev_nc_u32_e32 v10, 22, v12
	v_add_nc_u32_e32 v41, 3, v13
	s_clause 0x1
	global_load_b64 v[34:35], v10, s[8:9] scale_offset
	;; [unrolled: 7-line block ×7, first 2 shown]
	global_load_b64 v[66:67], v70, s[8:9] scale_offset
	global_load_b64 v[68:69], v71, s[10:11] scale_offset
	s_wait_xcnt 0x2
	v_add_nc_u32_e32 v10, -16, v12
	s_clause 0x1
	global_load_b64 v[70:71], v10, s[8:9] scale_offset
	global_load_b64 v[72:73], v76, s[8:9] scale_offset
	;; [unrolled: 1-line block ×3, first 2 shown]
	s_wait_xcnt 0x2
	v_add_nc_u32_e32 v10, -15, v12
	s_clause 0x1
	global_load_b64 v[76:77], v10, s[8:9] scale_offset
	global_load_b64 v[78:79], v80, s[8:9] scale_offset
	s_wait_xcnt 0x1
	v_add_nc_u32_e32 v10, 10, v13
	s_wait_loadcnt 0x1c
	v_fmac_f64_e32 v[0:1], v[16:17], v[24:25]
	v_fmac_f64_e32 v[8:9], v[22:23], v[24:25]
	v_add_nc_u32_e32 v24, -1, v12
	global_load_b64 v[80:81], v10, s[10:11] scale_offset
	s_wait_xcnt 0x0
	v_dual_add_nc_u32 v10, -14, v12 :: v_dual_add_nc_u32 v25, 11, v13
	v_add_nc_u32_e32 v13, 12, v13
	global_load_b64 v[16:17], v10, s[8:9] scale_offset
	s_wait_xcnt 0x0
	v_add_nc_u32_e32 v10, -13, v12
	s_wait_loadcnt 0x1c
	v_fmac_f64_e32 v[0:1], v[18:19], v[26:27]
	global_load_b64 v[18:19], v24, s[8:9] scale_offset
	global_load_b64 v[22:23], v25, s[10:11] scale_offset
	v_fmac_f64_e32 v[8:9], v[20:21], v[26:27]
	s_clause 0x1
	global_load_b64 v[20:21], v12, s[8:9] scale_offset
	global_load_b64 v[24:25], v10, s[8:9] scale_offset
	;; [unrolled: 1-line block ×3, first 2 shown]
	s_wait_xcnt 0x2
	v_add_nc_u32_e32 v12, 0x680, v12
	s_wait_loadcnt 0x1e
	v_fmac_f64_e32 v[0:1], v[28:29], v[32:33]
	v_fmac_f64_e32 v[8:9], v[30:31], v[32:33]
	s_wait_loadcnt 0x1b
	s_delay_alu instid0(VALU_DEP_2) | instskip(NEXT) | instid1(VALU_DEP_2)
	v_fmac_f64_e32 v[0:1], v[34:35], v[38:39]
	v_fmac_f64_e32 v[8:9], v[36:37], v[38:39]
	s_wait_loadcnt 0x18
	s_delay_alu instid0(VALU_DEP_2) | instskip(NEXT) | instid1(VALU_DEP_2)
	v_fmac_f64_e32 v[0:1], v[40:41], v[44:45]
	v_fmac_f64_e32 v[8:9], v[42:43], v[44:45]
	s_wait_loadcnt 0x15
	s_delay_alu instid0(VALU_DEP_2) | instskip(NEXT) | instid1(VALU_DEP_2)
	v_fmac_f64_e32 v[0:1], v[46:47], v[50:51]
	v_fmac_f64_e32 v[8:9], v[48:49], v[50:51]
	s_wait_loadcnt 0x12
	s_delay_alu instid0(VALU_DEP_2) | instskip(NEXT) | instid1(VALU_DEP_2)
	v_fmac_f64_e32 v[0:1], v[52:53], v[56:57]
	v_fmac_f64_e32 v[8:9], v[54:55], v[56:57]
	s_wait_loadcnt 0xf
	s_delay_alu instid0(VALU_DEP_2) | instskip(NEXT) | instid1(VALU_DEP_2)
	v_fmac_f64_e32 v[0:1], v[58:59], v[62:63]
	v_fmac_f64_e32 v[8:9], v[60:61], v[62:63]
	s_wait_loadcnt 0xc
	s_delay_alu instid0(VALU_DEP_2) | instskip(NEXT) | instid1(VALU_DEP_2)
	v_fmac_f64_e32 v[0:1], v[64:65], v[68:69]
	v_fmac_f64_e32 v[8:9], v[66:67], v[68:69]
	s_wait_loadcnt 0x9
	s_delay_alu instid0(VALU_DEP_2) | instskip(NEXT) | instid1(VALU_DEP_2)
	v_fmac_f64_e32 v[0:1], v[70:71], v[74:75]
	v_fmac_f64_e32 v[8:9], v[72:73], v[74:75]
	s_wait_loadcnt 0x6
	s_delay_alu instid0(VALU_DEP_2) | instskip(NEXT) | instid1(VALU_DEP_2)
	v_fmac_f64_e32 v[0:1], v[76:77], v[80:81]
	v_fmac_f64_e32 v[8:9], v[78:79], v[80:81]
	s_wait_loadcnt 0x3
	s_delay_alu instid0(VALU_DEP_2) | instskip(NEXT) | instid1(VALU_DEP_2)
	v_fmac_f64_e32 v[0:1], v[16:17], v[22:23]
	v_fmac_f64_e32 v[8:9], v[18:19], v[22:23]
	s_wait_loadcnt 0x0
	s_delay_alu instid0(VALU_DEP_2) | instskip(NEXT) | instid1(VALU_DEP_2)
	v_fmac_f64_e32 v[0:1], v[24:25], v[26:27]
	v_fmac_f64_e32 v[8:9], v[20:21], v[26:27]
	s_and_not1_b32 exec_lo, exec_lo, s2
	s_cbranch_execnz .LBB135_15
; %bb.16:
	s_or_b32 exec_lo, exec_lo, s2
.LBB135_17:
	s_delay_alu instid0(SALU_CYCLE_1)
	s_or_b32 exec_lo, exec_lo, s3
.LBB135_18:
	v_mbcnt_lo_u32_b32 v14, -1, 0
	s_delay_alu instid0(VALU_DEP_1) | instskip(NEXT) | instid1(VALU_DEP_1)
	v_or_b32_e32 v10, 32, v14
	v_cmp_gt_i32_e32 vcc_lo, 32, v10
	v_cndmask_b32_e32 v10, v14, v10, vcc_lo
	s_delay_alu instid0(VALU_DEP_1)
	v_lshlrev_b32_e32 v13, 2, v10
	ds_bpermute_b32 v10, v13, v0
	ds_bpermute_b32 v11, v13, v1
	s_wait_dscnt 0x0
	v_add_f64_e32 v[0:1], v[0:1], v[10:11]
	v_xor_b32_e32 v10, 16, v14
	s_delay_alu instid0(VALU_DEP_1)
	v_cmp_gt_i32_e32 vcc_lo, 32, v10
	v_cndmask_b32_e32 v10, v14, v10, vcc_lo
	ds_bpermute_b32 v12, v13, v8
	ds_bpermute_b32 v13, v13, v9
	s_wait_dscnt 0x0
	v_dual_add_f64 v[8:9], v[8:9], v[12:13] :: v_dual_lshlrev_b32 v13, 2, v10
	ds_bpermute_b32 v10, v13, v0
	ds_bpermute_b32 v11, v13, v1
	s_wait_dscnt 0x0
	v_add_f64_e32 v[0:1], v[0:1], v[10:11]
	v_xor_b32_e32 v10, 8, v14
	s_delay_alu instid0(VALU_DEP_1)
	v_cmp_gt_i32_e32 vcc_lo, 32, v10
	v_cndmask_b32_e32 v10, v14, v10, vcc_lo
	ds_bpermute_b32 v12, v13, v8
	ds_bpermute_b32 v13, v13, v9
	s_wait_dscnt 0x0
	v_dual_add_f64 v[8:9], v[8:9], v[12:13] :: v_dual_lshlrev_b32 v13, 2, v10
	;; [unrolled: 12-line block ×4, first 2 shown]
	ds_bpermute_b32 v10, v13, v0
	ds_bpermute_b32 v11, v13, v1
	s_wait_dscnt 0x0
	v_add_f64_e32 v[0:1], v[0:1], v[10:11]
	ds_bpermute_b32 v12, v13, v8
	ds_bpermute_b32 v13, v13, v9
	s_wait_dscnt 0x0
	v_dual_add_f64 v[10:11], v[8:9], v[12:13] :: v_dual_bitop2_b32 v8, 1, v14 bitop3:0x14
	s_delay_alu instid0(VALU_DEP_1) | instskip(SKIP_2) | instid1(VALU_DEP_2)
	v_cmp_gt_i32_e32 vcc_lo, 32, v8
	v_cndmask_b32_e32 v8, v14, v8, vcc_lo
	v_cmp_eq_u32_e32 vcc_lo, 63, v7
	v_lshlrev_b32_e32 v13, 2, v8
	ds_bpermute_b32 v8, v13, v0
	ds_bpermute_b32 v9, v13, v1
	;; [unrolled: 1-line block ×4, first 2 shown]
	s_and_b32 exec_lo, exec_lo, vcc_lo
	s_cbranch_execz .LBB135_23
; %bb.19:
	s_wait_dscnt 0x2
	v_add_f64_e32 v[8:9], v[0:1], v[8:9]
	s_wait_dscnt 0x0
	v_add_f64_e32 v[0:1], v[10:11], v[12:13]
	s_load_b64 s[0:1], s[0:1], 0x38
	s_mov_b32 s2, exec_lo
	v_cmpx_eq_f64_e32 0, v[4:5]
	s_xor_b32 s2, exec_lo, s2
	s_cbranch_execz .LBB135_21
; %bb.20:
	s_delay_alu instid0(VALU_DEP_3) | instskip(NEXT) | instid1(VALU_DEP_3)
	v_mul_f64_e32 v[8:9], v[2:3], v[8:9]
	v_dual_mul_f64 v[10:11], v[2:3], v[0:1] :: v_dual_lshlrev_b32 v0, 1, v6
                                        ; implicit-def: $vgpr6
                                        ; implicit-def: $vgpr2_vgpr3
                                        ; implicit-def: $vgpr4_vgpr5
	s_delay_alu instid0(VALU_DEP_1) | instskip(SKIP_1) | instid1(VALU_DEP_1)
	v_ashrrev_i32_e32 v1, 31, v0
	s_wait_kmcnt 0x0
	v_lshl_add_u64 v[0:1], v[0:1], 3, s[0:1]
	global_store_b128 v[0:1], v[8:11], off
                                        ; implicit-def: $vgpr8_vgpr9
                                        ; implicit-def: $vgpr0_vgpr1
.LBB135_21:
	s_wait_xcnt 0x0
	s_and_not1_saveexec_b32 s2, s2
	s_cbranch_execz .LBB135_23
; %bb.22:
	v_lshlrev_b32_e32 v6, 1, v6
	s_delay_alu instid0(VALU_DEP_1) | instskip(SKIP_1) | instid1(VALU_DEP_1)
	v_ashrrev_i32_e32 v7, 31, v6
	s_wait_kmcnt 0x0
	v_lshl_add_u64 v[14:15], v[6:7], 3, s[0:1]
	v_mul_f64_e32 v[6:7], v[2:3], v[8:9]
	v_mul_f64_e32 v[8:9], v[2:3], v[0:1]
	global_load_b128 v[10:13], v[14:15], off
	s_wait_loadcnt 0x0
	v_fmac_f64_e32 v[6:7], v[4:5], v[10:11]
	v_fmac_f64_e32 v[8:9], v[4:5], v[12:13]
	global_store_b128 v[14:15], v[6:9], off
.LBB135_23:
	s_sendmsg sendmsg(MSG_DEALLOC_VGPRS)
	s_endpgm
	.section	.rodata,"a",@progbits
	.p2align	6, 0x0
	.amdhsa_kernel _ZN9rocsparseL19gebsrmvn_2xn_kernelILj128ELj13ELj64EdEEvi20rocsparse_direction_NS_24const_host_device_scalarIT2_EEPKiS6_PKS3_S8_S4_PS3_21rocsparse_index_base_b
		.amdhsa_group_segment_fixed_size 0
		.amdhsa_private_segment_fixed_size 0
		.amdhsa_kernarg_size 72
		.amdhsa_user_sgpr_count 2
		.amdhsa_user_sgpr_dispatch_ptr 0
		.amdhsa_user_sgpr_queue_ptr 0
		.amdhsa_user_sgpr_kernarg_segment_ptr 1
		.amdhsa_user_sgpr_dispatch_id 0
		.amdhsa_user_sgpr_kernarg_preload_length 0
		.amdhsa_user_sgpr_kernarg_preload_offset 0
		.amdhsa_user_sgpr_private_segment_size 0
		.amdhsa_wavefront_size32 1
		.amdhsa_uses_dynamic_stack 0
		.amdhsa_enable_private_segment 0
		.amdhsa_system_sgpr_workgroup_id_x 1
		.amdhsa_system_sgpr_workgroup_id_y 0
		.amdhsa_system_sgpr_workgroup_id_z 0
		.amdhsa_system_sgpr_workgroup_info 0
		.amdhsa_system_vgpr_workitem_id 0
		.amdhsa_next_free_vgpr 86
		.amdhsa_next_free_sgpr 14
		.amdhsa_named_barrier_count 0
		.amdhsa_reserve_vcc 1
		.amdhsa_float_round_mode_32 0
		.amdhsa_float_round_mode_16_64 0
		.amdhsa_float_denorm_mode_32 3
		.amdhsa_float_denorm_mode_16_64 3
		.amdhsa_fp16_overflow 0
		.amdhsa_memory_ordered 1
		.amdhsa_forward_progress 1
		.amdhsa_inst_pref_size 23
		.amdhsa_round_robin_scheduling 0
		.amdhsa_exception_fp_ieee_invalid_op 0
		.amdhsa_exception_fp_denorm_src 0
		.amdhsa_exception_fp_ieee_div_zero 0
		.amdhsa_exception_fp_ieee_overflow 0
		.amdhsa_exception_fp_ieee_underflow 0
		.amdhsa_exception_fp_ieee_inexact 0
		.amdhsa_exception_int_div_zero 0
	.end_amdhsa_kernel
	.section	.text._ZN9rocsparseL19gebsrmvn_2xn_kernelILj128ELj13ELj64EdEEvi20rocsparse_direction_NS_24const_host_device_scalarIT2_EEPKiS6_PKS3_S8_S4_PS3_21rocsparse_index_base_b,"axG",@progbits,_ZN9rocsparseL19gebsrmvn_2xn_kernelILj128ELj13ELj64EdEEvi20rocsparse_direction_NS_24const_host_device_scalarIT2_EEPKiS6_PKS3_S8_S4_PS3_21rocsparse_index_base_b,comdat
.Lfunc_end135:
	.size	_ZN9rocsparseL19gebsrmvn_2xn_kernelILj128ELj13ELj64EdEEvi20rocsparse_direction_NS_24const_host_device_scalarIT2_EEPKiS6_PKS3_S8_S4_PS3_21rocsparse_index_base_b, .Lfunc_end135-_ZN9rocsparseL19gebsrmvn_2xn_kernelILj128ELj13ELj64EdEEvi20rocsparse_direction_NS_24const_host_device_scalarIT2_EEPKiS6_PKS3_S8_S4_PS3_21rocsparse_index_base_b
                                        ; -- End function
	.set _ZN9rocsparseL19gebsrmvn_2xn_kernelILj128ELj13ELj64EdEEvi20rocsparse_direction_NS_24const_host_device_scalarIT2_EEPKiS6_PKS3_S8_S4_PS3_21rocsparse_index_base_b.num_vgpr, 86
	.set _ZN9rocsparseL19gebsrmvn_2xn_kernelILj128ELj13ELj64EdEEvi20rocsparse_direction_NS_24const_host_device_scalarIT2_EEPKiS6_PKS3_S8_S4_PS3_21rocsparse_index_base_b.num_agpr, 0
	.set _ZN9rocsparseL19gebsrmvn_2xn_kernelILj128ELj13ELj64EdEEvi20rocsparse_direction_NS_24const_host_device_scalarIT2_EEPKiS6_PKS3_S8_S4_PS3_21rocsparse_index_base_b.numbered_sgpr, 14
	.set _ZN9rocsparseL19gebsrmvn_2xn_kernelILj128ELj13ELj64EdEEvi20rocsparse_direction_NS_24const_host_device_scalarIT2_EEPKiS6_PKS3_S8_S4_PS3_21rocsparse_index_base_b.num_named_barrier, 0
	.set _ZN9rocsparseL19gebsrmvn_2xn_kernelILj128ELj13ELj64EdEEvi20rocsparse_direction_NS_24const_host_device_scalarIT2_EEPKiS6_PKS3_S8_S4_PS3_21rocsparse_index_base_b.private_seg_size, 0
	.set _ZN9rocsparseL19gebsrmvn_2xn_kernelILj128ELj13ELj64EdEEvi20rocsparse_direction_NS_24const_host_device_scalarIT2_EEPKiS6_PKS3_S8_S4_PS3_21rocsparse_index_base_b.uses_vcc, 1
	.set _ZN9rocsparseL19gebsrmvn_2xn_kernelILj128ELj13ELj64EdEEvi20rocsparse_direction_NS_24const_host_device_scalarIT2_EEPKiS6_PKS3_S8_S4_PS3_21rocsparse_index_base_b.uses_flat_scratch, 0
	.set _ZN9rocsparseL19gebsrmvn_2xn_kernelILj128ELj13ELj64EdEEvi20rocsparse_direction_NS_24const_host_device_scalarIT2_EEPKiS6_PKS3_S8_S4_PS3_21rocsparse_index_base_b.has_dyn_sized_stack, 0
	.set _ZN9rocsparseL19gebsrmvn_2xn_kernelILj128ELj13ELj64EdEEvi20rocsparse_direction_NS_24const_host_device_scalarIT2_EEPKiS6_PKS3_S8_S4_PS3_21rocsparse_index_base_b.has_recursion, 0
	.set _ZN9rocsparseL19gebsrmvn_2xn_kernelILj128ELj13ELj64EdEEvi20rocsparse_direction_NS_24const_host_device_scalarIT2_EEPKiS6_PKS3_S8_S4_PS3_21rocsparse_index_base_b.has_indirect_call, 0
	.section	.AMDGPU.csdata,"",@progbits
; Kernel info:
; codeLenInByte = 2876
; TotalNumSgprs: 16
; NumVgprs: 86
; ScratchSize: 0
; MemoryBound: 0
; FloatMode: 240
; IeeeMode: 1
; LDSByteSize: 0 bytes/workgroup (compile time only)
; SGPRBlocks: 0
; VGPRBlocks: 5
; NumSGPRsForWavesPerEU: 16
; NumVGPRsForWavesPerEU: 86
; NamedBarCnt: 0
; Occupancy: 10
; WaveLimiterHint : 1
; COMPUTE_PGM_RSRC2:SCRATCH_EN: 0
; COMPUTE_PGM_RSRC2:USER_SGPR: 2
; COMPUTE_PGM_RSRC2:TRAP_HANDLER: 0
; COMPUTE_PGM_RSRC2:TGID_X_EN: 1
; COMPUTE_PGM_RSRC2:TGID_Y_EN: 0
; COMPUTE_PGM_RSRC2:TGID_Z_EN: 0
; COMPUTE_PGM_RSRC2:TIDIG_COMP_CNT: 0
	.section	.text._ZN9rocsparseL19gebsrmvn_2xn_kernelILj128ELj14ELj4EdEEvi20rocsparse_direction_NS_24const_host_device_scalarIT2_EEPKiS6_PKS3_S8_S4_PS3_21rocsparse_index_base_b,"axG",@progbits,_ZN9rocsparseL19gebsrmvn_2xn_kernelILj128ELj14ELj4EdEEvi20rocsparse_direction_NS_24const_host_device_scalarIT2_EEPKiS6_PKS3_S8_S4_PS3_21rocsparse_index_base_b,comdat
	.globl	_ZN9rocsparseL19gebsrmvn_2xn_kernelILj128ELj14ELj4EdEEvi20rocsparse_direction_NS_24const_host_device_scalarIT2_EEPKiS6_PKS3_S8_S4_PS3_21rocsparse_index_base_b ; -- Begin function _ZN9rocsparseL19gebsrmvn_2xn_kernelILj128ELj14ELj4EdEEvi20rocsparse_direction_NS_24const_host_device_scalarIT2_EEPKiS6_PKS3_S8_S4_PS3_21rocsparse_index_base_b
	.p2align	8
	.type	_ZN9rocsparseL19gebsrmvn_2xn_kernelILj128ELj14ELj4EdEEvi20rocsparse_direction_NS_24const_host_device_scalarIT2_EEPKiS6_PKS3_S8_S4_PS3_21rocsparse_index_base_b,@function
_ZN9rocsparseL19gebsrmvn_2xn_kernelILj128ELj14ELj4EdEEvi20rocsparse_direction_NS_24const_host_device_scalarIT2_EEPKiS6_PKS3_S8_S4_PS3_21rocsparse_index_base_b: ; @_ZN9rocsparseL19gebsrmvn_2xn_kernelILj128ELj14ELj4EdEEvi20rocsparse_direction_NS_24const_host_device_scalarIT2_EEPKiS6_PKS3_S8_S4_PS3_21rocsparse_index_base_b
; %bb.0:
	s_clause 0x2
	s_load_b64 s[12:13], s[0:1], 0x40
	s_load_b64 s[4:5], s[0:1], 0x8
	;; [unrolled: 1-line block ×3, first 2 shown]
	s_wait_kmcnt 0x0
	s_bitcmp1_b32 s13, 0
	v_mov_b64_e32 v[2:3], s[4:5]
	s_cselect_b32 s6, -1, 0
	s_delay_alu instid0(SALU_CYCLE_1)
	s_and_b32 vcc_lo, exec_lo, s6
	s_xor_b32 s6, s6, -1
	s_cbranch_vccnz .LBB136_2
; %bb.1:
	v_mov_b32_e32 v1, 0
	flat_load_b64 v[2:3], v1, s[4:5]
.LBB136_2:
	v_mov_b64_e32 v[4:5], s[2:3]
	s_and_not1_b32 vcc_lo, exec_lo, s6
	s_cbranch_vccnz .LBB136_4
; %bb.3:
	s_wait_xcnt 0x0
	v_mov_b32_e32 v1, 0
	flat_load_b64 v[4:5], v1, s[2:3]
.LBB136_4:
	s_wait_loadcnt_dscnt 0x0
	v_cmp_neq_f64_e32 vcc_lo, 0, v[2:3]
	s_delay_alu instid0(VALU_DEP_2) | instskip(SKIP_1) | instid1(SALU_CYCLE_1)
	v_cmp_neq_f64_e64 s2, 1.0, v[4:5]
	s_or_b32 s2, vcc_lo, s2
	s_and_saveexec_b32 s3, s2
	s_cbranch_execz .LBB136_23
; %bb.5:
	s_load_b64 s[2:3], s[0:1], 0x0
	s_bfe_u32 s4, ttmp6, 0x4000c
	s_and_b32 s5, ttmp6, 15
	s_add_co_i32 s4, s4, 1
	s_getreg_b32 s6, hwreg(HW_REG_IB_STS2, 6, 4)
	s_mul_i32 s4, ttmp9, s4
	v_lshrrev_b32_e32 v1, 2, v0
	s_add_co_i32 s5, s5, s4
	s_cmp_eq_u32 s6, 0
	s_cselect_b32 s4, ttmp9, s5
	s_delay_alu instid0(VALU_DEP_1) | instid1(SALU_CYCLE_1)
	v_lshl_or_b32 v6, s4, 5, v1
	s_wait_kmcnt 0x0
	s_delay_alu instid0(VALU_DEP_1)
	v_cmp_gt_i32_e32 vcc_lo, s2, v6
	s_and_b32 exec_lo, exec_lo, vcc_lo
	s_cbranch_execz .LBB136_23
; %bb.6:
	s_load_b256 s[4:11], s[0:1], 0x10
	v_ashrrev_i32_e32 v7, 31, v6
	s_cmp_lg_u32 s3, 0
	s_wait_kmcnt 0x0
	s_delay_alu instid0(VALU_DEP_1)
	v_lshl_add_u64 v[8:9], v[6:7], 2, s[4:5]
	v_and_b32_e32 v7, 3, v0
	global_load_b64 v[8:9], v[8:9], off
	s_wait_loadcnt 0x0
	v_subrev_nc_u32_e32 v0, s12, v8
	v_subrev_nc_u32_e32 v14, s12, v9
	s_delay_alu instid0(VALU_DEP_2) | instskip(NEXT) | instid1(VALU_DEP_1)
	v_add_nc_u32_e32 v15, v0, v7
	v_cmp_lt_i32_e64 s2, v15, v14
	s_cbranch_scc0 .LBB136_12
; %bb.7:
	v_mov_b64_e32 v[0:1], 0
	v_mov_b64_e32 v[8:9], 0
	s_and_saveexec_b32 s3, s2
	s_cbranch_execz .LBB136_11
; %bb.8:
	v_mad_u32 v10, v15, 28, 26
	v_mov_b64_e32 v[0:1], 0
	v_mov_b64_e32 v[8:9], 0
	v_dual_mov_b32 v13, 0 :: v_dual_mov_b32 v16, v15
	s_mov_b32 s4, 0
.LBB136_9:                              ; =>This Inner Loop Header: Depth=1
	global_load_b32 v11, v16, s[6:7] scale_offset
	v_subrev_nc_u32_e32 v12, 26, v10
	s_wait_xcnt 0x0
	v_add_nc_u32_e32 v16, 4, v16
	s_delay_alu instid0(VALU_DEP_2) | instskip(SKIP_1) | instid1(VALU_DEP_3)
	v_lshl_add_u64 v[30:31], v[12:13], 3, s[8:9]
	v_subrev_nc_u32_e32 v12, 22, v10
	v_cmp_ge_i32_e32 vcc_lo, v16, v14
	s_delay_alu instid0(VALU_DEP_2) | instskip(SKIP_3) | instid1(VALU_DEP_1)
	v_lshl_add_u64 v[38:39], v[12:13], 3, s[8:9]
	s_or_b32 s4, vcc_lo, s4
	s_wait_loadcnt 0x0
	v_subrev_nc_u32_e32 v11, s12, v11
	v_mul_lo_u32 v86, v11, 14
	v_dual_mov_b32 v87, v13 :: v_dual_mov_b32 v11, v13
	s_delay_alu instid0(VALU_DEP_2) | instskip(NEXT) | instid1(VALU_DEP_2)
	v_add_nc_u32_e32 v12, 2, v86
	v_lshl_add_u64 v[32:33], v[86:87], 3, s[10:11]
	global_load_b128 v[18:21], v[30:31], off
	global_load_b128 v[22:25], v[32:33], off
	global_load_b128 v[26:29], v[30:31], off offset:16
	v_lshl_add_u64 v[40:41], v[12:13], 3, s[10:11]
	global_load_b128 v[30:33], v[38:39], off
	global_load_b128 v[34:37], v[40:41], off
	v_subrev_nc_u32_e32 v12, 20, v10
	s_wait_xcnt 0x1
	s_delay_alu instid0(VALU_DEP_1) | instskip(SKIP_4) | instid1(VALU_DEP_1)
	v_lshl_add_u64 v[38:39], v[12:13], 3, s[8:9]
	v_subrev_nc_u32_e32 v12, 18, v10
	global_load_b128 v[38:41], v[38:39], off
	v_lshl_add_u64 v[50:51], v[12:13], 3, s[8:9]
	v_add_nc_u32_e32 v12, 4, v86
	v_lshl_add_u64 v[52:53], v[12:13], 3, s[10:11]
	global_load_b128 v[42:45], v[50:51], off
	global_load_b128 v[46:49], v[52:53], off
	v_add_nc_u32_e32 v12, -16, v10
	s_wait_xcnt 0x1
	s_delay_alu instid0(VALU_DEP_1) | instskip(SKIP_4) | instid1(VALU_DEP_1)
	v_lshl_add_u64 v[50:51], v[12:13], 3, s[8:9]
	v_add_nc_u32_e32 v12, -14, v10
	global_load_b128 v[50:53], v[50:51], off
	v_lshl_add_u64 v[62:63], v[12:13], 3, s[8:9]
	v_add_nc_u32_e32 v12, 6, v86
	v_lshl_add_u64 v[64:65], v[12:13], 3, s[10:11]
	global_load_b128 v[54:57], v[62:63], off
	global_load_b128 v[58:61], v[64:65], off
	v_add_nc_u32_e32 v12, -12, v10
	s_wait_xcnt 0x1
	s_delay_alu instid0(VALU_DEP_1) | instskip(SKIP_4) | instid1(VALU_DEP_1)
	v_lshl_add_u64 v[62:63], v[12:13], 3, s[8:9]
	v_add_nc_u32_e32 v12, -10, v10
	global_load_b128 v[62:65], v[62:63], off
	v_lshl_add_u64 v[74:75], v[12:13], 3, s[8:9]
	v_add_nc_u32_e32 v12, 8, v86
	v_lshl_add_u64 v[76:77], v[12:13], 3, s[10:11]
	global_load_b128 v[66:69], v[74:75], off
	global_load_b128 v[70:73], v[76:77], off
	v_add_nc_u32_e32 v12, -8, v10
	s_wait_xcnt 0x1
	s_delay_alu instid0(VALU_DEP_1) | instskip(SKIP_4) | instid1(VALU_DEP_1)
	v_lshl_add_u64 v[74:75], v[12:13], 3, s[8:9]
	v_add_nc_u32_e32 v12, -6, v10
	global_load_b128 v[74:77], v[74:75], off
	v_lshl_add_u64 v[88:89], v[12:13], 3, s[8:9]
	v_add_nc_u32_e32 v12, 10, v86
	v_lshl_add_u64 v[90:91], v[12:13], 3, s[10:11]
	global_load_b128 v[78:81], v[88:89], off
	global_load_b128 v[82:85], v[90:91], off
	v_add_nc_u32_e32 v12, -4, v10
	s_wait_loadcnt 0xf
	v_fmac_f64_e32 v[0:1], v[18:19], v[22:23]
	v_fmac_f64_e32 v[8:9], v[20:21], v[22:23]
	s_delay_alu instid0(VALU_DEP_3)
	v_lshl_add_u64 v[18:19], v[12:13], 3, s[8:9]
	v_add_nc_u32_e32 v12, -2, v10
	global_load_b128 v[18:21], v[18:19], off
	s_wait_xcnt 0x2
	v_lshl_add_u64 v[88:89], v[12:13], 3, s[8:9]
	v_add_nc_u32_e32 v12, 12, v86
	s_delay_alu instid0(VALU_DEP_1)
	v_lshl_add_u64 v[86:87], v[12:13], 3, s[10:11]
	s_wait_loadcnt 0xf
	v_fmac_f64_e32 v[0:1], v[26:27], v[24:25]
	v_fmac_f64_e32 v[8:9], v[28:29], v[24:25]
	global_load_b128 v[22:25], v[88:89], off
	global_load_b128 v[26:29], v[86:87], off
	s_wait_loadcnt 0xf
	v_fmac_f64_e32 v[0:1], v[30:31], v[34:35]
	v_fmac_f64_e32 v[8:9], v[32:33], v[34:35]
	v_lshl_add_u64 v[30:31], v[10:11], 3, s[8:9]
	v_add_nc_u32_e32 v10, 0x70, v10
	global_load_b128 v[30:33], v[30:31], off
	s_wait_loadcnt 0xf
	v_fmac_f64_e32 v[0:1], v[38:39], v[36:37]
	v_fmac_f64_e32 v[8:9], v[40:41], v[36:37]
	s_wait_loadcnt 0xd
	s_delay_alu instid0(VALU_DEP_2) | instskip(NEXT) | instid1(VALU_DEP_2)
	v_fmac_f64_e32 v[0:1], v[42:43], v[46:47]
	v_fmac_f64_e32 v[8:9], v[44:45], v[46:47]
	s_wait_loadcnt 0xc
	s_delay_alu instid0(VALU_DEP_2) | instskip(NEXT) | instid1(VALU_DEP_2)
	v_fmac_f64_e32 v[0:1], v[50:51], v[48:49]
	v_fmac_f64_e32 v[8:9], v[52:53], v[48:49]
	s_wait_loadcnt 0xa
	s_delay_alu instid0(VALU_DEP_2) | instskip(NEXT) | instid1(VALU_DEP_2)
	v_fmac_f64_e32 v[0:1], v[54:55], v[58:59]
	v_fmac_f64_e32 v[8:9], v[56:57], v[58:59]
	s_wait_loadcnt 0x9
	s_delay_alu instid0(VALU_DEP_2) | instskip(NEXT) | instid1(VALU_DEP_2)
	v_fmac_f64_e32 v[0:1], v[62:63], v[60:61]
	v_fmac_f64_e32 v[8:9], v[64:65], v[60:61]
	s_wait_loadcnt 0x7
	s_delay_alu instid0(VALU_DEP_2) | instskip(NEXT) | instid1(VALU_DEP_2)
	v_fmac_f64_e32 v[0:1], v[66:67], v[70:71]
	v_fmac_f64_e32 v[8:9], v[68:69], v[70:71]
	s_wait_loadcnt 0x6
	s_delay_alu instid0(VALU_DEP_2) | instskip(NEXT) | instid1(VALU_DEP_2)
	v_fmac_f64_e32 v[0:1], v[74:75], v[72:73]
	v_fmac_f64_e32 v[8:9], v[76:77], v[72:73]
	s_wait_loadcnt 0x4
	s_delay_alu instid0(VALU_DEP_2) | instskip(NEXT) | instid1(VALU_DEP_2)
	v_fmac_f64_e32 v[0:1], v[78:79], v[82:83]
	v_fmac_f64_e32 v[8:9], v[80:81], v[82:83]
	s_wait_loadcnt 0x3
	s_delay_alu instid0(VALU_DEP_2) | instskip(NEXT) | instid1(VALU_DEP_2)
	v_fmac_f64_e32 v[0:1], v[18:19], v[84:85]
	v_fmac_f64_e32 v[8:9], v[20:21], v[84:85]
	s_wait_loadcnt 0x1
	s_delay_alu instid0(VALU_DEP_2) | instskip(NEXT) | instid1(VALU_DEP_2)
	v_fmac_f64_e32 v[0:1], v[22:23], v[26:27]
	v_fmac_f64_e32 v[8:9], v[24:25], v[26:27]
	s_wait_loadcnt 0x0
	s_delay_alu instid0(VALU_DEP_2) | instskip(NEXT) | instid1(VALU_DEP_2)
	v_fmac_f64_e32 v[0:1], v[30:31], v[28:29]
	v_fmac_f64_e32 v[8:9], v[32:33], v[28:29]
	s_and_not1_b32 exec_lo, exec_lo, s4
	s_cbranch_execnz .LBB136_9
; %bb.10:
	s_or_b32 exec_lo, exec_lo, s4
.LBB136_11:
	s_delay_alu instid0(SALU_CYCLE_1)
	s_or_b32 exec_lo, exec_lo, s3
	s_cbranch_execz .LBB136_13
	s_branch .LBB136_18
.LBB136_12:
                                        ; implicit-def: $vgpr0_vgpr1
                                        ; implicit-def: $vgpr8_vgpr9
.LBB136_13:
	v_mov_b64_e32 v[0:1], 0
	v_mov_b64_e32 v[8:9], 0
	s_and_saveexec_b32 s3, s2
	s_cbranch_execz .LBB136_17
; %bb.14:
	v_mad_u32 v12, v15, 28, 27
	v_mov_b64_e32 v[0:1], 0
	v_mov_b64_e32 v[8:9], 0
	v_mov_b32_e32 v11, 0
	s_mov_b32 s2, 0
.LBB136_15:                             ; =>This Inner Loop Header: Depth=1
	global_load_b32 v13, v15, s[6:7] scale_offset
	v_subrev_nc_u32_e32 v10, 27, v12
	v_dual_mov_b32 v45, v11 :: v_dual_add_nc_u32 v20, -13, v12
	s_wait_xcnt 0x0
	v_dual_add_nc_u32 v38, -9, v12 :: v_dual_add_nc_u32 v15, 4, v15
	s_delay_alu instid0(VALU_DEP_3)
	v_lshl_add_u64 v[28:29], v[10:11], 3, s[8:9]
	s_clause 0x1
	global_load_b128 v[16:19], v[28:29], off
	global_load_b64 v[46:47], v20, s[8:9] scale_offset
	v_add_nc_u32_e32 v42, -7, v12
	v_cmp_ge_i32_e32 vcc_lo, v15, v14
	v_add_nc_u32_e32 v82, -3, v12
	s_or_b32 s2, vcc_lo, s2
	s_wait_loadcnt 0x2
	v_subrev_nc_u32_e32 v10, s12, v13
	v_subrev_nc_u32_e32 v13, 23, v12
	s_delay_alu instid0(VALU_DEP_2)
	v_mul_lo_u32 v44, v10, 14
	v_add_nc_u32_e32 v10, -12, v12
	global_load_b64 v[48:49], v10, s[8:9] scale_offset
	s_wait_xcnt 0x0
	v_add_nc_u32_e32 v10, -11, v12
	v_lshl_add_u64 v[20:21], v[44:45], 3, s[10:11]
	v_add_nc_u32_e32 v45, -5, v12
	global_load_b128 v[20:23], v[20:21], off
	s_clause 0x1
	global_load_b64 v[50:51], v10, s[8:9] scale_offset
	global_load_b128 v[24:27], v[28:29], off offset:16
	s_wait_xcnt 0x1
	v_add_nc_u32_e32 v10, 2, v44
	s_wait_xcnt 0x0
	s_delay_alu instid0(VALU_DEP_1)
	v_lshl_add_u64 v[28:29], v[10:11], 3, s[10:11]
	v_add_nc_u32_e32 v10, -10, v12
	global_load_b128 v[28:31], v[28:29], off
	global_load_b64 v[52:53], v10, s[8:9] scale_offset
	s_wait_xcnt 0x0
	v_add_nc_u32_e32 v10, 4, v44
	s_delay_alu instid0(VALU_DEP_1)
	v_lshl_add_u64 v[36:37], v[10:11], 3, s[10:11]
	s_clause 0x1
	global_load_b64 v[54:55], v13, s[8:9] scale_offset
	global_load_b64 v[56:57], v38, s[8:9] scale_offset
	global_load_b128 v[32:35], v[36:37], off
	v_subrev_nc_u32_e32 v10, 22, v12
	s_wait_xcnt 0x2
	v_add_nc_u32_e32 v13, -8, v12
	s_clause 0x1
	global_load_b64 v[58:59], v10, s[8:9] scale_offset
	global_load_b64 v[60:61], v13, s[8:9] scale_offset
	s_wait_xcnt 0x1
	v_add_nc_u32_e32 v10, 6, v44
	s_wait_xcnt 0x0
	v_subrev_nc_u32_e32 v13, 21, v12
	s_delay_alu instid0(VALU_DEP_2)
	v_lshl_add_u64 v[40:41], v[10:11], 3, s[10:11]
	s_clause 0x1
	global_load_b64 v[62:63], v13, s[8:9] scale_offset
	global_load_b64 v[64:65], v42, s[8:9] scale_offset
	global_load_b128 v[36:39], v[40:41], off
	v_subrev_nc_u32_e32 v10, 20, v12
	s_wait_xcnt 0x2
	v_add_nc_u32_e32 v13, -6, v12
	s_clause 0x1
	global_load_b64 v[66:67], v10, s[8:9] scale_offset
	global_load_b64 v[68:69], v13, s[8:9] scale_offset
	s_wait_xcnt 0x1
	v_add_nc_u32_e32 v10, 8, v44
	s_wait_xcnt 0x0
	v_subrev_nc_u32_e32 v13, 19, v12
	s_delay_alu instid0(VALU_DEP_2)
	v_lshl_add_u64 v[70:71], v[10:11], 3, s[10:11]
	s_clause 0x1
	global_load_b64 v[72:73], v13, s[8:9] scale_offset
	global_load_b64 v[74:75], v45, s[8:9] scale_offset
	global_load_b128 v[40:43], v[70:71], off
	v_subrev_nc_u32_e32 v10, 18, v12
	s_wait_xcnt 0x2
	v_add_nc_u32_e32 v13, -4, v12
	s_wait_xcnt 0x1
	v_subrev_nc_u32_e32 v45, 17, v12
	s_clause 0x3
	global_load_b64 v[70:71], v10, s[8:9] scale_offset
	global_load_b64 v[76:77], v13, s[8:9] scale_offset
	;; [unrolled: 1-line block ×4, first 2 shown]
	s_wait_xcnt 0x3
	v_add_nc_u32_e32 v10, 10, v44
	s_wait_xcnt 0x2
	v_add_nc_u32_e32 v13, -2, v12
	s_wait_loadcnt 0x15
	v_fmac_f64_e32 v[0:1], v[16:17], v[20:21]
	v_lshl_add_u64 v[16:17], v[10:11], 3, s[10:11]
	v_fmac_f64_e32 v[8:9], v[46:47], v[20:21]
	v_add_nc_u32_e32 v10, -16, v12
	global_load_b64 v[46:47], v10, s[8:9] scale_offset
	v_fmac_f64_e32 v[0:1], v[18:19], v[22:23]
	global_load_b128 v[16:19], v[16:17], off
	v_fmac_f64_e32 v[8:9], v[48:49], v[22:23]
	global_load_b64 v[48:49], v13, s[8:9] scale_offset
	s_wait_xcnt 0x0
	v_dual_add_nc_u32 v10, -15, v12 :: v_dual_add_nc_u32 v13, -1, v12
	s_clause 0x1
	global_load_b64 v[82:83], v10, s[8:9] scale_offset
	global_load_b64 v[84:85], v13, s[8:9] scale_offset
	s_wait_xcnt 0x1
	v_add_nc_u32_e32 v10, 12, v44
	s_delay_alu instid0(VALU_DEP_1)
	v_lshl_add_u64 v[20:21], v[10:11], 3, s[10:11]
	v_add_nc_u32_e32 v10, -14, v12
	global_load_b128 v[20:23], v[20:21], off
	s_wait_loadcnt 0x18
	v_fmac_f64_e32 v[0:1], v[24:25], v[28:29]
	v_fmac_f64_e32 v[8:9], v[50:51], v[28:29]
	s_delay_alu instid0(VALU_DEP_2)
	v_fmac_f64_e32 v[0:1], v[26:27], v[30:31]
	s_clause 0x1
	global_load_b64 v[24:25], v10, s[8:9] scale_offset
	global_load_b64 v[26:27], v12, s[8:9] scale_offset
	s_wait_loadcnt 0x19
	v_fmac_f64_e32 v[8:9], v[52:53], v[30:31]
	s_wait_xcnt 0x0
	v_add_nc_u32_e32 v12, 0x70, v12
	s_wait_loadcnt 0x16
	v_fmac_f64_e32 v[0:1], v[54:55], v[32:33]
	s_delay_alu instid0(VALU_DEP_3) | instskip(SKIP_1) | instid1(VALU_DEP_2)
	v_fmac_f64_e32 v[8:9], v[56:57], v[32:33]
	s_wait_loadcnt 0x15
	v_fmac_f64_e32 v[0:1], v[58:59], v[34:35]
	s_wait_loadcnt 0x14
	s_delay_alu instid0(VALU_DEP_2) | instskip(SKIP_1) | instid1(VALU_DEP_2)
	v_fmac_f64_e32 v[8:9], v[60:61], v[34:35]
	s_wait_loadcnt 0x11
	v_fmac_f64_e32 v[0:1], v[62:63], v[36:37]
	s_delay_alu instid0(VALU_DEP_2) | instskip(SKIP_1) | instid1(VALU_DEP_2)
	v_fmac_f64_e32 v[8:9], v[64:65], v[36:37]
	s_wait_loadcnt 0x10
	v_fmac_f64_e32 v[0:1], v[66:67], v[38:39]
	s_wait_loadcnt 0xf
	s_delay_alu instid0(VALU_DEP_2) | instskip(SKIP_1) | instid1(VALU_DEP_2)
	v_fmac_f64_e32 v[8:9], v[68:69], v[38:39]
	s_wait_loadcnt 0xc
	v_fmac_f64_e32 v[0:1], v[72:73], v[40:41]
	s_delay_alu instid0(VALU_DEP_2) | instskip(SKIP_1) | instid1(VALU_DEP_2)
	v_fmac_f64_e32 v[8:9], v[74:75], v[40:41]
	s_wait_loadcnt 0xb
	v_fmac_f64_e32 v[0:1], v[70:71], v[42:43]
	s_wait_loadcnt 0xa
	s_delay_alu instid0(VALU_DEP_2) | instskip(SKIP_1) | instid1(VALU_DEP_2)
	v_fmac_f64_e32 v[8:9], v[76:77], v[42:43]
	s_wait_loadcnt 0x6
	v_fmac_f64_e32 v[0:1], v[78:79], v[16:17]
	s_delay_alu instid0(VALU_DEP_2) | instskip(NEXT) | instid1(VALU_DEP_2)
	v_fmac_f64_e32 v[8:9], v[80:81], v[16:17]
	v_fmac_f64_e32 v[0:1], v[46:47], v[18:19]
	s_wait_loadcnt 0x5
	s_delay_alu instid0(VALU_DEP_2) | instskip(SKIP_1) | instid1(VALU_DEP_2)
	v_fmac_f64_e32 v[8:9], v[48:49], v[18:19]
	s_wait_loadcnt 0x2
	v_fmac_f64_e32 v[0:1], v[82:83], v[20:21]
	s_delay_alu instid0(VALU_DEP_2) | instskip(SKIP_1) | instid1(VALU_DEP_2)
	v_fmac_f64_e32 v[8:9], v[84:85], v[20:21]
	s_wait_loadcnt 0x1
	v_fmac_f64_e32 v[0:1], v[24:25], v[22:23]
	s_wait_loadcnt 0x0
	s_delay_alu instid0(VALU_DEP_2)
	v_fmac_f64_e32 v[8:9], v[26:27], v[22:23]
	s_and_not1_b32 exec_lo, exec_lo, s2
	s_cbranch_execnz .LBB136_15
; %bb.16:
	s_or_b32 exec_lo, exec_lo, s2
.LBB136_17:
	s_delay_alu instid0(SALU_CYCLE_1)
	s_or_b32 exec_lo, exec_lo, s3
.LBB136_18:
	v_mbcnt_lo_u32_b32 v14, -1, 0
	s_delay_alu instid0(VALU_DEP_1) | instskip(NEXT) | instid1(VALU_DEP_1)
	v_xor_b32_e32 v10, 2, v14
	v_cmp_gt_i32_e32 vcc_lo, 32, v10
	v_cndmask_b32_e32 v10, v14, v10, vcc_lo
	s_delay_alu instid0(VALU_DEP_1)
	v_lshlrev_b32_e32 v13, 2, v10
	ds_bpermute_b32 v10, v13, v0
	ds_bpermute_b32 v11, v13, v1
	;; [unrolled: 1-line block ×4, first 2 shown]
	s_wait_dscnt 0x2
	v_add_f64_e32 v[0:1], v[0:1], v[10:11]
	s_wait_dscnt 0x0
	v_dual_add_f64 v[10:11], v[8:9], v[12:13] :: v_dual_bitop2_b32 v8, 1, v14 bitop3:0x14
	s_delay_alu instid0(VALU_DEP_1) | instskip(SKIP_2) | instid1(VALU_DEP_2)
	v_cmp_gt_i32_e32 vcc_lo, 32, v8
	v_cndmask_b32_e32 v8, v14, v8, vcc_lo
	v_cmp_eq_u32_e32 vcc_lo, 3, v7
	v_lshlrev_b32_e32 v13, 2, v8
	ds_bpermute_b32 v8, v13, v0
	ds_bpermute_b32 v9, v13, v1
	ds_bpermute_b32 v12, v13, v10
	ds_bpermute_b32 v13, v13, v11
	s_and_b32 exec_lo, exec_lo, vcc_lo
	s_cbranch_execz .LBB136_23
; %bb.19:
	s_wait_dscnt 0x2
	v_add_f64_e32 v[8:9], v[0:1], v[8:9]
	s_wait_dscnt 0x0
	v_add_f64_e32 v[0:1], v[10:11], v[12:13]
	s_load_b64 s[0:1], s[0:1], 0x38
	s_mov_b32 s2, exec_lo
	v_cmpx_eq_f64_e32 0, v[4:5]
	s_xor_b32 s2, exec_lo, s2
	s_cbranch_execz .LBB136_21
; %bb.20:
	s_delay_alu instid0(VALU_DEP_3) | instskip(NEXT) | instid1(VALU_DEP_3)
	v_mul_f64_e32 v[8:9], v[2:3], v[8:9]
	v_dual_mul_f64 v[10:11], v[2:3], v[0:1] :: v_dual_lshlrev_b32 v0, 1, v6
                                        ; implicit-def: $vgpr6
                                        ; implicit-def: $vgpr2_vgpr3
                                        ; implicit-def: $vgpr4_vgpr5
	s_delay_alu instid0(VALU_DEP_1) | instskip(SKIP_1) | instid1(VALU_DEP_1)
	v_ashrrev_i32_e32 v1, 31, v0
	s_wait_kmcnt 0x0
	v_lshl_add_u64 v[0:1], v[0:1], 3, s[0:1]
	global_store_b128 v[0:1], v[8:11], off
                                        ; implicit-def: $vgpr8_vgpr9
                                        ; implicit-def: $vgpr0_vgpr1
.LBB136_21:
	s_wait_xcnt 0x0
	s_and_not1_saveexec_b32 s2, s2
	s_cbranch_execz .LBB136_23
; %bb.22:
	v_lshlrev_b32_e32 v6, 1, v6
	s_delay_alu instid0(VALU_DEP_1) | instskip(SKIP_1) | instid1(VALU_DEP_1)
	v_ashrrev_i32_e32 v7, 31, v6
	s_wait_kmcnt 0x0
	v_lshl_add_u64 v[14:15], v[6:7], 3, s[0:1]
	v_mul_f64_e32 v[6:7], v[2:3], v[8:9]
	v_mul_f64_e32 v[8:9], v[2:3], v[0:1]
	global_load_b128 v[10:13], v[14:15], off
	s_wait_loadcnt 0x0
	v_fmac_f64_e32 v[6:7], v[4:5], v[10:11]
	v_fmac_f64_e32 v[8:9], v[4:5], v[12:13]
	global_store_b128 v[14:15], v[6:9], off
.LBB136_23:
	s_sendmsg sendmsg(MSG_DEALLOC_VGPRS)
	s_endpgm
	.section	.rodata,"a",@progbits
	.p2align	6, 0x0
	.amdhsa_kernel _ZN9rocsparseL19gebsrmvn_2xn_kernelILj128ELj14ELj4EdEEvi20rocsparse_direction_NS_24const_host_device_scalarIT2_EEPKiS6_PKS3_S8_S4_PS3_21rocsparse_index_base_b
		.amdhsa_group_segment_fixed_size 0
		.amdhsa_private_segment_fixed_size 0
		.amdhsa_kernarg_size 72
		.amdhsa_user_sgpr_count 2
		.amdhsa_user_sgpr_dispatch_ptr 0
		.amdhsa_user_sgpr_queue_ptr 0
		.amdhsa_user_sgpr_kernarg_segment_ptr 1
		.amdhsa_user_sgpr_dispatch_id 0
		.amdhsa_user_sgpr_kernarg_preload_length 0
		.amdhsa_user_sgpr_kernarg_preload_offset 0
		.amdhsa_user_sgpr_private_segment_size 0
		.amdhsa_wavefront_size32 1
		.amdhsa_uses_dynamic_stack 0
		.amdhsa_enable_private_segment 0
		.amdhsa_system_sgpr_workgroup_id_x 1
		.amdhsa_system_sgpr_workgroup_id_y 0
		.amdhsa_system_sgpr_workgroup_id_z 0
		.amdhsa_system_sgpr_workgroup_info 0
		.amdhsa_system_vgpr_workitem_id 0
		.amdhsa_next_free_vgpr 92
		.amdhsa_next_free_sgpr 14
		.amdhsa_named_barrier_count 0
		.amdhsa_reserve_vcc 1
		.amdhsa_float_round_mode_32 0
		.amdhsa_float_round_mode_16_64 0
		.amdhsa_float_denorm_mode_32 3
		.amdhsa_float_denorm_mode_16_64 3
		.amdhsa_fp16_overflow 0
		.amdhsa_memory_ordered 1
		.amdhsa_forward_progress 1
		.amdhsa_inst_pref_size 21
		.amdhsa_round_robin_scheduling 0
		.amdhsa_exception_fp_ieee_invalid_op 0
		.amdhsa_exception_fp_denorm_src 0
		.amdhsa_exception_fp_ieee_div_zero 0
		.amdhsa_exception_fp_ieee_overflow 0
		.amdhsa_exception_fp_ieee_underflow 0
		.amdhsa_exception_fp_ieee_inexact 0
		.amdhsa_exception_int_div_zero 0
	.end_amdhsa_kernel
	.section	.text._ZN9rocsparseL19gebsrmvn_2xn_kernelILj128ELj14ELj4EdEEvi20rocsparse_direction_NS_24const_host_device_scalarIT2_EEPKiS6_PKS3_S8_S4_PS3_21rocsparse_index_base_b,"axG",@progbits,_ZN9rocsparseL19gebsrmvn_2xn_kernelILj128ELj14ELj4EdEEvi20rocsparse_direction_NS_24const_host_device_scalarIT2_EEPKiS6_PKS3_S8_S4_PS3_21rocsparse_index_base_b,comdat
.Lfunc_end136:
	.size	_ZN9rocsparseL19gebsrmvn_2xn_kernelILj128ELj14ELj4EdEEvi20rocsparse_direction_NS_24const_host_device_scalarIT2_EEPKiS6_PKS3_S8_S4_PS3_21rocsparse_index_base_b, .Lfunc_end136-_ZN9rocsparseL19gebsrmvn_2xn_kernelILj128ELj14ELj4EdEEvi20rocsparse_direction_NS_24const_host_device_scalarIT2_EEPKiS6_PKS3_S8_S4_PS3_21rocsparse_index_base_b
                                        ; -- End function
	.set _ZN9rocsparseL19gebsrmvn_2xn_kernelILj128ELj14ELj4EdEEvi20rocsparse_direction_NS_24const_host_device_scalarIT2_EEPKiS6_PKS3_S8_S4_PS3_21rocsparse_index_base_b.num_vgpr, 92
	.set _ZN9rocsparseL19gebsrmvn_2xn_kernelILj128ELj14ELj4EdEEvi20rocsparse_direction_NS_24const_host_device_scalarIT2_EEPKiS6_PKS3_S8_S4_PS3_21rocsparse_index_base_b.num_agpr, 0
	.set _ZN9rocsparseL19gebsrmvn_2xn_kernelILj128ELj14ELj4EdEEvi20rocsparse_direction_NS_24const_host_device_scalarIT2_EEPKiS6_PKS3_S8_S4_PS3_21rocsparse_index_base_b.numbered_sgpr, 14
	.set _ZN9rocsparseL19gebsrmvn_2xn_kernelILj128ELj14ELj4EdEEvi20rocsparse_direction_NS_24const_host_device_scalarIT2_EEPKiS6_PKS3_S8_S4_PS3_21rocsparse_index_base_b.num_named_barrier, 0
	.set _ZN9rocsparseL19gebsrmvn_2xn_kernelILj128ELj14ELj4EdEEvi20rocsparse_direction_NS_24const_host_device_scalarIT2_EEPKiS6_PKS3_S8_S4_PS3_21rocsparse_index_base_b.private_seg_size, 0
	.set _ZN9rocsparseL19gebsrmvn_2xn_kernelILj128ELj14ELj4EdEEvi20rocsparse_direction_NS_24const_host_device_scalarIT2_EEPKiS6_PKS3_S8_S4_PS3_21rocsparse_index_base_b.uses_vcc, 1
	.set _ZN9rocsparseL19gebsrmvn_2xn_kernelILj128ELj14ELj4EdEEvi20rocsparse_direction_NS_24const_host_device_scalarIT2_EEPKiS6_PKS3_S8_S4_PS3_21rocsparse_index_base_b.uses_flat_scratch, 0
	.set _ZN9rocsparseL19gebsrmvn_2xn_kernelILj128ELj14ELj4EdEEvi20rocsparse_direction_NS_24const_host_device_scalarIT2_EEPKiS6_PKS3_S8_S4_PS3_21rocsparse_index_base_b.has_dyn_sized_stack, 0
	.set _ZN9rocsparseL19gebsrmvn_2xn_kernelILj128ELj14ELj4EdEEvi20rocsparse_direction_NS_24const_host_device_scalarIT2_EEPKiS6_PKS3_S8_S4_PS3_21rocsparse_index_base_b.has_recursion, 0
	.set _ZN9rocsparseL19gebsrmvn_2xn_kernelILj128ELj14ELj4EdEEvi20rocsparse_direction_NS_24const_host_device_scalarIT2_EEPKiS6_PKS3_S8_S4_PS3_21rocsparse_index_base_b.has_indirect_call, 0
	.section	.AMDGPU.csdata,"",@progbits
; Kernel info:
; codeLenInByte = 2576
; TotalNumSgprs: 16
; NumVgprs: 92
; ScratchSize: 0
; MemoryBound: 1
; FloatMode: 240
; IeeeMode: 1
; LDSByteSize: 0 bytes/workgroup (compile time only)
; SGPRBlocks: 0
; VGPRBlocks: 5
; NumSGPRsForWavesPerEU: 16
; NumVGPRsForWavesPerEU: 92
; NamedBarCnt: 0
; Occupancy: 10
; WaveLimiterHint : 1
; COMPUTE_PGM_RSRC2:SCRATCH_EN: 0
; COMPUTE_PGM_RSRC2:USER_SGPR: 2
; COMPUTE_PGM_RSRC2:TRAP_HANDLER: 0
; COMPUTE_PGM_RSRC2:TGID_X_EN: 1
; COMPUTE_PGM_RSRC2:TGID_Y_EN: 0
; COMPUTE_PGM_RSRC2:TGID_Z_EN: 0
; COMPUTE_PGM_RSRC2:TIDIG_COMP_CNT: 0
	.section	.text._ZN9rocsparseL19gebsrmvn_2xn_kernelILj128ELj14ELj8EdEEvi20rocsparse_direction_NS_24const_host_device_scalarIT2_EEPKiS6_PKS3_S8_S4_PS3_21rocsparse_index_base_b,"axG",@progbits,_ZN9rocsparseL19gebsrmvn_2xn_kernelILj128ELj14ELj8EdEEvi20rocsparse_direction_NS_24const_host_device_scalarIT2_EEPKiS6_PKS3_S8_S4_PS3_21rocsparse_index_base_b,comdat
	.globl	_ZN9rocsparseL19gebsrmvn_2xn_kernelILj128ELj14ELj8EdEEvi20rocsparse_direction_NS_24const_host_device_scalarIT2_EEPKiS6_PKS3_S8_S4_PS3_21rocsparse_index_base_b ; -- Begin function _ZN9rocsparseL19gebsrmvn_2xn_kernelILj128ELj14ELj8EdEEvi20rocsparse_direction_NS_24const_host_device_scalarIT2_EEPKiS6_PKS3_S8_S4_PS3_21rocsparse_index_base_b
	.p2align	8
	.type	_ZN9rocsparseL19gebsrmvn_2xn_kernelILj128ELj14ELj8EdEEvi20rocsparse_direction_NS_24const_host_device_scalarIT2_EEPKiS6_PKS3_S8_S4_PS3_21rocsparse_index_base_b,@function
_ZN9rocsparseL19gebsrmvn_2xn_kernelILj128ELj14ELj8EdEEvi20rocsparse_direction_NS_24const_host_device_scalarIT2_EEPKiS6_PKS3_S8_S4_PS3_21rocsparse_index_base_b: ; @_ZN9rocsparseL19gebsrmvn_2xn_kernelILj128ELj14ELj8EdEEvi20rocsparse_direction_NS_24const_host_device_scalarIT2_EEPKiS6_PKS3_S8_S4_PS3_21rocsparse_index_base_b
; %bb.0:
	s_clause 0x2
	s_load_b64 s[12:13], s[0:1], 0x40
	s_load_b64 s[4:5], s[0:1], 0x8
	;; [unrolled: 1-line block ×3, first 2 shown]
	s_wait_kmcnt 0x0
	s_bitcmp1_b32 s13, 0
	v_mov_b64_e32 v[2:3], s[4:5]
	s_cselect_b32 s6, -1, 0
	s_delay_alu instid0(SALU_CYCLE_1)
	s_and_b32 vcc_lo, exec_lo, s6
	s_xor_b32 s6, s6, -1
	s_cbranch_vccnz .LBB137_2
; %bb.1:
	v_mov_b32_e32 v1, 0
	flat_load_b64 v[2:3], v1, s[4:5]
.LBB137_2:
	v_mov_b64_e32 v[4:5], s[2:3]
	s_and_not1_b32 vcc_lo, exec_lo, s6
	s_cbranch_vccnz .LBB137_4
; %bb.3:
	s_wait_xcnt 0x0
	v_mov_b32_e32 v1, 0
	flat_load_b64 v[4:5], v1, s[2:3]
.LBB137_4:
	s_wait_loadcnt_dscnt 0x0
	v_cmp_neq_f64_e32 vcc_lo, 0, v[2:3]
	s_delay_alu instid0(VALU_DEP_2) | instskip(SKIP_1) | instid1(SALU_CYCLE_1)
	v_cmp_neq_f64_e64 s2, 1.0, v[4:5]
	s_or_b32 s2, vcc_lo, s2
	s_and_saveexec_b32 s3, s2
	s_cbranch_execz .LBB137_23
; %bb.5:
	s_load_b64 s[2:3], s[0:1], 0x0
	s_bfe_u32 s4, ttmp6, 0x4000c
	s_and_b32 s5, ttmp6, 15
	s_add_co_i32 s4, s4, 1
	s_getreg_b32 s6, hwreg(HW_REG_IB_STS2, 6, 4)
	s_mul_i32 s4, ttmp9, s4
	v_lshrrev_b32_e32 v1, 3, v0
	s_add_co_i32 s5, s5, s4
	s_cmp_eq_u32 s6, 0
	s_cselect_b32 s4, ttmp9, s5
	s_delay_alu instid0(VALU_DEP_1) | instid1(SALU_CYCLE_1)
	v_lshl_or_b32 v6, s4, 4, v1
	s_wait_kmcnt 0x0
	s_delay_alu instid0(VALU_DEP_1)
	v_cmp_gt_i32_e32 vcc_lo, s2, v6
	s_and_b32 exec_lo, exec_lo, vcc_lo
	s_cbranch_execz .LBB137_23
; %bb.6:
	s_load_b256 s[4:11], s[0:1], 0x10
	v_ashrrev_i32_e32 v7, 31, v6
	s_cmp_lg_u32 s3, 0
	s_wait_kmcnt 0x0
	s_delay_alu instid0(VALU_DEP_1)
	v_lshl_add_u64 v[8:9], v[6:7], 2, s[4:5]
	v_and_b32_e32 v7, 7, v0
	global_load_b64 v[8:9], v[8:9], off
	s_wait_loadcnt 0x0
	v_subrev_nc_u32_e32 v0, s12, v8
	v_subrev_nc_u32_e32 v14, s12, v9
	s_delay_alu instid0(VALU_DEP_2) | instskip(NEXT) | instid1(VALU_DEP_1)
	v_add_nc_u32_e32 v15, v0, v7
	v_cmp_lt_i32_e64 s2, v15, v14
	s_cbranch_scc0 .LBB137_12
; %bb.7:
	v_mov_b64_e32 v[0:1], 0
	v_mov_b64_e32 v[8:9], 0
	s_and_saveexec_b32 s3, s2
	s_cbranch_execz .LBB137_11
; %bb.8:
	v_mad_u32 v10, v15, 28, 26
	v_mov_b64_e32 v[0:1], 0
	v_mov_b64_e32 v[8:9], 0
	v_dual_mov_b32 v13, 0 :: v_dual_mov_b32 v16, v15
	s_mov_b32 s4, 0
.LBB137_9:                              ; =>This Inner Loop Header: Depth=1
	global_load_b32 v11, v16, s[6:7] scale_offset
	v_subrev_nc_u32_e32 v12, 26, v10
	s_wait_xcnt 0x0
	v_add_nc_u32_e32 v16, 8, v16
	s_delay_alu instid0(VALU_DEP_2) | instskip(SKIP_1) | instid1(VALU_DEP_3)
	v_lshl_add_u64 v[30:31], v[12:13], 3, s[8:9]
	v_subrev_nc_u32_e32 v12, 22, v10
	v_cmp_ge_i32_e32 vcc_lo, v16, v14
	s_delay_alu instid0(VALU_DEP_2) | instskip(SKIP_3) | instid1(VALU_DEP_1)
	v_lshl_add_u64 v[38:39], v[12:13], 3, s[8:9]
	s_or_b32 s4, vcc_lo, s4
	s_wait_loadcnt 0x0
	v_subrev_nc_u32_e32 v11, s12, v11
	v_mul_lo_u32 v86, v11, 14
	v_dual_mov_b32 v87, v13 :: v_dual_mov_b32 v11, v13
	s_delay_alu instid0(VALU_DEP_2) | instskip(NEXT) | instid1(VALU_DEP_2)
	v_add_nc_u32_e32 v12, 2, v86
	v_lshl_add_u64 v[32:33], v[86:87], 3, s[10:11]
	global_load_b128 v[18:21], v[30:31], off
	global_load_b128 v[22:25], v[32:33], off
	global_load_b128 v[26:29], v[30:31], off offset:16
	v_lshl_add_u64 v[40:41], v[12:13], 3, s[10:11]
	global_load_b128 v[30:33], v[38:39], off
	global_load_b128 v[34:37], v[40:41], off
	v_subrev_nc_u32_e32 v12, 20, v10
	s_wait_xcnt 0x1
	s_delay_alu instid0(VALU_DEP_1) | instskip(SKIP_4) | instid1(VALU_DEP_1)
	v_lshl_add_u64 v[38:39], v[12:13], 3, s[8:9]
	v_subrev_nc_u32_e32 v12, 18, v10
	global_load_b128 v[38:41], v[38:39], off
	v_lshl_add_u64 v[50:51], v[12:13], 3, s[8:9]
	v_add_nc_u32_e32 v12, 4, v86
	v_lshl_add_u64 v[52:53], v[12:13], 3, s[10:11]
	global_load_b128 v[42:45], v[50:51], off
	global_load_b128 v[46:49], v[52:53], off
	v_add_nc_u32_e32 v12, -16, v10
	s_wait_xcnt 0x1
	s_delay_alu instid0(VALU_DEP_1) | instskip(SKIP_4) | instid1(VALU_DEP_1)
	v_lshl_add_u64 v[50:51], v[12:13], 3, s[8:9]
	v_add_nc_u32_e32 v12, -14, v10
	global_load_b128 v[50:53], v[50:51], off
	v_lshl_add_u64 v[62:63], v[12:13], 3, s[8:9]
	v_add_nc_u32_e32 v12, 6, v86
	v_lshl_add_u64 v[64:65], v[12:13], 3, s[10:11]
	global_load_b128 v[54:57], v[62:63], off
	global_load_b128 v[58:61], v[64:65], off
	v_add_nc_u32_e32 v12, -12, v10
	s_wait_xcnt 0x1
	s_delay_alu instid0(VALU_DEP_1) | instskip(SKIP_4) | instid1(VALU_DEP_1)
	v_lshl_add_u64 v[62:63], v[12:13], 3, s[8:9]
	v_add_nc_u32_e32 v12, -10, v10
	;; [unrolled: 11-line block ×3, first 2 shown]
	global_load_b128 v[74:77], v[74:75], off
	v_lshl_add_u64 v[88:89], v[12:13], 3, s[8:9]
	v_add_nc_u32_e32 v12, 10, v86
	v_lshl_add_u64 v[90:91], v[12:13], 3, s[10:11]
	global_load_b128 v[78:81], v[88:89], off
	global_load_b128 v[82:85], v[90:91], off
	v_add_nc_u32_e32 v12, -4, v10
	s_wait_loadcnt 0xf
	v_fmac_f64_e32 v[0:1], v[18:19], v[22:23]
	v_fmac_f64_e32 v[8:9], v[20:21], v[22:23]
	s_delay_alu instid0(VALU_DEP_3)
	v_lshl_add_u64 v[18:19], v[12:13], 3, s[8:9]
	v_add_nc_u32_e32 v12, -2, v10
	global_load_b128 v[18:21], v[18:19], off
	s_wait_xcnt 0x2
	v_lshl_add_u64 v[88:89], v[12:13], 3, s[8:9]
	v_add_nc_u32_e32 v12, 12, v86
	s_delay_alu instid0(VALU_DEP_1)
	v_lshl_add_u64 v[86:87], v[12:13], 3, s[10:11]
	s_wait_loadcnt 0xf
	v_fmac_f64_e32 v[0:1], v[26:27], v[24:25]
	v_fmac_f64_e32 v[8:9], v[28:29], v[24:25]
	global_load_b128 v[22:25], v[88:89], off
	global_load_b128 v[26:29], v[86:87], off
	s_wait_loadcnt 0xf
	v_fmac_f64_e32 v[0:1], v[30:31], v[34:35]
	v_fmac_f64_e32 v[8:9], v[32:33], v[34:35]
	v_lshl_add_u64 v[30:31], v[10:11], 3, s[8:9]
	v_add_nc_u32_e32 v10, 0xe0, v10
	global_load_b128 v[30:33], v[30:31], off
	s_wait_loadcnt 0xf
	v_fmac_f64_e32 v[0:1], v[38:39], v[36:37]
	v_fmac_f64_e32 v[8:9], v[40:41], v[36:37]
	s_wait_loadcnt 0xd
	s_delay_alu instid0(VALU_DEP_2) | instskip(NEXT) | instid1(VALU_DEP_2)
	v_fmac_f64_e32 v[0:1], v[42:43], v[46:47]
	v_fmac_f64_e32 v[8:9], v[44:45], v[46:47]
	s_wait_loadcnt 0xc
	s_delay_alu instid0(VALU_DEP_2) | instskip(NEXT) | instid1(VALU_DEP_2)
	;; [unrolled: 4-line block ×10, first 2 shown]
	v_fmac_f64_e32 v[0:1], v[30:31], v[28:29]
	v_fmac_f64_e32 v[8:9], v[32:33], v[28:29]
	s_and_not1_b32 exec_lo, exec_lo, s4
	s_cbranch_execnz .LBB137_9
; %bb.10:
	s_or_b32 exec_lo, exec_lo, s4
.LBB137_11:
	s_delay_alu instid0(SALU_CYCLE_1)
	s_or_b32 exec_lo, exec_lo, s3
	s_cbranch_execz .LBB137_13
	s_branch .LBB137_18
.LBB137_12:
                                        ; implicit-def: $vgpr0_vgpr1
                                        ; implicit-def: $vgpr8_vgpr9
.LBB137_13:
	v_mov_b64_e32 v[0:1], 0
	v_mov_b64_e32 v[8:9], 0
	s_and_saveexec_b32 s3, s2
	s_cbranch_execz .LBB137_17
; %bb.14:
	v_mad_u32 v12, v15, 28, 27
	v_mov_b64_e32 v[0:1], 0
	v_mov_b64_e32 v[8:9], 0
	v_mov_b32_e32 v11, 0
	s_mov_b32 s2, 0
.LBB137_15:                             ; =>This Inner Loop Header: Depth=1
	global_load_b32 v13, v15, s[6:7] scale_offset
	v_subrev_nc_u32_e32 v10, 27, v12
	v_dual_mov_b32 v45, v11 :: v_dual_add_nc_u32 v20, -13, v12
	s_wait_xcnt 0x0
	v_dual_add_nc_u32 v38, -9, v12 :: v_dual_add_nc_u32 v15, 8, v15
	s_delay_alu instid0(VALU_DEP_3)
	v_lshl_add_u64 v[28:29], v[10:11], 3, s[8:9]
	s_clause 0x1
	global_load_b128 v[16:19], v[28:29], off
	global_load_b64 v[46:47], v20, s[8:9] scale_offset
	v_add_nc_u32_e32 v42, -7, v12
	v_cmp_ge_i32_e32 vcc_lo, v15, v14
	v_add_nc_u32_e32 v82, -3, v12
	s_or_b32 s2, vcc_lo, s2
	s_wait_loadcnt 0x2
	v_subrev_nc_u32_e32 v10, s12, v13
	v_subrev_nc_u32_e32 v13, 23, v12
	s_delay_alu instid0(VALU_DEP_2)
	v_mul_lo_u32 v44, v10, 14
	v_add_nc_u32_e32 v10, -12, v12
	global_load_b64 v[48:49], v10, s[8:9] scale_offset
	s_wait_xcnt 0x0
	v_add_nc_u32_e32 v10, -11, v12
	v_lshl_add_u64 v[20:21], v[44:45], 3, s[10:11]
	v_add_nc_u32_e32 v45, -5, v12
	global_load_b128 v[20:23], v[20:21], off
	s_clause 0x1
	global_load_b64 v[50:51], v10, s[8:9] scale_offset
	global_load_b128 v[24:27], v[28:29], off offset:16
	s_wait_xcnt 0x1
	v_add_nc_u32_e32 v10, 2, v44
	s_wait_xcnt 0x0
	s_delay_alu instid0(VALU_DEP_1)
	v_lshl_add_u64 v[28:29], v[10:11], 3, s[10:11]
	v_add_nc_u32_e32 v10, -10, v12
	global_load_b128 v[28:31], v[28:29], off
	global_load_b64 v[52:53], v10, s[8:9] scale_offset
	s_wait_xcnt 0x0
	v_add_nc_u32_e32 v10, 4, v44
	s_delay_alu instid0(VALU_DEP_1)
	v_lshl_add_u64 v[36:37], v[10:11], 3, s[10:11]
	s_clause 0x1
	global_load_b64 v[54:55], v13, s[8:9] scale_offset
	global_load_b64 v[56:57], v38, s[8:9] scale_offset
	global_load_b128 v[32:35], v[36:37], off
	v_subrev_nc_u32_e32 v10, 22, v12
	s_wait_xcnt 0x2
	v_add_nc_u32_e32 v13, -8, v12
	s_clause 0x1
	global_load_b64 v[58:59], v10, s[8:9] scale_offset
	global_load_b64 v[60:61], v13, s[8:9] scale_offset
	s_wait_xcnt 0x1
	v_add_nc_u32_e32 v10, 6, v44
	s_wait_xcnt 0x0
	v_subrev_nc_u32_e32 v13, 21, v12
	s_delay_alu instid0(VALU_DEP_2)
	v_lshl_add_u64 v[40:41], v[10:11], 3, s[10:11]
	s_clause 0x1
	global_load_b64 v[62:63], v13, s[8:9] scale_offset
	global_load_b64 v[64:65], v42, s[8:9] scale_offset
	global_load_b128 v[36:39], v[40:41], off
	v_subrev_nc_u32_e32 v10, 20, v12
	s_wait_xcnt 0x2
	v_add_nc_u32_e32 v13, -6, v12
	s_clause 0x1
	global_load_b64 v[66:67], v10, s[8:9] scale_offset
	global_load_b64 v[68:69], v13, s[8:9] scale_offset
	s_wait_xcnt 0x1
	v_add_nc_u32_e32 v10, 8, v44
	s_wait_xcnt 0x0
	v_subrev_nc_u32_e32 v13, 19, v12
	s_delay_alu instid0(VALU_DEP_2)
	v_lshl_add_u64 v[70:71], v[10:11], 3, s[10:11]
	s_clause 0x1
	global_load_b64 v[72:73], v13, s[8:9] scale_offset
	global_load_b64 v[74:75], v45, s[8:9] scale_offset
	global_load_b128 v[40:43], v[70:71], off
	v_subrev_nc_u32_e32 v10, 18, v12
	s_wait_xcnt 0x2
	v_add_nc_u32_e32 v13, -4, v12
	s_wait_xcnt 0x1
	v_subrev_nc_u32_e32 v45, 17, v12
	s_clause 0x3
	global_load_b64 v[70:71], v10, s[8:9] scale_offset
	global_load_b64 v[76:77], v13, s[8:9] scale_offset
	global_load_b64 v[78:79], v45, s[8:9] scale_offset
	global_load_b64 v[80:81], v82, s[8:9] scale_offset
	s_wait_xcnt 0x3
	v_add_nc_u32_e32 v10, 10, v44
	s_wait_xcnt 0x2
	v_add_nc_u32_e32 v13, -2, v12
	s_wait_loadcnt 0x15
	v_fmac_f64_e32 v[0:1], v[16:17], v[20:21]
	v_lshl_add_u64 v[16:17], v[10:11], 3, s[10:11]
	v_fmac_f64_e32 v[8:9], v[46:47], v[20:21]
	v_add_nc_u32_e32 v10, -16, v12
	global_load_b64 v[46:47], v10, s[8:9] scale_offset
	v_fmac_f64_e32 v[0:1], v[18:19], v[22:23]
	global_load_b128 v[16:19], v[16:17], off
	v_fmac_f64_e32 v[8:9], v[48:49], v[22:23]
	global_load_b64 v[48:49], v13, s[8:9] scale_offset
	s_wait_xcnt 0x0
	v_dual_add_nc_u32 v10, -15, v12 :: v_dual_add_nc_u32 v13, -1, v12
	s_clause 0x1
	global_load_b64 v[82:83], v10, s[8:9] scale_offset
	global_load_b64 v[84:85], v13, s[8:9] scale_offset
	s_wait_xcnt 0x1
	v_add_nc_u32_e32 v10, 12, v44
	s_delay_alu instid0(VALU_DEP_1)
	v_lshl_add_u64 v[20:21], v[10:11], 3, s[10:11]
	v_add_nc_u32_e32 v10, -14, v12
	global_load_b128 v[20:23], v[20:21], off
	s_wait_loadcnt 0x18
	v_fmac_f64_e32 v[0:1], v[24:25], v[28:29]
	v_fmac_f64_e32 v[8:9], v[50:51], v[28:29]
	s_delay_alu instid0(VALU_DEP_2)
	v_fmac_f64_e32 v[0:1], v[26:27], v[30:31]
	s_clause 0x1
	global_load_b64 v[24:25], v10, s[8:9] scale_offset
	global_load_b64 v[26:27], v12, s[8:9] scale_offset
	s_wait_loadcnt 0x19
	v_fmac_f64_e32 v[8:9], v[52:53], v[30:31]
	s_wait_xcnt 0x0
	v_add_nc_u32_e32 v12, 0xe0, v12
	s_wait_loadcnt 0x16
	v_fmac_f64_e32 v[0:1], v[54:55], v[32:33]
	s_delay_alu instid0(VALU_DEP_3) | instskip(SKIP_1) | instid1(VALU_DEP_2)
	v_fmac_f64_e32 v[8:9], v[56:57], v[32:33]
	s_wait_loadcnt 0x15
	v_fmac_f64_e32 v[0:1], v[58:59], v[34:35]
	s_wait_loadcnt 0x14
	s_delay_alu instid0(VALU_DEP_2) | instskip(SKIP_1) | instid1(VALU_DEP_2)
	v_fmac_f64_e32 v[8:9], v[60:61], v[34:35]
	s_wait_loadcnt 0x11
	v_fmac_f64_e32 v[0:1], v[62:63], v[36:37]
	s_delay_alu instid0(VALU_DEP_2) | instskip(SKIP_1) | instid1(VALU_DEP_2)
	v_fmac_f64_e32 v[8:9], v[64:65], v[36:37]
	s_wait_loadcnt 0x10
	v_fmac_f64_e32 v[0:1], v[66:67], v[38:39]
	s_wait_loadcnt 0xf
	s_delay_alu instid0(VALU_DEP_2) | instskip(SKIP_1) | instid1(VALU_DEP_2)
	v_fmac_f64_e32 v[8:9], v[68:69], v[38:39]
	s_wait_loadcnt 0xc
	v_fmac_f64_e32 v[0:1], v[72:73], v[40:41]
	s_delay_alu instid0(VALU_DEP_2) | instskip(SKIP_1) | instid1(VALU_DEP_2)
	v_fmac_f64_e32 v[8:9], v[74:75], v[40:41]
	s_wait_loadcnt 0xb
	v_fmac_f64_e32 v[0:1], v[70:71], v[42:43]
	s_wait_loadcnt 0xa
	s_delay_alu instid0(VALU_DEP_2) | instskip(SKIP_1) | instid1(VALU_DEP_2)
	v_fmac_f64_e32 v[8:9], v[76:77], v[42:43]
	s_wait_loadcnt 0x6
	v_fmac_f64_e32 v[0:1], v[78:79], v[16:17]
	s_delay_alu instid0(VALU_DEP_2) | instskip(NEXT) | instid1(VALU_DEP_2)
	v_fmac_f64_e32 v[8:9], v[80:81], v[16:17]
	v_fmac_f64_e32 v[0:1], v[46:47], v[18:19]
	s_wait_loadcnt 0x5
	s_delay_alu instid0(VALU_DEP_2) | instskip(SKIP_1) | instid1(VALU_DEP_2)
	v_fmac_f64_e32 v[8:9], v[48:49], v[18:19]
	s_wait_loadcnt 0x2
	v_fmac_f64_e32 v[0:1], v[82:83], v[20:21]
	s_delay_alu instid0(VALU_DEP_2) | instskip(SKIP_1) | instid1(VALU_DEP_2)
	v_fmac_f64_e32 v[8:9], v[84:85], v[20:21]
	s_wait_loadcnt 0x1
	v_fmac_f64_e32 v[0:1], v[24:25], v[22:23]
	s_wait_loadcnt 0x0
	s_delay_alu instid0(VALU_DEP_2)
	v_fmac_f64_e32 v[8:9], v[26:27], v[22:23]
	s_and_not1_b32 exec_lo, exec_lo, s2
	s_cbranch_execnz .LBB137_15
; %bb.16:
	s_or_b32 exec_lo, exec_lo, s2
.LBB137_17:
	s_delay_alu instid0(SALU_CYCLE_1)
	s_or_b32 exec_lo, exec_lo, s3
.LBB137_18:
	v_mbcnt_lo_u32_b32 v14, -1, 0
	s_delay_alu instid0(VALU_DEP_1) | instskip(NEXT) | instid1(VALU_DEP_1)
	v_xor_b32_e32 v10, 4, v14
	v_cmp_gt_i32_e32 vcc_lo, 32, v10
	v_cndmask_b32_e32 v10, v14, v10, vcc_lo
	s_delay_alu instid0(VALU_DEP_1)
	v_lshlrev_b32_e32 v13, 2, v10
	ds_bpermute_b32 v10, v13, v0
	ds_bpermute_b32 v11, v13, v1
	s_wait_dscnt 0x0
	v_add_f64_e32 v[0:1], v[0:1], v[10:11]
	v_xor_b32_e32 v10, 2, v14
	s_delay_alu instid0(VALU_DEP_1)
	v_cmp_gt_i32_e32 vcc_lo, 32, v10
	v_cndmask_b32_e32 v10, v14, v10, vcc_lo
	ds_bpermute_b32 v12, v13, v8
	ds_bpermute_b32 v13, v13, v9
	s_wait_dscnt 0x0
	v_dual_add_f64 v[8:9], v[8:9], v[12:13] :: v_dual_lshlrev_b32 v13, 2, v10
	ds_bpermute_b32 v10, v13, v0
	ds_bpermute_b32 v11, v13, v1
	s_wait_dscnt 0x0
	v_add_f64_e32 v[0:1], v[0:1], v[10:11]
	ds_bpermute_b32 v12, v13, v8
	ds_bpermute_b32 v13, v13, v9
	s_wait_dscnt 0x0
	v_dual_add_f64 v[10:11], v[8:9], v[12:13] :: v_dual_bitop2_b32 v8, 1, v14 bitop3:0x14
	s_delay_alu instid0(VALU_DEP_1) | instskip(SKIP_2) | instid1(VALU_DEP_2)
	v_cmp_gt_i32_e32 vcc_lo, 32, v8
	v_cndmask_b32_e32 v8, v14, v8, vcc_lo
	v_cmp_eq_u32_e32 vcc_lo, 7, v7
	v_lshlrev_b32_e32 v13, 2, v8
	ds_bpermute_b32 v8, v13, v0
	ds_bpermute_b32 v9, v13, v1
	;; [unrolled: 1-line block ×4, first 2 shown]
	s_and_b32 exec_lo, exec_lo, vcc_lo
	s_cbranch_execz .LBB137_23
; %bb.19:
	s_wait_dscnt 0x2
	v_add_f64_e32 v[8:9], v[0:1], v[8:9]
	s_wait_dscnt 0x0
	v_add_f64_e32 v[0:1], v[10:11], v[12:13]
	s_load_b64 s[0:1], s[0:1], 0x38
	s_mov_b32 s2, exec_lo
	v_cmpx_eq_f64_e32 0, v[4:5]
	s_xor_b32 s2, exec_lo, s2
	s_cbranch_execz .LBB137_21
; %bb.20:
	s_delay_alu instid0(VALU_DEP_3) | instskip(NEXT) | instid1(VALU_DEP_3)
	v_mul_f64_e32 v[8:9], v[2:3], v[8:9]
	v_dual_mul_f64 v[10:11], v[2:3], v[0:1] :: v_dual_lshlrev_b32 v0, 1, v6
                                        ; implicit-def: $vgpr6
                                        ; implicit-def: $vgpr2_vgpr3
                                        ; implicit-def: $vgpr4_vgpr5
	s_delay_alu instid0(VALU_DEP_1) | instskip(SKIP_1) | instid1(VALU_DEP_1)
	v_ashrrev_i32_e32 v1, 31, v0
	s_wait_kmcnt 0x0
	v_lshl_add_u64 v[0:1], v[0:1], 3, s[0:1]
	global_store_b128 v[0:1], v[8:11], off
                                        ; implicit-def: $vgpr8_vgpr9
                                        ; implicit-def: $vgpr0_vgpr1
.LBB137_21:
	s_wait_xcnt 0x0
	s_and_not1_saveexec_b32 s2, s2
	s_cbranch_execz .LBB137_23
; %bb.22:
	v_lshlrev_b32_e32 v6, 1, v6
	s_delay_alu instid0(VALU_DEP_1) | instskip(SKIP_1) | instid1(VALU_DEP_1)
	v_ashrrev_i32_e32 v7, 31, v6
	s_wait_kmcnt 0x0
	v_lshl_add_u64 v[14:15], v[6:7], 3, s[0:1]
	v_mul_f64_e32 v[6:7], v[2:3], v[8:9]
	v_mul_f64_e32 v[8:9], v[2:3], v[0:1]
	global_load_b128 v[10:13], v[14:15], off
	s_wait_loadcnt 0x0
	v_fmac_f64_e32 v[6:7], v[4:5], v[10:11]
	v_fmac_f64_e32 v[8:9], v[4:5], v[12:13]
	global_store_b128 v[14:15], v[6:9], off
.LBB137_23:
	s_sendmsg sendmsg(MSG_DEALLOC_VGPRS)
	s_endpgm
	.section	.rodata,"a",@progbits
	.p2align	6, 0x0
	.amdhsa_kernel _ZN9rocsparseL19gebsrmvn_2xn_kernelILj128ELj14ELj8EdEEvi20rocsparse_direction_NS_24const_host_device_scalarIT2_EEPKiS6_PKS3_S8_S4_PS3_21rocsparse_index_base_b
		.amdhsa_group_segment_fixed_size 0
		.amdhsa_private_segment_fixed_size 0
		.amdhsa_kernarg_size 72
		.amdhsa_user_sgpr_count 2
		.amdhsa_user_sgpr_dispatch_ptr 0
		.amdhsa_user_sgpr_queue_ptr 0
		.amdhsa_user_sgpr_kernarg_segment_ptr 1
		.amdhsa_user_sgpr_dispatch_id 0
		.amdhsa_user_sgpr_kernarg_preload_length 0
		.amdhsa_user_sgpr_kernarg_preload_offset 0
		.amdhsa_user_sgpr_private_segment_size 0
		.amdhsa_wavefront_size32 1
		.amdhsa_uses_dynamic_stack 0
		.amdhsa_enable_private_segment 0
		.amdhsa_system_sgpr_workgroup_id_x 1
		.amdhsa_system_sgpr_workgroup_id_y 0
		.amdhsa_system_sgpr_workgroup_id_z 0
		.amdhsa_system_sgpr_workgroup_info 0
		.amdhsa_system_vgpr_workitem_id 0
		.amdhsa_next_free_vgpr 92
		.amdhsa_next_free_sgpr 14
		.amdhsa_named_barrier_count 0
		.amdhsa_reserve_vcc 1
		.amdhsa_float_round_mode_32 0
		.amdhsa_float_round_mode_16_64 0
		.amdhsa_float_denorm_mode_32 3
		.amdhsa_float_denorm_mode_16_64 3
		.amdhsa_fp16_overflow 0
		.amdhsa_memory_ordered 1
		.amdhsa_forward_progress 1
		.amdhsa_inst_pref_size 21
		.amdhsa_round_robin_scheduling 0
		.amdhsa_exception_fp_ieee_invalid_op 0
		.amdhsa_exception_fp_denorm_src 0
		.amdhsa_exception_fp_ieee_div_zero 0
		.amdhsa_exception_fp_ieee_overflow 0
		.amdhsa_exception_fp_ieee_underflow 0
		.amdhsa_exception_fp_ieee_inexact 0
		.amdhsa_exception_int_div_zero 0
	.end_amdhsa_kernel
	.section	.text._ZN9rocsparseL19gebsrmvn_2xn_kernelILj128ELj14ELj8EdEEvi20rocsparse_direction_NS_24const_host_device_scalarIT2_EEPKiS6_PKS3_S8_S4_PS3_21rocsparse_index_base_b,"axG",@progbits,_ZN9rocsparseL19gebsrmvn_2xn_kernelILj128ELj14ELj8EdEEvi20rocsparse_direction_NS_24const_host_device_scalarIT2_EEPKiS6_PKS3_S8_S4_PS3_21rocsparse_index_base_b,comdat
.Lfunc_end137:
	.size	_ZN9rocsparseL19gebsrmvn_2xn_kernelILj128ELj14ELj8EdEEvi20rocsparse_direction_NS_24const_host_device_scalarIT2_EEPKiS6_PKS3_S8_S4_PS3_21rocsparse_index_base_b, .Lfunc_end137-_ZN9rocsparseL19gebsrmvn_2xn_kernelILj128ELj14ELj8EdEEvi20rocsparse_direction_NS_24const_host_device_scalarIT2_EEPKiS6_PKS3_S8_S4_PS3_21rocsparse_index_base_b
                                        ; -- End function
	.set _ZN9rocsparseL19gebsrmvn_2xn_kernelILj128ELj14ELj8EdEEvi20rocsparse_direction_NS_24const_host_device_scalarIT2_EEPKiS6_PKS3_S8_S4_PS3_21rocsparse_index_base_b.num_vgpr, 92
	.set _ZN9rocsparseL19gebsrmvn_2xn_kernelILj128ELj14ELj8EdEEvi20rocsparse_direction_NS_24const_host_device_scalarIT2_EEPKiS6_PKS3_S8_S4_PS3_21rocsparse_index_base_b.num_agpr, 0
	.set _ZN9rocsparseL19gebsrmvn_2xn_kernelILj128ELj14ELj8EdEEvi20rocsparse_direction_NS_24const_host_device_scalarIT2_EEPKiS6_PKS3_S8_S4_PS3_21rocsparse_index_base_b.numbered_sgpr, 14
	.set _ZN9rocsparseL19gebsrmvn_2xn_kernelILj128ELj14ELj8EdEEvi20rocsparse_direction_NS_24const_host_device_scalarIT2_EEPKiS6_PKS3_S8_S4_PS3_21rocsparse_index_base_b.num_named_barrier, 0
	.set _ZN9rocsparseL19gebsrmvn_2xn_kernelILj128ELj14ELj8EdEEvi20rocsparse_direction_NS_24const_host_device_scalarIT2_EEPKiS6_PKS3_S8_S4_PS3_21rocsparse_index_base_b.private_seg_size, 0
	.set _ZN9rocsparseL19gebsrmvn_2xn_kernelILj128ELj14ELj8EdEEvi20rocsparse_direction_NS_24const_host_device_scalarIT2_EEPKiS6_PKS3_S8_S4_PS3_21rocsparse_index_base_b.uses_vcc, 1
	.set _ZN9rocsparseL19gebsrmvn_2xn_kernelILj128ELj14ELj8EdEEvi20rocsparse_direction_NS_24const_host_device_scalarIT2_EEPKiS6_PKS3_S8_S4_PS3_21rocsparse_index_base_b.uses_flat_scratch, 0
	.set _ZN9rocsparseL19gebsrmvn_2xn_kernelILj128ELj14ELj8EdEEvi20rocsparse_direction_NS_24const_host_device_scalarIT2_EEPKiS6_PKS3_S8_S4_PS3_21rocsparse_index_base_b.has_dyn_sized_stack, 0
	.set _ZN9rocsparseL19gebsrmvn_2xn_kernelILj128ELj14ELj8EdEEvi20rocsparse_direction_NS_24const_host_device_scalarIT2_EEPKiS6_PKS3_S8_S4_PS3_21rocsparse_index_base_b.has_recursion, 0
	.set _ZN9rocsparseL19gebsrmvn_2xn_kernelILj128ELj14ELj8EdEEvi20rocsparse_direction_NS_24const_host_device_scalarIT2_EEPKiS6_PKS3_S8_S4_PS3_21rocsparse_index_base_b.has_indirect_call, 0
	.section	.AMDGPU.csdata,"",@progbits
; Kernel info:
; codeLenInByte = 2648
; TotalNumSgprs: 16
; NumVgprs: 92
; ScratchSize: 0
; MemoryBound: 1
; FloatMode: 240
; IeeeMode: 1
; LDSByteSize: 0 bytes/workgroup (compile time only)
; SGPRBlocks: 0
; VGPRBlocks: 5
; NumSGPRsForWavesPerEU: 16
; NumVGPRsForWavesPerEU: 92
; NamedBarCnt: 0
; Occupancy: 10
; WaveLimiterHint : 1
; COMPUTE_PGM_RSRC2:SCRATCH_EN: 0
; COMPUTE_PGM_RSRC2:USER_SGPR: 2
; COMPUTE_PGM_RSRC2:TRAP_HANDLER: 0
; COMPUTE_PGM_RSRC2:TGID_X_EN: 1
; COMPUTE_PGM_RSRC2:TGID_Y_EN: 0
; COMPUTE_PGM_RSRC2:TGID_Z_EN: 0
; COMPUTE_PGM_RSRC2:TIDIG_COMP_CNT: 0
	.section	.text._ZN9rocsparseL19gebsrmvn_2xn_kernelILj128ELj14ELj16EdEEvi20rocsparse_direction_NS_24const_host_device_scalarIT2_EEPKiS6_PKS3_S8_S4_PS3_21rocsparse_index_base_b,"axG",@progbits,_ZN9rocsparseL19gebsrmvn_2xn_kernelILj128ELj14ELj16EdEEvi20rocsparse_direction_NS_24const_host_device_scalarIT2_EEPKiS6_PKS3_S8_S4_PS3_21rocsparse_index_base_b,comdat
	.globl	_ZN9rocsparseL19gebsrmvn_2xn_kernelILj128ELj14ELj16EdEEvi20rocsparse_direction_NS_24const_host_device_scalarIT2_EEPKiS6_PKS3_S8_S4_PS3_21rocsparse_index_base_b ; -- Begin function _ZN9rocsparseL19gebsrmvn_2xn_kernelILj128ELj14ELj16EdEEvi20rocsparse_direction_NS_24const_host_device_scalarIT2_EEPKiS6_PKS3_S8_S4_PS3_21rocsparse_index_base_b
	.p2align	8
	.type	_ZN9rocsparseL19gebsrmvn_2xn_kernelILj128ELj14ELj16EdEEvi20rocsparse_direction_NS_24const_host_device_scalarIT2_EEPKiS6_PKS3_S8_S4_PS3_21rocsparse_index_base_b,@function
_ZN9rocsparseL19gebsrmvn_2xn_kernelILj128ELj14ELj16EdEEvi20rocsparse_direction_NS_24const_host_device_scalarIT2_EEPKiS6_PKS3_S8_S4_PS3_21rocsparse_index_base_b: ; @_ZN9rocsparseL19gebsrmvn_2xn_kernelILj128ELj14ELj16EdEEvi20rocsparse_direction_NS_24const_host_device_scalarIT2_EEPKiS6_PKS3_S8_S4_PS3_21rocsparse_index_base_b
; %bb.0:
	s_clause 0x2
	s_load_b64 s[12:13], s[0:1], 0x40
	s_load_b64 s[4:5], s[0:1], 0x8
	;; [unrolled: 1-line block ×3, first 2 shown]
	s_wait_kmcnt 0x0
	s_bitcmp1_b32 s13, 0
	v_mov_b64_e32 v[2:3], s[4:5]
	s_cselect_b32 s6, -1, 0
	s_delay_alu instid0(SALU_CYCLE_1)
	s_and_b32 vcc_lo, exec_lo, s6
	s_xor_b32 s6, s6, -1
	s_cbranch_vccnz .LBB138_2
; %bb.1:
	v_mov_b32_e32 v1, 0
	flat_load_b64 v[2:3], v1, s[4:5]
.LBB138_2:
	v_mov_b64_e32 v[4:5], s[2:3]
	s_and_not1_b32 vcc_lo, exec_lo, s6
	s_cbranch_vccnz .LBB138_4
; %bb.3:
	s_wait_xcnt 0x0
	v_mov_b32_e32 v1, 0
	flat_load_b64 v[4:5], v1, s[2:3]
.LBB138_4:
	s_wait_loadcnt_dscnt 0x0
	v_cmp_neq_f64_e32 vcc_lo, 0, v[2:3]
	s_delay_alu instid0(VALU_DEP_2) | instskip(SKIP_1) | instid1(SALU_CYCLE_1)
	v_cmp_neq_f64_e64 s2, 1.0, v[4:5]
	s_or_b32 s2, vcc_lo, s2
	s_and_saveexec_b32 s3, s2
	s_cbranch_execz .LBB138_23
; %bb.5:
	s_load_b64 s[2:3], s[0:1], 0x0
	s_bfe_u32 s4, ttmp6, 0x4000c
	s_and_b32 s5, ttmp6, 15
	s_add_co_i32 s4, s4, 1
	s_getreg_b32 s6, hwreg(HW_REG_IB_STS2, 6, 4)
	s_mul_i32 s4, ttmp9, s4
	v_lshrrev_b32_e32 v1, 4, v0
	s_add_co_i32 s5, s5, s4
	s_cmp_eq_u32 s6, 0
	s_cselect_b32 s4, ttmp9, s5
	s_delay_alu instid0(VALU_DEP_1) | instid1(SALU_CYCLE_1)
	v_lshl_or_b32 v6, s4, 3, v1
	s_wait_kmcnt 0x0
	s_delay_alu instid0(VALU_DEP_1)
	v_cmp_gt_i32_e32 vcc_lo, s2, v6
	s_and_b32 exec_lo, exec_lo, vcc_lo
	s_cbranch_execz .LBB138_23
; %bb.6:
	s_load_b256 s[4:11], s[0:1], 0x10
	v_ashrrev_i32_e32 v7, 31, v6
	s_cmp_lg_u32 s3, 0
	s_wait_kmcnt 0x0
	s_delay_alu instid0(VALU_DEP_1)
	v_lshl_add_u64 v[8:9], v[6:7], 2, s[4:5]
	v_and_b32_e32 v7, 15, v0
	global_load_b64 v[8:9], v[8:9], off
	s_wait_loadcnt 0x0
	v_subrev_nc_u32_e32 v0, s12, v8
	v_subrev_nc_u32_e32 v14, s12, v9
	s_delay_alu instid0(VALU_DEP_2) | instskip(NEXT) | instid1(VALU_DEP_1)
	v_add_nc_u32_e32 v15, v0, v7
	v_cmp_lt_i32_e64 s2, v15, v14
	s_cbranch_scc0 .LBB138_12
; %bb.7:
	v_mov_b64_e32 v[0:1], 0
	v_mov_b64_e32 v[8:9], 0
	s_and_saveexec_b32 s3, s2
	s_cbranch_execz .LBB138_11
; %bb.8:
	v_mad_u32 v10, v15, 28, 26
	v_mov_b64_e32 v[0:1], 0
	v_mov_b64_e32 v[8:9], 0
	v_dual_mov_b32 v13, 0 :: v_dual_mov_b32 v16, v15
	s_mov_b32 s4, 0
.LBB138_9:                              ; =>This Inner Loop Header: Depth=1
	global_load_b32 v11, v16, s[6:7] scale_offset
	v_subrev_nc_u32_e32 v12, 26, v10
	s_wait_xcnt 0x0
	v_add_nc_u32_e32 v16, 16, v16
	s_delay_alu instid0(VALU_DEP_2) | instskip(SKIP_1) | instid1(VALU_DEP_3)
	v_lshl_add_u64 v[30:31], v[12:13], 3, s[8:9]
	v_subrev_nc_u32_e32 v12, 22, v10
	v_cmp_ge_i32_e32 vcc_lo, v16, v14
	s_delay_alu instid0(VALU_DEP_2) | instskip(SKIP_3) | instid1(VALU_DEP_1)
	v_lshl_add_u64 v[38:39], v[12:13], 3, s[8:9]
	s_or_b32 s4, vcc_lo, s4
	s_wait_loadcnt 0x0
	v_subrev_nc_u32_e32 v11, s12, v11
	v_mul_lo_u32 v86, v11, 14
	v_dual_mov_b32 v87, v13 :: v_dual_mov_b32 v11, v13
	s_delay_alu instid0(VALU_DEP_2) | instskip(NEXT) | instid1(VALU_DEP_2)
	v_add_nc_u32_e32 v12, 2, v86
	v_lshl_add_u64 v[32:33], v[86:87], 3, s[10:11]
	global_load_b128 v[18:21], v[30:31], off
	global_load_b128 v[22:25], v[32:33], off
	global_load_b128 v[26:29], v[30:31], off offset:16
	v_lshl_add_u64 v[40:41], v[12:13], 3, s[10:11]
	global_load_b128 v[30:33], v[38:39], off
	global_load_b128 v[34:37], v[40:41], off
	v_subrev_nc_u32_e32 v12, 20, v10
	s_wait_xcnt 0x1
	s_delay_alu instid0(VALU_DEP_1) | instskip(SKIP_4) | instid1(VALU_DEP_1)
	v_lshl_add_u64 v[38:39], v[12:13], 3, s[8:9]
	v_subrev_nc_u32_e32 v12, 18, v10
	global_load_b128 v[38:41], v[38:39], off
	v_lshl_add_u64 v[50:51], v[12:13], 3, s[8:9]
	v_add_nc_u32_e32 v12, 4, v86
	v_lshl_add_u64 v[52:53], v[12:13], 3, s[10:11]
	global_load_b128 v[42:45], v[50:51], off
	global_load_b128 v[46:49], v[52:53], off
	v_add_nc_u32_e32 v12, -16, v10
	s_wait_xcnt 0x1
	s_delay_alu instid0(VALU_DEP_1) | instskip(SKIP_4) | instid1(VALU_DEP_1)
	v_lshl_add_u64 v[50:51], v[12:13], 3, s[8:9]
	v_add_nc_u32_e32 v12, -14, v10
	global_load_b128 v[50:53], v[50:51], off
	v_lshl_add_u64 v[62:63], v[12:13], 3, s[8:9]
	v_add_nc_u32_e32 v12, 6, v86
	v_lshl_add_u64 v[64:65], v[12:13], 3, s[10:11]
	global_load_b128 v[54:57], v[62:63], off
	global_load_b128 v[58:61], v[64:65], off
	v_add_nc_u32_e32 v12, -12, v10
	s_wait_xcnt 0x1
	s_delay_alu instid0(VALU_DEP_1) | instskip(SKIP_4) | instid1(VALU_DEP_1)
	v_lshl_add_u64 v[62:63], v[12:13], 3, s[8:9]
	v_add_nc_u32_e32 v12, -10, v10
	;; [unrolled: 11-line block ×3, first 2 shown]
	global_load_b128 v[74:77], v[74:75], off
	v_lshl_add_u64 v[88:89], v[12:13], 3, s[8:9]
	v_add_nc_u32_e32 v12, 10, v86
	v_lshl_add_u64 v[90:91], v[12:13], 3, s[10:11]
	global_load_b128 v[78:81], v[88:89], off
	global_load_b128 v[82:85], v[90:91], off
	v_add_nc_u32_e32 v12, -4, v10
	s_wait_loadcnt 0xf
	v_fmac_f64_e32 v[0:1], v[18:19], v[22:23]
	v_fmac_f64_e32 v[8:9], v[20:21], v[22:23]
	s_delay_alu instid0(VALU_DEP_3)
	v_lshl_add_u64 v[18:19], v[12:13], 3, s[8:9]
	v_add_nc_u32_e32 v12, -2, v10
	global_load_b128 v[18:21], v[18:19], off
	s_wait_xcnt 0x2
	v_lshl_add_u64 v[88:89], v[12:13], 3, s[8:9]
	v_add_nc_u32_e32 v12, 12, v86
	s_delay_alu instid0(VALU_DEP_1)
	v_lshl_add_u64 v[86:87], v[12:13], 3, s[10:11]
	s_wait_loadcnt 0xf
	v_fmac_f64_e32 v[0:1], v[26:27], v[24:25]
	v_fmac_f64_e32 v[8:9], v[28:29], v[24:25]
	global_load_b128 v[22:25], v[88:89], off
	global_load_b128 v[26:29], v[86:87], off
	s_wait_loadcnt 0xf
	v_fmac_f64_e32 v[0:1], v[30:31], v[34:35]
	v_fmac_f64_e32 v[8:9], v[32:33], v[34:35]
	v_lshl_add_u64 v[30:31], v[10:11], 3, s[8:9]
	v_add_nc_u32_e32 v10, 0x1c0, v10
	global_load_b128 v[30:33], v[30:31], off
	s_wait_loadcnt 0xf
	v_fmac_f64_e32 v[0:1], v[38:39], v[36:37]
	v_fmac_f64_e32 v[8:9], v[40:41], v[36:37]
	s_wait_loadcnt 0xd
	s_delay_alu instid0(VALU_DEP_2) | instskip(NEXT) | instid1(VALU_DEP_2)
	v_fmac_f64_e32 v[0:1], v[42:43], v[46:47]
	v_fmac_f64_e32 v[8:9], v[44:45], v[46:47]
	s_wait_loadcnt 0xc
	s_delay_alu instid0(VALU_DEP_2) | instskip(NEXT) | instid1(VALU_DEP_2)
	;; [unrolled: 4-line block ×10, first 2 shown]
	v_fmac_f64_e32 v[0:1], v[30:31], v[28:29]
	v_fmac_f64_e32 v[8:9], v[32:33], v[28:29]
	s_and_not1_b32 exec_lo, exec_lo, s4
	s_cbranch_execnz .LBB138_9
; %bb.10:
	s_or_b32 exec_lo, exec_lo, s4
.LBB138_11:
	s_delay_alu instid0(SALU_CYCLE_1)
	s_or_b32 exec_lo, exec_lo, s3
	s_cbranch_execz .LBB138_13
	s_branch .LBB138_18
.LBB138_12:
                                        ; implicit-def: $vgpr0_vgpr1
                                        ; implicit-def: $vgpr8_vgpr9
.LBB138_13:
	v_mov_b64_e32 v[0:1], 0
	v_mov_b64_e32 v[8:9], 0
	s_and_saveexec_b32 s3, s2
	s_cbranch_execz .LBB138_17
; %bb.14:
	v_mad_u32 v12, v15, 28, 27
	v_mov_b64_e32 v[0:1], 0
	v_mov_b64_e32 v[8:9], 0
	v_mov_b32_e32 v11, 0
	s_mov_b32 s2, 0
.LBB138_15:                             ; =>This Inner Loop Header: Depth=1
	global_load_b32 v13, v15, s[6:7] scale_offset
	v_subrev_nc_u32_e32 v10, 27, v12
	v_dual_mov_b32 v45, v11 :: v_dual_add_nc_u32 v20, -13, v12
	s_wait_xcnt 0x0
	v_dual_add_nc_u32 v38, -9, v12 :: v_dual_add_nc_u32 v15, 16, v15
	s_delay_alu instid0(VALU_DEP_3)
	v_lshl_add_u64 v[28:29], v[10:11], 3, s[8:9]
	s_clause 0x1
	global_load_b128 v[16:19], v[28:29], off
	global_load_b64 v[46:47], v20, s[8:9] scale_offset
	v_add_nc_u32_e32 v42, -7, v12
	v_cmp_ge_i32_e32 vcc_lo, v15, v14
	v_add_nc_u32_e32 v82, -3, v12
	s_or_b32 s2, vcc_lo, s2
	s_wait_loadcnt 0x2
	v_subrev_nc_u32_e32 v10, s12, v13
	v_subrev_nc_u32_e32 v13, 23, v12
	s_delay_alu instid0(VALU_DEP_2)
	v_mul_lo_u32 v44, v10, 14
	v_add_nc_u32_e32 v10, -12, v12
	global_load_b64 v[48:49], v10, s[8:9] scale_offset
	s_wait_xcnt 0x0
	v_add_nc_u32_e32 v10, -11, v12
	v_lshl_add_u64 v[20:21], v[44:45], 3, s[10:11]
	v_add_nc_u32_e32 v45, -5, v12
	global_load_b128 v[20:23], v[20:21], off
	s_clause 0x1
	global_load_b64 v[50:51], v10, s[8:9] scale_offset
	global_load_b128 v[24:27], v[28:29], off offset:16
	s_wait_xcnt 0x1
	v_add_nc_u32_e32 v10, 2, v44
	s_wait_xcnt 0x0
	s_delay_alu instid0(VALU_DEP_1)
	v_lshl_add_u64 v[28:29], v[10:11], 3, s[10:11]
	v_add_nc_u32_e32 v10, -10, v12
	global_load_b128 v[28:31], v[28:29], off
	global_load_b64 v[52:53], v10, s[8:9] scale_offset
	s_wait_xcnt 0x0
	v_add_nc_u32_e32 v10, 4, v44
	s_delay_alu instid0(VALU_DEP_1)
	v_lshl_add_u64 v[36:37], v[10:11], 3, s[10:11]
	s_clause 0x1
	global_load_b64 v[54:55], v13, s[8:9] scale_offset
	global_load_b64 v[56:57], v38, s[8:9] scale_offset
	global_load_b128 v[32:35], v[36:37], off
	v_subrev_nc_u32_e32 v10, 22, v12
	s_wait_xcnt 0x2
	v_add_nc_u32_e32 v13, -8, v12
	s_clause 0x1
	global_load_b64 v[58:59], v10, s[8:9] scale_offset
	global_load_b64 v[60:61], v13, s[8:9] scale_offset
	s_wait_xcnt 0x1
	v_add_nc_u32_e32 v10, 6, v44
	s_wait_xcnt 0x0
	v_subrev_nc_u32_e32 v13, 21, v12
	s_delay_alu instid0(VALU_DEP_2)
	v_lshl_add_u64 v[40:41], v[10:11], 3, s[10:11]
	s_clause 0x1
	global_load_b64 v[62:63], v13, s[8:9] scale_offset
	global_load_b64 v[64:65], v42, s[8:9] scale_offset
	global_load_b128 v[36:39], v[40:41], off
	v_subrev_nc_u32_e32 v10, 20, v12
	s_wait_xcnt 0x2
	v_add_nc_u32_e32 v13, -6, v12
	s_clause 0x1
	global_load_b64 v[66:67], v10, s[8:9] scale_offset
	global_load_b64 v[68:69], v13, s[8:9] scale_offset
	s_wait_xcnt 0x1
	v_add_nc_u32_e32 v10, 8, v44
	s_wait_xcnt 0x0
	v_subrev_nc_u32_e32 v13, 19, v12
	s_delay_alu instid0(VALU_DEP_2)
	v_lshl_add_u64 v[70:71], v[10:11], 3, s[10:11]
	s_clause 0x1
	global_load_b64 v[72:73], v13, s[8:9] scale_offset
	global_load_b64 v[74:75], v45, s[8:9] scale_offset
	global_load_b128 v[40:43], v[70:71], off
	v_subrev_nc_u32_e32 v10, 18, v12
	s_wait_xcnt 0x2
	v_add_nc_u32_e32 v13, -4, v12
	s_wait_xcnt 0x1
	v_subrev_nc_u32_e32 v45, 17, v12
	s_clause 0x3
	global_load_b64 v[70:71], v10, s[8:9] scale_offset
	global_load_b64 v[76:77], v13, s[8:9] scale_offset
	;; [unrolled: 1-line block ×4, first 2 shown]
	s_wait_xcnt 0x3
	v_add_nc_u32_e32 v10, 10, v44
	s_wait_xcnt 0x2
	v_add_nc_u32_e32 v13, -2, v12
	s_wait_loadcnt 0x15
	v_fmac_f64_e32 v[0:1], v[16:17], v[20:21]
	v_lshl_add_u64 v[16:17], v[10:11], 3, s[10:11]
	v_fmac_f64_e32 v[8:9], v[46:47], v[20:21]
	v_add_nc_u32_e32 v10, -16, v12
	global_load_b64 v[46:47], v10, s[8:9] scale_offset
	v_fmac_f64_e32 v[0:1], v[18:19], v[22:23]
	global_load_b128 v[16:19], v[16:17], off
	v_fmac_f64_e32 v[8:9], v[48:49], v[22:23]
	global_load_b64 v[48:49], v13, s[8:9] scale_offset
	s_wait_xcnt 0x0
	v_dual_add_nc_u32 v10, -15, v12 :: v_dual_add_nc_u32 v13, -1, v12
	s_clause 0x1
	global_load_b64 v[82:83], v10, s[8:9] scale_offset
	global_load_b64 v[84:85], v13, s[8:9] scale_offset
	s_wait_xcnt 0x1
	v_add_nc_u32_e32 v10, 12, v44
	s_delay_alu instid0(VALU_DEP_1)
	v_lshl_add_u64 v[20:21], v[10:11], 3, s[10:11]
	v_add_nc_u32_e32 v10, -14, v12
	global_load_b128 v[20:23], v[20:21], off
	s_wait_loadcnt 0x18
	v_fmac_f64_e32 v[0:1], v[24:25], v[28:29]
	v_fmac_f64_e32 v[8:9], v[50:51], v[28:29]
	s_delay_alu instid0(VALU_DEP_2)
	v_fmac_f64_e32 v[0:1], v[26:27], v[30:31]
	s_clause 0x1
	global_load_b64 v[24:25], v10, s[8:9] scale_offset
	global_load_b64 v[26:27], v12, s[8:9] scale_offset
	s_wait_loadcnt 0x19
	v_fmac_f64_e32 v[8:9], v[52:53], v[30:31]
	s_wait_xcnt 0x0
	v_add_nc_u32_e32 v12, 0x1c0, v12
	s_wait_loadcnt 0x16
	v_fmac_f64_e32 v[0:1], v[54:55], v[32:33]
	s_delay_alu instid0(VALU_DEP_3) | instskip(SKIP_1) | instid1(VALU_DEP_2)
	v_fmac_f64_e32 v[8:9], v[56:57], v[32:33]
	s_wait_loadcnt 0x15
	v_fmac_f64_e32 v[0:1], v[58:59], v[34:35]
	s_wait_loadcnt 0x14
	s_delay_alu instid0(VALU_DEP_2) | instskip(SKIP_1) | instid1(VALU_DEP_2)
	v_fmac_f64_e32 v[8:9], v[60:61], v[34:35]
	s_wait_loadcnt 0x11
	v_fmac_f64_e32 v[0:1], v[62:63], v[36:37]
	s_delay_alu instid0(VALU_DEP_2) | instskip(SKIP_1) | instid1(VALU_DEP_2)
	v_fmac_f64_e32 v[8:9], v[64:65], v[36:37]
	s_wait_loadcnt 0x10
	v_fmac_f64_e32 v[0:1], v[66:67], v[38:39]
	s_wait_loadcnt 0xf
	s_delay_alu instid0(VALU_DEP_2) | instskip(SKIP_1) | instid1(VALU_DEP_2)
	v_fmac_f64_e32 v[8:9], v[68:69], v[38:39]
	s_wait_loadcnt 0xc
	v_fmac_f64_e32 v[0:1], v[72:73], v[40:41]
	s_delay_alu instid0(VALU_DEP_2) | instskip(SKIP_1) | instid1(VALU_DEP_2)
	v_fmac_f64_e32 v[8:9], v[74:75], v[40:41]
	s_wait_loadcnt 0xb
	v_fmac_f64_e32 v[0:1], v[70:71], v[42:43]
	s_wait_loadcnt 0xa
	s_delay_alu instid0(VALU_DEP_2) | instskip(SKIP_1) | instid1(VALU_DEP_2)
	v_fmac_f64_e32 v[8:9], v[76:77], v[42:43]
	s_wait_loadcnt 0x6
	v_fmac_f64_e32 v[0:1], v[78:79], v[16:17]
	s_delay_alu instid0(VALU_DEP_2) | instskip(NEXT) | instid1(VALU_DEP_2)
	v_fmac_f64_e32 v[8:9], v[80:81], v[16:17]
	v_fmac_f64_e32 v[0:1], v[46:47], v[18:19]
	s_wait_loadcnt 0x5
	s_delay_alu instid0(VALU_DEP_2) | instskip(SKIP_1) | instid1(VALU_DEP_2)
	v_fmac_f64_e32 v[8:9], v[48:49], v[18:19]
	s_wait_loadcnt 0x2
	v_fmac_f64_e32 v[0:1], v[82:83], v[20:21]
	s_delay_alu instid0(VALU_DEP_2) | instskip(SKIP_1) | instid1(VALU_DEP_2)
	v_fmac_f64_e32 v[8:9], v[84:85], v[20:21]
	s_wait_loadcnt 0x1
	v_fmac_f64_e32 v[0:1], v[24:25], v[22:23]
	s_wait_loadcnt 0x0
	s_delay_alu instid0(VALU_DEP_2)
	v_fmac_f64_e32 v[8:9], v[26:27], v[22:23]
	s_and_not1_b32 exec_lo, exec_lo, s2
	s_cbranch_execnz .LBB138_15
; %bb.16:
	s_or_b32 exec_lo, exec_lo, s2
.LBB138_17:
	s_delay_alu instid0(SALU_CYCLE_1)
	s_or_b32 exec_lo, exec_lo, s3
.LBB138_18:
	v_mbcnt_lo_u32_b32 v14, -1, 0
	s_delay_alu instid0(VALU_DEP_1) | instskip(NEXT) | instid1(VALU_DEP_1)
	v_xor_b32_e32 v10, 8, v14
	v_cmp_gt_i32_e32 vcc_lo, 32, v10
	v_cndmask_b32_e32 v10, v14, v10, vcc_lo
	s_delay_alu instid0(VALU_DEP_1)
	v_lshlrev_b32_e32 v13, 2, v10
	ds_bpermute_b32 v10, v13, v0
	ds_bpermute_b32 v11, v13, v1
	s_wait_dscnt 0x0
	v_add_f64_e32 v[0:1], v[0:1], v[10:11]
	v_xor_b32_e32 v10, 4, v14
	s_delay_alu instid0(VALU_DEP_1)
	v_cmp_gt_i32_e32 vcc_lo, 32, v10
	v_cndmask_b32_e32 v10, v14, v10, vcc_lo
	ds_bpermute_b32 v12, v13, v8
	ds_bpermute_b32 v13, v13, v9
	s_wait_dscnt 0x0
	v_dual_add_f64 v[8:9], v[8:9], v[12:13] :: v_dual_lshlrev_b32 v13, 2, v10
	ds_bpermute_b32 v10, v13, v0
	ds_bpermute_b32 v11, v13, v1
	s_wait_dscnt 0x0
	v_add_f64_e32 v[0:1], v[0:1], v[10:11]
	v_xor_b32_e32 v10, 2, v14
	s_delay_alu instid0(VALU_DEP_1)
	v_cmp_gt_i32_e32 vcc_lo, 32, v10
	v_cndmask_b32_e32 v10, v14, v10, vcc_lo
	ds_bpermute_b32 v12, v13, v8
	ds_bpermute_b32 v13, v13, v9
	s_wait_dscnt 0x0
	v_dual_add_f64 v[8:9], v[8:9], v[12:13] :: v_dual_lshlrev_b32 v13, 2, v10
	ds_bpermute_b32 v10, v13, v0
	ds_bpermute_b32 v11, v13, v1
	s_wait_dscnt 0x0
	v_add_f64_e32 v[0:1], v[0:1], v[10:11]
	ds_bpermute_b32 v12, v13, v8
	ds_bpermute_b32 v13, v13, v9
	s_wait_dscnt 0x0
	v_dual_add_f64 v[10:11], v[8:9], v[12:13] :: v_dual_bitop2_b32 v8, 1, v14 bitop3:0x14
	s_delay_alu instid0(VALU_DEP_1) | instskip(SKIP_2) | instid1(VALU_DEP_2)
	v_cmp_gt_i32_e32 vcc_lo, 32, v8
	v_cndmask_b32_e32 v8, v14, v8, vcc_lo
	v_cmp_eq_u32_e32 vcc_lo, 15, v7
	v_lshlrev_b32_e32 v13, 2, v8
	ds_bpermute_b32 v8, v13, v0
	ds_bpermute_b32 v9, v13, v1
	;; [unrolled: 1-line block ×4, first 2 shown]
	s_and_b32 exec_lo, exec_lo, vcc_lo
	s_cbranch_execz .LBB138_23
; %bb.19:
	s_wait_dscnt 0x2
	v_add_f64_e32 v[8:9], v[0:1], v[8:9]
	s_wait_dscnt 0x0
	v_add_f64_e32 v[0:1], v[10:11], v[12:13]
	s_load_b64 s[0:1], s[0:1], 0x38
	s_mov_b32 s2, exec_lo
	v_cmpx_eq_f64_e32 0, v[4:5]
	s_xor_b32 s2, exec_lo, s2
	s_cbranch_execz .LBB138_21
; %bb.20:
	s_delay_alu instid0(VALU_DEP_3) | instskip(NEXT) | instid1(VALU_DEP_3)
	v_mul_f64_e32 v[8:9], v[2:3], v[8:9]
	v_dual_mul_f64 v[10:11], v[2:3], v[0:1] :: v_dual_lshlrev_b32 v0, 1, v6
                                        ; implicit-def: $vgpr6
                                        ; implicit-def: $vgpr2_vgpr3
                                        ; implicit-def: $vgpr4_vgpr5
	s_delay_alu instid0(VALU_DEP_1) | instskip(SKIP_1) | instid1(VALU_DEP_1)
	v_ashrrev_i32_e32 v1, 31, v0
	s_wait_kmcnt 0x0
	v_lshl_add_u64 v[0:1], v[0:1], 3, s[0:1]
	global_store_b128 v[0:1], v[8:11], off
                                        ; implicit-def: $vgpr8_vgpr9
                                        ; implicit-def: $vgpr0_vgpr1
.LBB138_21:
	s_wait_xcnt 0x0
	s_and_not1_saveexec_b32 s2, s2
	s_cbranch_execz .LBB138_23
; %bb.22:
	v_lshlrev_b32_e32 v6, 1, v6
	s_delay_alu instid0(VALU_DEP_1) | instskip(SKIP_1) | instid1(VALU_DEP_1)
	v_ashrrev_i32_e32 v7, 31, v6
	s_wait_kmcnt 0x0
	v_lshl_add_u64 v[14:15], v[6:7], 3, s[0:1]
	v_mul_f64_e32 v[6:7], v[2:3], v[8:9]
	v_mul_f64_e32 v[8:9], v[2:3], v[0:1]
	global_load_b128 v[10:13], v[14:15], off
	s_wait_loadcnt 0x0
	v_fmac_f64_e32 v[6:7], v[4:5], v[10:11]
	v_fmac_f64_e32 v[8:9], v[4:5], v[12:13]
	global_store_b128 v[14:15], v[6:9], off
.LBB138_23:
	s_sendmsg sendmsg(MSG_DEALLOC_VGPRS)
	s_endpgm
	.section	.rodata,"a",@progbits
	.p2align	6, 0x0
	.amdhsa_kernel _ZN9rocsparseL19gebsrmvn_2xn_kernelILj128ELj14ELj16EdEEvi20rocsparse_direction_NS_24const_host_device_scalarIT2_EEPKiS6_PKS3_S8_S4_PS3_21rocsparse_index_base_b
		.amdhsa_group_segment_fixed_size 0
		.amdhsa_private_segment_fixed_size 0
		.amdhsa_kernarg_size 72
		.amdhsa_user_sgpr_count 2
		.amdhsa_user_sgpr_dispatch_ptr 0
		.amdhsa_user_sgpr_queue_ptr 0
		.amdhsa_user_sgpr_kernarg_segment_ptr 1
		.amdhsa_user_sgpr_dispatch_id 0
		.amdhsa_user_sgpr_kernarg_preload_length 0
		.amdhsa_user_sgpr_kernarg_preload_offset 0
		.amdhsa_user_sgpr_private_segment_size 0
		.amdhsa_wavefront_size32 1
		.amdhsa_uses_dynamic_stack 0
		.amdhsa_enable_private_segment 0
		.amdhsa_system_sgpr_workgroup_id_x 1
		.amdhsa_system_sgpr_workgroup_id_y 0
		.amdhsa_system_sgpr_workgroup_id_z 0
		.amdhsa_system_sgpr_workgroup_info 0
		.amdhsa_system_vgpr_workitem_id 0
		.amdhsa_next_free_vgpr 92
		.amdhsa_next_free_sgpr 14
		.amdhsa_named_barrier_count 0
		.amdhsa_reserve_vcc 1
		.amdhsa_float_round_mode_32 0
		.amdhsa_float_round_mode_16_64 0
		.amdhsa_float_denorm_mode_32 3
		.amdhsa_float_denorm_mode_16_64 3
		.amdhsa_fp16_overflow 0
		.amdhsa_memory_ordered 1
		.amdhsa_forward_progress 1
		.amdhsa_inst_pref_size 22
		.amdhsa_round_robin_scheduling 0
		.amdhsa_exception_fp_ieee_invalid_op 0
		.amdhsa_exception_fp_denorm_src 0
		.amdhsa_exception_fp_ieee_div_zero 0
		.amdhsa_exception_fp_ieee_overflow 0
		.amdhsa_exception_fp_ieee_underflow 0
		.amdhsa_exception_fp_ieee_inexact 0
		.amdhsa_exception_int_div_zero 0
	.end_amdhsa_kernel
	.section	.text._ZN9rocsparseL19gebsrmvn_2xn_kernelILj128ELj14ELj16EdEEvi20rocsparse_direction_NS_24const_host_device_scalarIT2_EEPKiS6_PKS3_S8_S4_PS3_21rocsparse_index_base_b,"axG",@progbits,_ZN9rocsparseL19gebsrmvn_2xn_kernelILj128ELj14ELj16EdEEvi20rocsparse_direction_NS_24const_host_device_scalarIT2_EEPKiS6_PKS3_S8_S4_PS3_21rocsparse_index_base_b,comdat
.Lfunc_end138:
	.size	_ZN9rocsparseL19gebsrmvn_2xn_kernelILj128ELj14ELj16EdEEvi20rocsparse_direction_NS_24const_host_device_scalarIT2_EEPKiS6_PKS3_S8_S4_PS3_21rocsparse_index_base_b, .Lfunc_end138-_ZN9rocsparseL19gebsrmvn_2xn_kernelILj128ELj14ELj16EdEEvi20rocsparse_direction_NS_24const_host_device_scalarIT2_EEPKiS6_PKS3_S8_S4_PS3_21rocsparse_index_base_b
                                        ; -- End function
	.set _ZN9rocsparseL19gebsrmvn_2xn_kernelILj128ELj14ELj16EdEEvi20rocsparse_direction_NS_24const_host_device_scalarIT2_EEPKiS6_PKS3_S8_S4_PS3_21rocsparse_index_base_b.num_vgpr, 92
	.set _ZN9rocsparseL19gebsrmvn_2xn_kernelILj128ELj14ELj16EdEEvi20rocsparse_direction_NS_24const_host_device_scalarIT2_EEPKiS6_PKS3_S8_S4_PS3_21rocsparse_index_base_b.num_agpr, 0
	.set _ZN9rocsparseL19gebsrmvn_2xn_kernelILj128ELj14ELj16EdEEvi20rocsparse_direction_NS_24const_host_device_scalarIT2_EEPKiS6_PKS3_S8_S4_PS3_21rocsparse_index_base_b.numbered_sgpr, 14
	.set _ZN9rocsparseL19gebsrmvn_2xn_kernelILj128ELj14ELj16EdEEvi20rocsparse_direction_NS_24const_host_device_scalarIT2_EEPKiS6_PKS3_S8_S4_PS3_21rocsparse_index_base_b.num_named_barrier, 0
	.set _ZN9rocsparseL19gebsrmvn_2xn_kernelILj128ELj14ELj16EdEEvi20rocsparse_direction_NS_24const_host_device_scalarIT2_EEPKiS6_PKS3_S8_S4_PS3_21rocsparse_index_base_b.private_seg_size, 0
	.set _ZN9rocsparseL19gebsrmvn_2xn_kernelILj128ELj14ELj16EdEEvi20rocsparse_direction_NS_24const_host_device_scalarIT2_EEPKiS6_PKS3_S8_S4_PS3_21rocsparse_index_base_b.uses_vcc, 1
	.set _ZN9rocsparseL19gebsrmvn_2xn_kernelILj128ELj14ELj16EdEEvi20rocsparse_direction_NS_24const_host_device_scalarIT2_EEPKiS6_PKS3_S8_S4_PS3_21rocsparse_index_base_b.uses_flat_scratch, 0
	.set _ZN9rocsparseL19gebsrmvn_2xn_kernelILj128ELj14ELj16EdEEvi20rocsparse_direction_NS_24const_host_device_scalarIT2_EEPKiS6_PKS3_S8_S4_PS3_21rocsparse_index_base_b.has_dyn_sized_stack, 0
	.set _ZN9rocsparseL19gebsrmvn_2xn_kernelILj128ELj14ELj16EdEEvi20rocsparse_direction_NS_24const_host_device_scalarIT2_EEPKiS6_PKS3_S8_S4_PS3_21rocsparse_index_base_b.has_recursion, 0
	.set _ZN9rocsparseL19gebsrmvn_2xn_kernelILj128ELj14ELj16EdEEvi20rocsparse_direction_NS_24const_host_device_scalarIT2_EEPKiS6_PKS3_S8_S4_PS3_21rocsparse_index_base_b.has_indirect_call, 0
	.section	.AMDGPU.csdata,"",@progbits
; Kernel info:
; codeLenInByte = 2720
; TotalNumSgprs: 16
; NumVgprs: 92
; ScratchSize: 0
; MemoryBound: 1
; FloatMode: 240
; IeeeMode: 1
; LDSByteSize: 0 bytes/workgroup (compile time only)
; SGPRBlocks: 0
; VGPRBlocks: 5
; NumSGPRsForWavesPerEU: 16
; NumVGPRsForWavesPerEU: 92
; NamedBarCnt: 0
; Occupancy: 10
; WaveLimiterHint : 1
; COMPUTE_PGM_RSRC2:SCRATCH_EN: 0
; COMPUTE_PGM_RSRC2:USER_SGPR: 2
; COMPUTE_PGM_RSRC2:TRAP_HANDLER: 0
; COMPUTE_PGM_RSRC2:TGID_X_EN: 1
; COMPUTE_PGM_RSRC2:TGID_Y_EN: 0
; COMPUTE_PGM_RSRC2:TGID_Z_EN: 0
; COMPUTE_PGM_RSRC2:TIDIG_COMP_CNT: 0
	.section	.text._ZN9rocsparseL19gebsrmvn_2xn_kernelILj128ELj14ELj32EdEEvi20rocsparse_direction_NS_24const_host_device_scalarIT2_EEPKiS6_PKS3_S8_S4_PS3_21rocsparse_index_base_b,"axG",@progbits,_ZN9rocsparseL19gebsrmvn_2xn_kernelILj128ELj14ELj32EdEEvi20rocsparse_direction_NS_24const_host_device_scalarIT2_EEPKiS6_PKS3_S8_S4_PS3_21rocsparse_index_base_b,comdat
	.globl	_ZN9rocsparseL19gebsrmvn_2xn_kernelILj128ELj14ELj32EdEEvi20rocsparse_direction_NS_24const_host_device_scalarIT2_EEPKiS6_PKS3_S8_S4_PS3_21rocsparse_index_base_b ; -- Begin function _ZN9rocsparseL19gebsrmvn_2xn_kernelILj128ELj14ELj32EdEEvi20rocsparse_direction_NS_24const_host_device_scalarIT2_EEPKiS6_PKS3_S8_S4_PS3_21rocsparse_index_base_b
	.p2align	8
	.type	_ZN9rocsparseL19gebsrmvn_2xn_kernelILj128ELj14ELj32EdEEvi20rocsparse_direction_NS_24const_host_device_scalarIT2_EEPKiS6_PKS3_S8_S4_PS3_21rocsparse_index_base_b,@function
_ZN9rocsparseL19gebsrmvn_2xn_kernelILj128ELj14ELj32EdEEvi20rocsparse_direction_NS_24const_host_device_scalarIT2_EEPKiS6_PKS3_S8_S4_PS3_21rocsparse_index_base_b: ; @_ZN9rocsparseL19gebsrmvn_2xn_kernelILj128ELj14ELj32EdEEvi20rocsparse_direction_NS_24const_host_device_scalarIT2_EEPKiS6_PKS3_S8_S4_PS3_21rocsparse_index_base_b
; %bb.0:
	s_clause 0x2
	s_load_b64 s[12:13], s[0:1], 0x40
	s_load_b64 s[4:5], s[0:1], 0x8
	;; [unrolled: 1-line block ×3, first 2 shown]
	s_wait_kmcnt 0x0
	s_bitcmp1_b32 s13, 0
	v_mov_b64_e32 v[2:3], s[4:5]
	s_cselect_b32 s6, -1, 0
	s_delay_alu instid0(SALU_CYCLE_1)
	s_and_b32 vcc_lo, exec_lo, s6
	s_xor_b32 s6, s6, -1
	s_cbranch_vccnz .LBB139_2
; %bb.1:
	v_mov_b32_e32 v1, 0
	flat_load_b64 v[2:3], v1, s[4:5]
.LBB139_2:
	v_mov_b64_e32 v[4:5], s[2:3]
	s_and_not1_b32 vcc_lo, exec_lo, s6
	s_cbranch_vccnz .LBB139_4
; %bb.3:
	s_wait_xcnt 0x0
	v_mov_b32_e32 v1, 0
	flat_load_b64 v[4:5], v1, s[2:3]
.LBB139_4:
	s_wait_loadcnt_dscnt 0x0
	v_cmp_neq_f64_e32 vcc_lo, 0, v[2:3]
	s_delay_alu instid0(VALU_DEP_2) | instskip(SKIP_1) | instid1(SALU_CYCLE_1)
	v_cmp_neq_f64_e64 s2, 1.0, v[4:5]
	s_or_b32 s2, vcc_lo, s2
	s_and_saveexec_b32 s3, s2
	s_cbranch_execz .LBB139_23
; %bb.5:
	s_load_b64 s[2:3], s[0:1], 0x0
	s_bfe_u32 s4, ttmp6, 0x4000c
	s_and_b32 s5, ttmp6, 15
	s_add_co_i32 s4, s4, 1
	s_getreg_b32 s6, hwreg(HW_REG_IB_STS2, 6, 4)
	s_mul_i32 s4, ttmp9, s4
	v_lshrrev_b32_e32 v1, 5, v0
	s_add_co_i32 s5, s5, s4
	s_cmp_eq_u32 s6, 0
	s_cselect_b32 s4, ttmp9, s5
	s_delay_alu instid0(VALU_DEP_1) | instid1(SALU_CYCLE_1)
	v_lshl_or_b32 v6, s4, 2, v1
	s_wait_kmcnt 0x0
	s_delay_alu instid0(VALU_DEP_1)
	v_cmp_gt_i32_e32 vcc_lo, s2, v6
	s_and_b32 exec_lo, exec_lo, vcc_lo
	s_cbranch_execz .LBB139_23
; %bb.6:
	s_load_b256 s[4:11], s[0:1], 0x10
	v_ashrrev_i32_e32 v7, 31, v6
	s_cmp_lg_u32 s3, 0
	s_wait_kmcnt 0x0
	s_delay_alu instid0(VALU_DEP_1)
	v_lshl_add_u64 v[8:9], v[6:7], 2, s[4:5]
	v_and_b32_e32 v7, 31, v0
	global_load_b64 v[8:9], v[8:9], off
	s_wait_loadcnt 0x0
	v_subrev_nc_u32_e32 v0, s12, v8
	v_subrev_nc_u32_e32 v14, s12, v9
	s_delay_alu instid0(VALU_DEP_2) | instskip(NEXT) | instid1(VALU_DEP_1)
	v_add_nc_u32_e32 v15, v0, v7
	v_cmp_lt_i32_e64 s2, v15, v14
	s_cbranch_scc0 .LBB139_12
; %bb.7:
	v_mov_b64_e32 v[0:1], 0
	v_mov_b64_e32 v[8:9], 0
	s_and_saveexec_b32 s3, s2
	s_cbranch_execz .LBB139_11
; %bb.8:
	v_mad_u32 v10, v15, 28, 26
	v_mov_b64_e32 v[0:1], 0
	v_mov_b64_e32 v[8:9], 0
	v_dual_mov_b32 v13, 0 :: v_dual_mov_b32 v16, v15
	s_mov_b32 s4, 0
.LBB139_9:                              ; =>This Inner Loop Header: Depth=1
	global_load_b32 v11, v16, s[6:7] scale_offset
	v_subrev_nc_u32_e32 v12, 26, v10
	s_wait_xcnt 0x0
	v_add_nc_u32_e32 v16, 32, v16
	s_delay_alu instid0(VALU_DEP_2) | instskip(SKIP_1) | instid1(VALU_DEP_3)
	v_lshl_add_u64 v[30:31], v[12:13], 3, s[8:9]
	v_subrev_nc_u32_e32 v12, 22, v10
	v_cmp_ge_i32_e32 vcc_lo, v16, v14
	s_delay_alu instid0(VALU_DEP_2) | instskip(SKIP_3) | instid1(VALU_DEP_1)
	v_lshl_add_u64 v[38:39], v[12:13], 3, s[8:9]
	s_or_b32 s4, vcc_lo, s4
	s_wait_loadcnt 0x0
	v_subrev_nc_u32_e32 v11, s12, v11
	v_mul_lo_u32 v86, v11, 14
	v_dual_mov_b32 v87, v13 :: v_dual_mov_b32 v11, v13
	s_delay_alu instid0(VALU_DEP_2) | instskip(NEXT) | instid1(VALU_DEP_2)
	v_add_nc_u32_e32 v12, 2, v86
	v_lshl_add_u64 v[32:33], v[86:87], 3, s[10:11]
	global_load_b128 v[18:21], v[30:31], off
	global_load_b128 v[22:25], v[32:33], off
	global_load_b128 v[26:29], v[30:31], off offset:16
	v_lshl_add_u64 v[40:41], v[12:13], 3, s[10:11]
	global_load_b128 v[30:33], v[38:39], off
	global_load_b128 v[34:37], v[40:41], off
	v_subrev_nc_u32_e32 v12, 20, v10
	s_wait_xcnt 0x1
	s_delay_alu instid0(VALU_DEP_1) | instskip(SKIP_4) | instid1(VALU_DEP_1)
	v_lshl_add_u64 v[38:39], v[12:13], 3, s[8:9]
	v_subrev_nc_u32_e32 v12, 18, v10
	global_load_b128 v[38:41], v[38:39], off
	v_lshl_add_u64 v[50:51], v[12:13], 3, s[8:9]
	v_add_nc_u32_e32 v12, 4, v86
	v_lshl_add_u64 v[52:53], v[12:13], 3, s[10:11]
	global_load_b128 v[42:45], v[50:51], off
	global_load_b128 v[46:49], v[52:53], off
	v_add_nc_u32_e32 v12, -16, v10
	s_wait_xcnt 0x1
	s_delay_alu instid0(VALU_DEP_1) | instskip(SKIP_4) | instid1(VALU_DEP_1)
	v_lshl_add_u64 v[50:51], v[12:13], 3, s[8:9]
	v_add_nc_u32_e32 v12, -14, v10
	global_load_b128 v[50:53], v[50:51], off
	v_lshl_add_u64 v[62:63], v[12:13], 3, s[8:9]
	v_add_nc_u32_e32 v12, 6, v86
	v_lshl_add_u64 v[64:65], v[12:13], 3, s[10:11]
	global_load_b128 v[54:57], v[62:63], off
	global_load_b128 v[58:61], v[64:65], off
	v_add_nc_u32_e32 v12, -12, v10
	s_wait_xcnt 0x1
	s_delay_alu instid0(VALU_DEP_1) | instskip(SKIP_4) | instid1(VALU_DEP_1)
	v_lshl_add_u64 v[62:63], v[12:13], 3, s[8:9]
	v_add_nc_u32_e32 v12, -10, v10
	;; [unrolled: 11-line block ×3, first 2 shown]
	global_load_b128 v[74:77], v[74:75], off
	v_lshl_add_u64 v[88:89], v[12:13], 3, s[8:9]
	v_add_nc_u32_e32 v12, 10, v86
	v_lshl_add_u64 v[90:91], v[12:13], 3, s[10:11]
	global_load_b128 v[78:81], v[88:89], off
	global_load_b128 v[82:85], v[90:91], off
	v_add_nc_u32_e32 v12, -4, v10
	s_wait_loadcnt 0xf
	v_fmac_f64_e32 v[0:1], v[18:19], v[22:23]
	v_fmac_f64_e32 v[8:9], v[20:21], v[22:23]
	s_delay_alu instid0(VALU_DEP_3)
	v_lshl_add_u64 v[18:19], v[12:13], 3, s[8:9]
	v_add_nc_u32_e32 v12, -2, v10
	global_load_b128 v[18:21], v[18:19], off
	s_wait_xcnt 0x2
	v_lshl_add_u64 v[88:89], v[12:13], 3, s[8:9]
	v_add_nc_u32_e32 v12, 12, v86
	s_delay_alu instid0(VALU_DEP_1)
	v_lshl_add_u64 v[86:87], v[12:13], 3, s[10:11]
	s_wait_loadcnt 0xf
	v_fmac_f64_e32 v[0:1], v[26:27], v[24:25]
	v_fmac_f64_e32 v[8:9], v[28:29], v[24:25]
	global_load_b128 v[22:25], v[88:89], off
	global_load_b128 v[26:29], v[86:87], off
	s_wait_loadcnt 0xf
	v_fmac_f64_e32 v[0:1], v[30:31], v[34:35]
	v_fmac_f64_e32 v[8:9], v[32:33], v[34:35]
	v_lshl_add_u64 v[30:31], v[10:11], 3, s[8:9]
	v_add_nc_u32_e32 v10, 0x380, v10
	global_load_b128 v[30:33], v[30:31], off
	s_wait_loadcnt 0xf
	v_fmac_f64_e32 v[0:1], v[38:39], v[36:37]
	v_fmac_f64_e32 v[8:9], v[40:41], v[36:37]
	s_wait_loadcnt 0xd
	s_delay_alu instid0(VALU_DEP_2) | instskip(NEXT) | instid1(VALU_DEP_2)
	v_fmac_f64_e32 v[0:1], v[42:43], v[46:47]
	v_fmac_f64_e32 v[8:9], v[44:45], v[46:47]
	s_wait_loadcnt 0xc
	s_delay_alu instid0(VALU_DEP_2) | instskip(NEXT) | instid1(VALU_DEP_2)
	;; [unrolled: 4-line block ×10, first 2 shown]
	v_fmac_f64_e32 v[0:1], v[30:31], v[28:29]
	v_fmac_f64_e32 v[8:9], v[32:33], v[28:29]
	s_and_not1_b32 exec_lo, exec_lo, s4
	s_cbranch_execnz .LBB139_9
; %bb.10:
	s_or_b32 exec_lo, exec_lo, s4
.LBB139_11:
	s_delay_alu instid0(SALU_CYCLE_1)
	s_or_b32 exec_lo, exec_lo, s3
	s_cbranch_execz .LBB139_13
	s_branch .LBB139_18
.LBB139_12:
                                        ; implicit-def: $vgpr0_vgpr1
                                        ; implicit-def: $vgpr8_vgpr9
.LBB139_13:
	v_mov_b64_e32 v[0:1], 0
	v_mov_b64_e32 v[8:9], 0
	s_and_saveexec_b32 s3, s2
	s_cbranch_execz .LBB139_17
; %bb.14:
	v_mad_u32 v12, v15, 28, 27
	v_mov_b64_e32 v[0:1], 0
	v_mov_b64_e32 v[8:9], 0
	v_mov_b32_e32 v11, 0
	s_mov_b32 s2, 0
.LBB139_15:                             ; =>This Inner Loop Header: Depth=1
	global_load_b32 v13, v15, s[6:7] scale_offset
	v_subrev_nc_u32_e32 v10, 27, v12
	v_dual_mov_b32 v45, v11 :: v_dual_add_nc_u32 v20, -13, v12
	s_wait_xcnt 0x0
	v_dual_add_nc_u32 v38, -9, v12 :: v_dual_add_nc_u32 v15, 32, v15
	s_delay_alu instid0(VALU_DEP_3)
	v_lshl_add_u64 v[28:29], v[10:11], 3, s[8:9]
	s_clause 0x1
	global_load_b128 v[16:19], v[28:29], off
	global_load_b64 v[46:47], v20, s[8:9] scale_offset
	v_add_nc_u32_e32 v42, -7, v12
	v_cmp_ge_i32_e32 vcc_lo, v15, v14
	v_add_nc_u32_e32 v82, -3, v12
	s_or_b32 s2, vcc_lo, s2
	s_wait_loadcnt 0x2
	v_subrev_nc_u32_e32 v10, s12, v13
	v_subrev_nc_u32_e32 v13, 23, v12
	s_delay_alu instid0(VALU_DEP_2)
	v_mul_lo_u32 v44, v10, 14
	v_add_nc_u32_e32 v10, -12, v12
	global_load_b64 v[48:49], v10, s[8:9] scale_offset
	s_wait_xcnt 0x0
	v_add_nc_u32_e32 v10, -11, v12
	v_lshl_add_u64 v[20:21], v[44:45], 3, s[10:11]
	v_add_nc_u32_e32 v45, -5, v12
	global_load_b128 v[20:23], v[20:21], off
	s_clause 0x1
	global_load_b64 v[50:51], v10, s[8:9] scale_offset
	global_load_b128 v[24:27], v[28:29], off offset:16
	s_wait_xcnt 0x1
	v_add_nc_u32_e32 v10, 2, v44
	s_wait_xcnt 0x0
	s_delay_alu instid0(VALU_DEP_1)
	v_lshl_add_u64 v[28:29], v[10:11], 3, s[10:11]
	v_add_nc_u32_e32 v10, -10, v12
	global_load_b128 v[28:31], v[28:29], off
	global_load_b64 v[52:53], v10, s[8:9] scale_offset
	s_wait_xcnt 0x0
	v_add_nc_u32_e32 v10, 4, v44
	s_delay_alu instid0(VALU_DEP_1)
	v_lshl_add_u64 v[36:37], v[10:11], 3, s[10:11]
	s_clause 0x1
	global_load_b64 v[54:55], v13, s[8:9] scale_offset
	global_load_b64 v[56:57], v38, s[8:9] scale_offset
	global_load_b128 v[32:35], v[36:37], off
	v_subrev_nc_u32_e32 v10, 22, v12
	s_wait_xcnt 0x2
	v_add_nc_u32_e32 v13, -8, v12
	s_clause 0x1
	global_load_b64 v[58:59], v10, s[8:9] scale_offset
	global_load_b64 v[60:61], v13, s[8:9] scale_offset
	s_wait_xcnt 0x1
	v_add_nc_u32_e32 v10, 6, v44
	s_wait_xcnt 0x0
	v_subrev_nc_u32_e32 v13, 21, v12
	s_delay_alu instid0(VALU_DEP_2)
	v_lshl_add_u64 v[40:41], v[10:11], 3, s[10:11]
	s_clause 0x1
	global_load_b64 v[62:63], v13, s[8:9] scale_offset
	global_load_b64 v[64:65], v42, s[8:9] scale_offset
	global_load_b128 v[36:39], v[40:41], off
	v_subrev_nc_u32_e32 v10, 20, v12
	s_wait_xcnt 0x2
	v_add_nc_u32_e32 v13, -6, v12
	s_clause 0x1
	global_load_b64 v[66:67], v10, s[8:9] scale_offset
	global_load_b64 v[68:69], v13, s[8:9] scale_offset
	s_wait_xcnt 0x1
	v_add_nc_u32_e32 v10, 8, v44
	s_wait_xcnt 0x0
	v_subrev_nc_u32_e32 v13, 19, v12
	s_delay_alu instid0(VALU_DEP_2)
	v_lshl_add_u64 v[70:71], v[10:11], 3, s[10:11]
	s_clause 0x1
	global_load_b64 v[72:73], v13, s[8:9] scale_offset
	global_load_b64 v[74:75], v45, s[8:9] scale_offset
	global_load_b128 v[40:43], v[70:71], off
	v_subrev_nc_u32_e32 v10, 18, v12
	s_wait_xcnt 0x2
	v_add_nc_u32_e32 v13, -4, v12
	s_wait_xcnt 0x1
	v_subrev_nc_u32_e32 v45, 17, v12
	s_clause 0x3
	global_load_b64 v[70:71], v10, s[8:9] scale_offset
	global_load_b64 v[76:77], v13, s[8:9] scale_offset
	;; [unrolled: 1-line block ×4, first 2 shown]
	s_wait_xcnt 0x3
	v_add_nc_u32_e32 v10, 10, v44
	s_wait_xcnt 0x2
	v_add_nc_u32_e32 v13, -2, v12
	s_wait_loadcnt 0x15
	v_fmac_f64_e32 v[0:1], v[16:17], v[20:21]
	v_lshl_add_u64 v[16:17], v[10:11], 3, s[10:11]
	v_fmac_f64_e32 v[8:9], v[46:47], v[20:21]
	v_add_nc_u32_e32 v10, -16, v12
	global_load_b64 v[46:47], v10, s[8:9] scale_offset
	v_fmac_f64_e32 v[0:1], v[18:19], v[22:23]
	global_load_b128 v[16:19], v[16:17], off
	v_fmac_f64_e32 v[8:9], v[48:49], v[22:23]
	global_load_b64 v[48:49], v13, s[8:9] scale_offset
	s_wait_xcnt 0x0
	v_dual_add_nc_u32 v10, -15, v12 :: v_dual_add_nc_u32 v13, -1, v12
	s_clause 0x1
	global_load_b64 v[82:83], v10, s[8:9] scale_offset
	global_load_b64 v[84:85], v13, s[8:9] scale_offset
	s_wait_xcnt 0x1
	v_add_nc_u32_e32 v10, 12, v44
	s_delay_alu instid0(VALU_DEP_1)
	v_lshl_add_u64 v[20:21], v[10:11], 3, s[10:11]
	v_add_nc_u32_e32 v10, -14, v12
	global_load_b128 v[20:23], v[20:21], off
	s_wait_loadcnt 0x18
	v_fmac_f64_e32 v[0:1], v[24:25], v[28:29]
	v_fmac_f64_e32 v[8:9], v[50:51], v[28:29]
	s_delay_alu instid0(VALU_DEP_2)
	v_fmac_f64_e32 v[0:1], v[26:27], v[30:31]
	s_clause 0x1
	global_load_b64 v[24:25], v10, s[8:9] scale_offset
	global_load_b64 v[26:27], v12, s[8:9] scale_offset
	s_wait_loadcnt 0x19
	v_fmac_f64_e32 v[8:9], v[52:53], v[30:31]
	s_wait_xcnt 0x0
	v_add_nc_u32_e32 v12, 0x380, v12
	s_wait_loadcnt 0x16
	v_fmac_f64_e32 v[0:1], v[54:55], v[32:33]
	s_delay_alu instid0(VALU_DEP_3) | instskip(SKIP_1) | instid1(VALU_DEP_2)
	v_fmac_f64_e32 v[8:9], v[56:57], v[32:33]
	s_wait_loadcnt 0x15
	v_fmac_f64_e32 v[0:1], v[58:59], v[34:35]
	s_wait_loadcnt 0x14
	s_delay_alu instid0(VALU_DEP_2) | instskip(SKIP_1) | instid1(VALU_DEP_2)
	v_fmac_f64_e32 v[8:9], v[60:61], v[34:35]
	s_wait_loadcnt 0x11
	v_fmac_f64_e32 v[0:1], v[62:63], v[36:37]
	s_delay_alu instid0(VALU_DEP_2) | instskip(SKIP_1) | instid1(VALU_DEP_2)
	v_fmac_f64_e32 v[8:9], v[64:65], v[36:37]
	s_wait_loadcnt 0x10
	v_fmac_f64_e32 v[0:1], v[66:67], v[38:39]
	s_wait_loadcnt 0xf
	s_delay_alu instid0(VALU_DEP_2) | instskip(SKIP_1) | instid1(VALU_DEP_2)
	v_fmac_f64_e32 v[8:9], v[68:69], v[38:39]
	s_wait_loadcnt 0xc
	v_fmac_f64_e32 v[0:1], v[72:73], v[40:41]
	s_delay_alu instid0(VALU_DEP_2) | instskip(SKIP_1) | instid1(VALU_DEP_2)
	v_fmac_f64_e32 v[8:9], v[74:75], v[40:41]
	s_wait_loadcnt 0xb
	v_fmac_f64_e32 v[0:1], v[70:71], v[42:43]
	s_wait_loadcnt 0xa
	s_delay_alu instid0(VALU_DEP_2) | instskip(SKIP_1) | instid1(VALU_DEP_2)
	v_fmac_f64_e32 v[8:9], v[76:77], v[42:43]
	s_wait_loadcnt 0x6
	v_fmac_f64_e32 v[0:1], v[78:79], v[16:17]
	s_delay_alu instid0(VALU_DEP_2) | instskip(NEXT) | instid1(VALU_DEP_2)
	v_fmac_f64_e32 v[8:9], v[80:81], v[16:17]
	v_fmac_f64_e32 v[0:1], v[46:47], v[18:19]
	s_wait_loadcnt 0x5
	s_delay_alu instid0(VALU_DEP_2) | instskip(SKIP_1) | instid1(VALU_DEP_2)
	v_fmac_f64_e32 v[8:9], v[48:49], v[18:19]
	s_wait_loadcnt 0x2
	v_fmac_f64_e32 v[0:1], v[82:83], v[20:21]
	s_delay_alu instid0(VALU_DEP_2) | instskip(SKIP_1) | instid1(VALU_DEP_2)
	v_fmac_f64_e32 v[8:9], v[84:85], v[20:21]
	s_wait_loadcnt 0x1
	v_fmac_f64_e32 v[0:1], v[24:25], v[22:23]
	s_wait_loadcnt 0x0
	s_delay_alu instid0(VALU_DEP_2)
	v_fmac_f64_e32 v[8:9], v[26:27], v[22:23]
	s_and_not1_b32 exec_lo, exec_lo, s2
	s_cbranch_execnz .LBB139_15
; %bb.16:
	s_or_b32 exec_lo, exec_lo, s2
.LBB139_17:
	s_delay_alu instid0(SALU_CYCLE_1)
	s_or_b32 exec_lo, exec_lo, s3
.LBB139_18:
	v_mbcnt_lo_u32_b32 v14, -1, 0
	s_delay_alu instid0(VALU_DEP_1) | instskip(NEXT) | instid1(VALU_DEP_1)
	v_xor_b32_e32 v10, 16, v14
	v_cmp_gt_i32_e32 vcc_lo, 32, v10
	v_cndmask_b32_e32 v10, v14, v10, vcc_lo
	s_delay_alu instid0(VALU_DEP_1)
	v_lshlrev_b32_e32 v13, 2, v10
	ds_bpermute_b32 v10, v13, v0
	ds_bpermute_b32 v11, v13, v1
	s_wait_dscnt 0x0
	v_add_f64_e32 v[0:1], v[0:1], v[10:11]
	v_xor_b32_e32 v10, 8, v14
	s_delay_alu instid0(VALU_DEP_1)
	v_cmp_gt_i32_e32 vcc_lo, 32, v10
	v_cndmask_b32_e32 v10, v14, v10, vcc_lo
	ds_bpermute_b32 v12, v13, v8
	ds_bpermute_b32 v13, v13, v9
	s_wait_dscnt 0x0
	v_dual_add_f64 v[8:9], v[8:9], v[12:13] :: v_dual_lshlrev_b32 v13, 2, v10
	ds_bpermute_b32 v10, v13, v0
	ds_bpermute_b32 v11, v13, v1
	s_wait_dscnt 0x0
	v_add_f64_e32 v[0:1], v[0:1], v[10:11]
	v_xor_b32_e32 v10, 4, v14
	s_delay_alu instid0(VALU_DEP_1)
	v_cmp_gt_i32_e32 vcc_lo, 32, v10
	v_cndmask_b32_e32 v10, v14, v10, vcc_lo
	ds_bpermute_b32 v12, v13, v8
	ds_bpermute_b32 v13, v13, v9
	s_wait_dscnt 0x0
	v_dual_add_f64 v[8:9], v[8:9], v[12:13] :: v_dual_lshlrev_b32 v13, 2, v10
	;; [unrolled: 12-line block ×3, first 2 shown]
	ds_bpermute_b32 v10, v13, v0
	ds_bpermute_b32 v11, v13, v1
	s_wait_dscnt 0x0
	v_add_f64_e32 v[0:1], v[0:1], v[10:11]
	ds_bpermute_b32 v12, v13, v8
	ds_bpermute_b32 v13, v13, v9
	s_wait_dscnt 0x0
	v_dual_add_f64 v[10:11], v[8:9], v[12:13] :: v_dual_bitop2_b32 v8, 1, v14 bitop3:0x14
	s_delay_alu instid0(VALU_DEP_1) | instskip(SKIP_2) | instid1(VALU_DEP_2)
	v_cmp_gt_i32_e32 vcc_lo, 32, v8
	v_cndmask_b32_e32 v8, v14, v8, vcc_lo
	v_cmp_eq_u32_e32 vcc_lo, 31, v7
	v_lshlrev_b32_e32 v13, 2, v8
	ds_bpermute_b32 v8, v13, v0
	ds_bpermute_b32 v9, v13, v1
	ds_bpermute_b32 v12, v13, v10
	ds_bpermute_b32 v13, v13, v11
	s_and_b32 exec_lo, exec_lo, vcc_lo
	s_cbranch_execz .LBB139_23
; %bb.19:
	s_wait_dscnt 0x2
	v_add_f64_e32 v[8:9], v[0:1], v[8:9]
	s_wait_dscnt 0x0
	v_add_f64_e32 v[0:1], v[10:11], v[12:13]
	s_load_b64 s[0:1], s[0:1], 0x38
	s_mov_b32 s2, exec_lo
	v_cmpx_eq_f64_e32 0, v[4:5]
	s_xor_b32 s2, exec_lo, s2
	s_cbranch_execz .LBB139_21
; %bb.20:
	s_delay_alu instid0(VALU_DEP_3) | instskip(NEXT) | instid1(VALU_DEP_3)
	v_mul_f64_e32 v[8:9], v[2:3], v[8:9]
	v_dual_mul_f64 v[10:11], v[2:3], v[0:1] :: v_dual_lshlrev_b32 v0, 1, v6
                                        ; implicit-def: $vgpr6
                                        ; implicit-def: $vgpr2_vgpr3
                                        ; implicit-def: $vgpr4_vgpr5
	s_delay_alu instid0(VALU_DEP_1) | instskip(SKIP_1) | instid1(VALU_DEP_1)
	v_ashrrev_i32_e32 v1, 31, v0
	s_wait_kmcnt 0x0
	v_lshl_add_u64 v[0:1], v[0:1], 3, s[0:1]
	global_store_b128 v[0:1], v[8:11], off
                                        ; implicit-def: $vgpr8_vgpr9
                                        ; implicit-def: $vgpr0_vgpr1
.LBB139_21:
	s_wait_xcnt 0x0
	s_and_not1_saveexec_b32 s2, s2
	s_cbranch_execz .LBB139_23
; %bb.22:
	v_lshlrev_b32_e32 v6, 1, v6
	s_delay_alu instid0(VALU_DEP_1) | instskip(SKIP_1) | instid1(VALU_DEP_1)
	v_ashrrev_i32_e32 v7, 31, v6
	s_wait_kmcnt 0x0
	v_lshl_add_u64 v[14:15], v[6:7], 3, s[0:1]
	v_mul_f64_e32 v[6:7], v[2:3], v[8:9]
	v_mul_f64_e32 v[8:9], v[2:3], v[0:1]
	global_load_b128 v[10:13], v[14:15], off
	s_wait_loadcnt 0x0
	v_fmac_f64_e32 v[6:7], v[4:5], v[10:11]
	v_fmac_f64_e32 v[8:9], v[4:5], v[12:13]
	global_store_b128 v[14:15], v[6:9], off
.LBB139_23:
	s_sendmsg sendmsg(MSG_DEALLOC_VGPRS)
	s_endpgm
	.section	.rodata,"a",@progbits
	.p2align	6, 0x0
	.amdhsa_kernel _ZN9rocsparseL19gebsrmvn_2xn_kernelILj128ELj14ELj32EdEEvi20rocsparse_direction_NS_24const_host_device_scalarIT2_EEPKiS6_PKS3_S8_S4_PS3_21rocsparse_index_base_b
		.amdhsa_group_segment_fixed_size 0
		.amdhsa_private_segment_fixed_size 0
		.amdhsa_kernarg_size 72
		.amdhsa_user_sgpr_count 2
		.amdhsa_user_sgpr_dispatch_ptr 0
		.amdhsa_user_sgpr_queue_ptr 0
		.amdhsa_user_sgpr_kernarg_segment_ptr 1
		.amdhsa_user_sgpr_dispatch_id 0
		.amdhsa_user_sgpr_kernarg_preload_length 0
		.amdhsa_user_sgpr_kernarg_preload_offset 0
		.amdhsa_user_sgpr_private_segment_size 0
		.amdhsa_wavefront_size32 1
		.amdhsa_uses_dynamic_stack 0
		.amdhsa_enable_private_segment 0
		.amdhsa_system_sgpr_workgroup_id_x 1
		.amdhsa_system_sgpr_workgroup_id_y 0
		.amdhsa_system_sgpr_workgroup_id_z 0
		.amdhsa_system_sgpr_workgroup_info 0
		.amdhsa_system_vgpr_workitem_id 0
		.amdhsa_next_free_vgpr 92
		.amdhsa_next_free_sgpr 14
		.amdhsa_named_barrier_count 0
		.amdhsa_reserve_vcc 1
		.amdhsa_float_round_mode_32 0
		.amdhsa_float_round_mode_16_64 0
		.amdhsa_float_denorm_mode_32 3
		.amdhsa_float_denorm_mode_16_64 3
		.amdhsa_fp16_overflow 0
		.amdhsa_memory_ordered 1
		.amdhsa_forward_progress 1
		.amdhsa_inst_pref_size 22
		.amdhsa_round_robin_scheduling 0
		.amdhsa_exception_fp_ieee_invalid_op 0
		.amdhsa_exception_fp_denorm_src 0
		.amdhsa_exception_fp_ieee_div_zero 0
		.amdhsa_exception_fp_ieee_overflow 0
		.amdhsa_exception_fp_ieee_underflow 0
		.amdhsa_exception_fp_ieee_inexact 0
		.amdhsa_exception_int_div_zero 0
	.end_amdhsa_kernel
	.section	.text._ZN9rocsparseL19gebsrmvn_2xn_kernelILj128ELj14ELj32EdEEvi20rocsparse_direction_NS_24const_host_device_scalarIT2_EEPKiS6_PKS3_S8_S4_PS3_21rocsparse_index_base_b,"axG",@progbits,_ZN9rocsparseL19gebsrmvn_2xn_kernelILj128ELj14ELj32EdEEvi20rocsparse_direction_NS_24const_host_device_scalarIT2_EEPKiS6_PKS3_S8_S4_PS3_21rocsparse_index_base_b,comdat
.Lfunc_end139:
	.size	_ZN9rocsparseL19gebsrmvn_2xn_kernelILj128ELj14ELj32EdEEvi20rocsparse_direction_NS_24const_host_device_scalarIT2_EEPKiS6_PKS3_S8_S4_PS3_21rocsparse_index_base_b, .Lfunc_end139-_ZN9rocsparseL19gebsrmvn_2xn_kernelILj128ELj14ELj32EdEEvi20rocsparse_direction_NS_24const_host_device_scalarIT2_EEPKiS6_PKS3_S8_S4_PS3_21rocsparse_index_base_b
                                        ; -- End function
	.set _ZN9rocsparseL19gebsrmvn_2xn_kernelILj128ELj14ELj32EdEEvi20rocsparse_direction_NS_24const_host_device_scalarIT2_EEPKiS6_PKS3_S8_S4_PS3_21rocsparse_index_base_b.num_vgpr, 92
	.set _ZN9rocsparseL19gebsrmvn_2xn_kernelILj128ELj14ELj32EdEEvi20rocsparse_direction_NS_24const_host_device_scalarIT2_EEPKiS6_PKS3_S8_S4_PS3_21rocsparse_index_base_b.num_agpr, 0
	.set _ZN9rocsparseL19gebsrmvn_2xn_kernelILj128ELj14ELj32EdEEvi20rocsparse_direction_NS_24const_host_device_scalarIT2_EEPKiS6_PKS3_S8_S4_PS3_21rocsparse_index_base_b.numbered_sgpr, 14
	.set _ZN9rocsparseL19gebsrmvn_2xn_kernelILj128ELj14ELj32EdEEvi20rocsparse_direction_NS_24const_host_device_scalarIT2_EEPKiS6_PKS3_S8_S4_PS3_21rocsparse_index_base_b.num_named_barrier, 0
	.set _ZN9rocsparseL19gebsrmvn_2xn_kernelILj128ELj14ELj32EdEEvi20rocsparse_direction_NS_24const_host_device_scalarIT2_EEPKiS6_PKS3_S8_S4_PS3_21rocsparse_index_base_b.private_seg_size, 0
	.set _ZN9rocsparseL19gebsrmvn_2xn_kernelILj128ELj14ELj32EdEEvi20rocsparse_direction_NS_24const_host_device_scalarIT2_EEPKiS6_PKS3_S8_S4_PS3_21rocsparse_index_base_b.uses_vcc, 1
	.set _ZN9rocsparseL19gebsrmvn_2xn_kernelILj128ELj14ELj32EdEEvi20rocsparse_direction_NS_24const_host_device_scalarIT2_EEPKiS6_PKS3_S8_S4_PS3_21rocsparse_index_base_b.uses_flat_scratch, 0
	.set _ZN9rocsparseL19gebsrmvn_2xn_kernelILj128ELj14ELj32EdEEvi20rocsparse_direction_NS_24const_host_device_scalarIT2_EEPKiS6_PKS3_S8_S4_PS3_21rocsparse_index_base_b.has_dyn_sized_stack, 0
	.set _ZN9rocsparseL19gebsrmvn_2xn_kernelILj128ELj14ELj32EdEEvi20rocsparse_direction_NS_24const_host_device_scalarIT2_EEPKiS6_PKS3_S8_S4_PS3_21rocsparse_index_base_b.has_recursion, 0
	.set _ZN9rocsparseL19gebsrmvn_2xn_kernelILj128ELj14ELj32EdEEvi20rocsparse_direction_NS_24const_host_device_scalarIT2_EEPKiS6_PKS3_S8_S4_PS3_21rocsparse_index_base_b.has_indirect_call, 0
	.section	.AMDGPU.csdata,"",@progbits
; Kernel info:
; codeLenInByte = 2792
; TotalNumSgprs: 16
; NumVgprs: 92
; ScratchSize: 0
; MemoryBound: 1
; FloatMode: 240
; IeeeMode: 1
; LDSByteSize: 0 bytes/workgroup (compile time only)
; SGPRBlocks: 0
; VGPRBlocks: 5
; NumSGPRsForWavesPerEU: 16
; NumVGPRsForWavesPerEU: 92
; NamedBarCnt: 0
; Occupancy: 10
; WaveLimiterHint : 1
; COMPUTE_PGM_RSRC2:SCRATCH_EN: 0
; COMPUTE_PGM_RSRC2:USER_SGPR: 2
; COMPUTE_PGM_RSRC2:TRAP_HANDLER: 0
; COMPUTE_PGM_RSRC2:TGID_X_EN: 1
; COMPUTE_PGM_RSRC2:TGID_Y_EN: 0
; COMPUTE_PGM_RSRC2:TGID_Z_EN: 0
; COMPUTE_PGM_RSRC2:TIDIG_COMP_CNT: 0
	.section	.text._ZN9rocsparseL19gebsrmvn_2xn_kernelILj128ELj14ELj64EdEEvi20rocsparse_direction_NS_24const_host_device_scalarIT2_EEPKiS6_PKS3_S8_S4_PS3_21rocsparse_index_base_b,"axG",@progbits,_ZN9rocsparseL19gebsrmvn_2xn_kernelILj128ELj14ELj64EdEEvi20rocsparse_direction_NS_24const_host_device_scalarIT2_EEPKiS6_PKS3_S8_S4_PS3_21rocsparse_index_base_b,comdat
	.globl	_ZN9rocsparseL19gebsrmvn_2xn_kernelILj128ELj14ELj64EdEEvi20rocsparse_direction_NS_24const_host_device_scalarIT2_EEPKiS6_PKS3_S8_S4_PS3_21rocsparse_index_base_b ; -- Begin function _ZN9rocsparseL19gebsrmvn_2xn_kernelILj128ELj14ELj64EdEEvi20rocsparse_direction_NS_24const_host_device_scalarIT2_EEPKiS6_PKS3_S8_S4_PS3_21rocsparse_index_base_b
	.p2align	8
	.type	_ZN9rocsparseL19gebsrmvn_2xn_kernelILj128ELj14ELj64EdEEvi20rocsparse_direction_NS_24const_host_device_scalarIT2_EEPKiS6_PKS3_S8_S4_PS3_21rocsparse_index_base_b,@function
_ZN9rocsparseL19gebsrmvn_2xn_kernelILj128ELj14ELj64EdEEvi20rocsparse_direction_NS_24const_host_device_scalarIT2_EEPKiS6_PKS3_S8_S4_PS3_21rocsparse_index_base_b: ; @_ZN9rocsparseL19gebsrmvn_2xn_kernelILj128ELj14ELj64EdEEvi20rocsparse_direction_NS_24const_host_device_scalarIT2_EEPKiS6_PKS3_S8_S4_PS3_21rocsparse_index_base_b
; %bb.0:
	s_clause 0x2
	s_load_b64 s[12:13], s[0:1], 0x40
	s_load_b64 s[4:5], s[0:1], 0x8
	;; [unrolled: 1-line block ×3, first 2 shown]
	s_wait_kmcnt 0x0
	s_bitcmp1_b32 s13, 0
	v_mov_b64_e32 v[2:3], s[4:5]
	s_cselect_b32 s6, -1, 0
	s_delay_alu instid0(SALU_CYCLE_1)
	s_and_b32 vcc_lo, exec_lo, s6
	s_xor_b32 s6, s6, -1
	s_cbranch_vccnz .LBB140_2
; %bb.1:
	v_mov_b32_e32 v1, 0
	flat_load_b64 v[2:3], v1, s[4:5]
.LBB140_2:
	v_mov_b64_e32 v[4:5], s[2:3]
	s_and_not1_b32 vcc_lo, exec_lo, s6
	s_cbranch_vccnz .LBB140_4
; %bb.3:
	s_wait_xcnt 0x0
	v_mov_b32_e32 v1, 0
	flat_load_b64 v[4:5], v1, s[2:3]
.LBB140_4:
	s_wait_loadcnt_dscnt 0x0
	v_cmp_neq_f64_e32 vcc_lo, 0, v[2:3]
	s_delay_alu instid0(VALU_DEP_2) | instskip(SKIP_1) | instid1(SALU_CYCLE_1)
	v_cmp_neq_f64_e64 s2, 1.0, v[4:5]
	s_or_b32 s2, vcc_lo, s2
	s_and_saveexec_b32 s3, s2
	s_cbranch_execz .LBB140_23
; %bb.5:
	s_load_b64 s[2:3], s[0:1], 0x0
	s_bfe_u32 s4, ttmp6, 0x4000c
	s_and_b32 s5, ttmp6, 15
	s_add_co_i32 s4, s4, 1
	s_getreg_b32 s6, hwreg(HW_REG_IB_STS2, 6, 4)
	s_mul_i32 s4, ttmp9, s4
	v_lshrrev_b32_e32 v1, 6, v0
	s_add_co_i32 s5, s5, s4
	s_cmp_eq_u32 s6, 0
	s_cselect_b32 s4, ttmp9, s5
	s_delay_alu instid0(VALU_DEP_1) | instid1(SALU_CYCLE_1)
	v_lshl_or_b32 v6, s4, 1, v1
	s_wait_kmcnt 0x0
	s_delay_alu instid0(VALU_DEP_1)
	v_cmp_gt_i32_e32 vcc_lo, s2, v6
	s_and_b32 exec_lo, exec_lo, vcc_lo
	s_cbranch_execz .LBB140_23
; %bb.6:
	s_load_b256 s[4:11], s[0:1], 0x10
	v_ashrrev_i32_e32 v7, 31, v6
	s_cmp_lg_u32 s3, 0
	s_wait_kmcnt 0x0
	s_delay_alu instid0(VALU_DEP_1)
	v_lshl_add_u64 v[8:9], v[6:7], 2, s[4:5]
	v_and_b32_e32 v7, 63, v0
	global_load_b64 v[8:9], v[8:9], off
	s_wait_loadcnt 0x0
	v_subrev_nc_u32_e32 v0, s12, v8
	v_subrev_nc_u32_e32 v14, s12, v9
	s_delay_alu instid0(VALU_DEP_2) | instskip(NEXT) | instid1(VALU_DEP_1)
	v_add_nc_u32_e32 v15, v0, v7
	v_cmp_lt_i32_e64 s2, v15, v14
	s_cbranch_scc0 .LBB140_12
; %bb.7:
	v_mov_b64_e32 v[0:1], 0
	v_mov_b64_e32 v[8:9], 0
	s_and_saveexec_b32 s3, s2
	s_cbranch_execz .LBB140_11
; %bb.8:
	v_mad_u32 v10, v15, 28, 26
	v_mov_b64_e32 v[0:1], 0
	v_mov_b64_e32 v[8:9], 0
	v_dual_mov_b32 v13, 0 :: v_dual_mov_b32 v16, v15
	s_mov_b32 s4, 0
.LBB140_9:                              ; =>This Inner Loop Header: Depth=1
	global_load_b32 v11, v16, s[6:7] scale_offset
	v_subrev_nc_u32_e32 v12, 26, v10
	s_wait_xcnt 0x0
	v_add_nc_u32_e32 v16, 64, v16
	s_delay_alu instid0(VALU_DEP_2) | instskip(SKIP_1) | instid1(VALU_DEP_3)
	v_lshl_add_u64 v[30:31], v[12:13], 3, s[8:9]
	v_subrev_nc_u32_e32 v12, 22, v10
	v_cmp_ge_i32_e32 vcc_lo, v16, v14
	s_delay_alu instid0(VALU_DEP_2) | instskip(SKIP_3) | instid1(VALU_DEP_1)
	v_lshl_add_u64 v[38:39], v[12:13], 3, s[8:9]
	s_or_b32 s4, vcc_lo, s4
	s_wait_loadcnt 0x0
	v_subrev_nc_u32_e32 v11, s12, v11
	v_mul_lo_u32 v86, v11, 14
	v_dual_mov_b32 v87, v13 :: v_dual_mov_b32 v11, v13
	s_delay_alu instid0(VALU_DEP_2) | instskip(NEXT) | instid1(VALU_DEP_2)
	v_add_nc_u32_e32 v12, 2, v86
	v_lshl_add_u64 v[32:33], v[86:87], 3, s[10:11]
	global_load_b128 v[18:21], v[30:31], off
	global_load_b128 v[22:25], v[32:33], off
	global_load_b128 v[26:29], v[30:31], off offset:16
	v_lshl_add_u64 v[40:41], v[12:13], 3, s[10:11]
	global_load_b128 v[30:33], v[38:39], off
	global_load_b128 v[34:37], v[40:41], off
	v_subrev_nc_u32_e32 v12, 20, v10
	s_wait_xcnt 0x1
	s_delay_alu instid0(VALU_DEP_1) | instskip(SKIP_4) | instid1(VALU_DEP_1)
	v_lshl_add_u64 v[38:39], v[12:13], 3, s[8:9]
	v_subrev_nc_u32_e32 v12, 18, v10
	global_load_b128 v[38:41], v[38:39], off
	v_lshl_add_u64 v[50:51], v[12:13], 3, s[8:9]
	v_add_nc_u32_e32 v12, 4, v86
	v_lshl_add_u64 v[52:53], v[12:13], 3, s[10:11]
	global_load_b128 v[42:45], v[50:51], off
	global_load_b128 v[46:49], v[52:53], off
	v_add_nc_u32_e32 v12, -16, v10
	s_wait_xcnt 0x1
	s_delay_alu instid0(VALU_DEP_1) | instskip(SKIP_4) | instid1(VALU_DEP_1)
	v_lshl_add_u64 v[50:51], v[12:13], 3, s[8:9]
	v_add_nc_u32_e32 v12, -14, v10
	global_load_b128 v[50:53], v[50:51], off
	v_lshl_add_u64 v[62:63], v[12:13], 3, s[8:9]
	v_add_nc_u32_e32 v12, 6, v86
	v_lshl_add_u64 v[64:65], v[12:13], 3, s[10:11]
	global_load_b128 v[54:57], v[62:63], off
	global_load_b128 v[58:61], v[64:65], off
	v_add_nc_u32_e32 v12, -12, v10
	s_wait_xcnt 0x1
	s_delay_alu instid0(VALU_DEP_1) | instskip(SKIP_4) | instid1(VALU_DEP_1)
	v_lshl_add_u64 v[62:63], v[12:13], 3, s[8:9]
	v_add_nc_u32_e32 v12, -10, v10
	;; [unrolled: 11-line block ×3, first 2 shown]
	global_load_b128 v[74:77], v[74:75], off
	v_lshl_add_u64 v[88:89], v[12:13], 3, s[8:9]
	v_add_nc_u32_e32 v12, 10, v86
	v_lshl_add_u64 v[90:91], v[12:13], 3, s[10:11]
	global_load_b128 v[78:81], v[88:89], off
	global_load_b128 v[82:85], v[90:91], off
	v_add_nc_u32_e32 v12, -4, v10
	s_wait_loadcnt 0xf
	v_fmac_f64_e32 v[0:1], v[18:19], v[22:23]
	v_fmac_f64_e32 v[8:9], v[20:21], v[22:23]
	s_delay_alu instid0(VALU_DEP_3)
	v_lshl_add_u64 v[18:19], v[12:13], 3, s[8:9]
	v_add_nc_u32_e32 v12, -2, v10
	global_load_b128 v[18:21], v[18:19], off
	s_wait_xcnt 0x2
	v_lshl_add_u64 v[88:89], v[12:13], 3, s[8:9]
	v_add_nc_u32_e32 v12, 12, v86
	s_delay_alu instid0(VALU_DEP_1)
	v_lshl_add_u64 v[86:87], v[12:13], 3, s[10:11]
	s_wait_loadcnt 0xf
	v_fmac_f64_e32 v[0:1], v[26:27], v[24:25]
	v_fmac_f64_e32 v[8:9], v[28:29], v[24:25]
	global_load_b128 v[22:25], v[88:89], off
	global_load_b128 v[26:29], v[86:87], off
	s_wait_loadcnt 0xf
	v_fmac_f64_e32 v[0:1], v[30:31], v[34:35]
	v_fmac_f64_e32 v[8:9], v[32:33], v[34:35]
	v_lshl_add_u64 v[30:31], v[10:11], 3, s[8:9]
	v_add_nc_u32_e32 v10, 0x700, v10
	global_load_b128 v[30:33], v[30:31], off
	s_wait_loadcnt 0xf
	v_fmac_f64_e32 v[0:1], v[38:39], v[36:37]
	v_fmac_f64_e32 v[8:9], v[40:41], v[36:37]
	s_wait_loadcnt 0xd
	s_delay_alu instid0(VALU_DEP_2) | instskip(NEXT) | instid1(VALU_DEP_2)
	v_fmac_f64_e32 v[0:1], v[42:43], v[46:47]
	v_fmac_f64_e32 v[8:9], v[44:45], v[46:47]
	s_wait_loadcnt 0xc
	s_delay_alu instid0(VALU_DEP_2) | instskip(NEXT) | instid1(VALU_DEP_2)
	;; [unrolled: 4-line block ×10, first 2 shown]
	v_fmac_f64_e32 v[0:1], v[30:31], v[28:29]
	v_fmac_f64_e32 v[8:9], v[32:33], v[28:29]
	s_and_not1_b32 exec_lo, exec_lo, s4
	s_cbranch_execnz .LBB140_9
; %bb.10:
	s_or_b32 exec_lo, exec_lo, s4
.LBB140_11:
	s_delay_alu instid0(SALU_CYCLE_1)
	s_or_b32 exec_lo, exec_lo, s3
	s_cbranch_execz .LBB140_13
	s_branch .LBB140_18
.LBB140_12:
                                        ; implicit-def: $vgpr0_vgpr1
                                        ; implicit-def: $vgpr8_vgpr9
.LBB140_13:
	v_mov_b64_e32 v[0:1], 0
	v_mov_b64_e32 v[8:9], 0
	s_and_saveexec_b32 s3, s2
	s_cbranch_execz .LBB140_17
; %bb.14:
	v_mad_u32 v12, v15, 28, 27
	v_mov_b64_e32 v[0:1], 0
	v_mov_b64_e32 v[8:9], 0
	v_mov_b32_e32 v11, 0
	s_mov_b32 s2, 0
.LBB140_15:                             ; =>This Inner Loop Header: Depth=1
	global_load_b32 v13, v15, s[6:7] scale_offset
	v_subrev_nc_u32_e32 v10, 27, v12
	v_dual_mov_b32 v45, v11 :: v_dual_add_nc_u32 v20, -13, v12
	s_wait_xcnt 0x0
	v_dual_add_nc_u32 v38, -9, v12 :: v_dual_add_nc_u32 v15, 64, v15
	s_delay_alu instid0(VALU_DEP_3)
	v_lshl_add_u64 v[28:29], v[10:11], 3, s[8:9]
	s_clause 0x1
	global_load_b128 v[16:19], v[28:29], off
	global_load_b64 v[46:47], v20, s[8:9] scale_offset
	v_add_nc_u32_e32 v42, -7, v12
	v_cmp_ge_i32_e32 vcc_lo, v15, v14
	v_add_nc_u32_e32 v82, -3, v12
	s_or_b32 s2, vcc_lo, s2
	s_wait_loadcnt 0x2
	v_subrev_nc_u32_e32 v10, s12, v13
	v_subrev_nc_u32_e32 v13, 23, v12
	s_delay_alu instid0(VALU_DEP_2)
	v_mul_lo_u32 v44, v10, 14
	v_add_nc_u32_e32 v10, -12, v12
	global_load_b64 v[48:49], v10, s[8:9] scale_offset
	s_wait_xcnt 0x0
	v_add_nc_u32_e32 v10, -11, v12
	v_lshl_add_u64 v[20:21], v[44:45], 3, s[10:11]
	v_add_nc_u32_e32 v45, -5, v12
	global_load_b128 v[20:23], v[20:21], off
	s_clause 0x1
	global_load_b64 v[50:51], v10, s[8:9] scale_offset
	global_load_b128 v[24:27], v[28:29], off offset:16
	s_wait_xcnt 0x1
	v_add_nc_u32_e32 v10, 2, v44
	s_wait_xcnt 0x0
	s_delay_alu instid0(VALU_DEP_1)
	v_lshl_add_u64 v[28:29], v[10:11], 3, s[10:11]
	v_add_nc_u32_e32 v10, -10, v12
	global_load_b128 v[28:31], v[28:29], off
	global_load_b64 v[52:53], v10, s[8:9] scale_offset
	s_wait_xcnt 0x0
	v_add_nc_u32_e32 v10, 4, v44
	s_delay_alu instid0(VALU_DEP_1)
	v_lshl_add_u64 v[36:37], v[10:11], 3, s[10:11]
	s_clause 0x1
	global_load_b64 v[54:55], v13, s[8:9] scale_offset
	global_load_b64 v[56:57], v38, s[8:9] scale_offset
	global_load_b128 v[32:35], v[36:37], off
	v_subrev_nc_u32_e32 v10, 22, v12
	s_wait_xcnt 0x2
	v_add_nc_u32_e32 v13, -8, v12
	s_clause 0x1
	global_load_b64 v[58:59], v10, s[8:9] scale_offset
	global_load_b64 v[60:61], v13, s[8:9] scale_offset
	s_wait_xcnt 0x1
	v_add_nc_u32_e32 v10, 6, v44
	s_wait_xcnt 0x0
	v_subrev_nc_u32_e32 v13, 21, v12
	s_delay_alu instid0(VALU_DEP_2)
	v_lshl_add_u64 v[40:41], v[10:11], 3, s[10:11]
	s_clause 0x1
	global_load_b64 v[62:63], v13, s[8:9] scale_offset
	global_load_b64 v[64:65], v42, s[8:9] scale_offset
	global_load_b128 v[36:39], v[40:41], off
	v_subrev_nc_u32_e32 v10, 20, v12
	s_wait_xcnt 0x2
	v_add_nc_u32_e32 v13, -6, v12
	s_clause 0x1
	global_load_b64 v[66:67], v10, s[8:9] scale_offset
	global_load_b64 v[68:69], v13, s[8:9] scale_offset
	s_wait_xcnt 0x1
	v_add_nc_u32_e32 v10, 8, v44
	s_wait_xcnt 0x0
	v_subrev_nc_u32_e32 v13, 19, v12
	s_delay_alu instid0(VALU_DEP_2)
	v_lshl_add_u64 v[70:71], v[10:11], 3, s[10:11]
	s_clause 0x1
	global_load_b64 v[72:73], v13, s[8:9] scale_offset
	global_load_b64 v[74:75], v45, s[8:9] scale_offset
	global_load_b128 v[40:43], v[70:71], off
	v_subrev_nc_u32_e32 v10, 18, v12
	s_wait_xcnt 0x2
	v_add_nc_u32_e32 v13, -4, v12
	s_wait_xcnt 0x1
	v_subrev_nc_u32_e32 v45, 17, v12
	s_clause 0x3
	global_load_b64 v[70:71], v10, s[8:9] scale_offset
	global_load_b64 v[76:77], v13, s[8:9] scale_offset
	;; [unrolled: 1-line block ×4, first 2 shown]
	s_wait_xcnt 0x3
	v_add_nc_u32_e32 v10, 10, v44
	s_wait_xcnt 0x2
	v_add_nc_u32_e32 v13, -2, v12
	s_wait_loadcnt 0x15
	v_fmac_f64_e32 v[0:1], v[16:17], v[20:21]
	v_lshl_add_u64 v[16:17], v[10:11], 3, s[10:11]
	v_fmac_f64_e32 v[8:9], v[46:47], v[20:21]
	v_add_nc_u32_e32 v10, -16, v12
	global_load_b64 v[46:47], v10, s[8:9] scale_offset
	v_fmac_f64_e32 v[0:1], v[18:19], v[22:23]
	global_load_b128 v[16:19], v[16:17], off
	v_fmac_f64_e32 v[8:9], v[48:49], v[22:23]
	global_load_b64 v[48:49], v13, s[8:9] scale_offset
	s_wait_xcnt 0x0
	v_dual_add_nc_u32 v10, -15, v12 :: v_dual_add_nc_u32 v13, -1, v12
	s_clause 0x1
	global_load_b64 v[82:83], v10, s[8:9] scale_offset
	global_load_b64 v[84:85], v13, s[8:9] scale_offset
	s_wait_xcnt 0x1
	v_add_nc_u32_e32 v10, 12, v44
	s_delay_alu instid0(VALU_DEP_1)
	v_lshl_add_u64 v[20:21], v[10:11], 3, s[10:11]
	v_add_nc_u32_e32 v10, -14, v12
	global_load_b128 v[20:23], v[20:21], off
	s_wait_loadcnt 0x18
	v_fmac_f64_e32 v[0:1], v[24:25], v[28:29]
	v_fmac_f64_e32 v[8:9], v[50:51], v[28:29]
	s_delay_alu instid0(VALU_DEP_2)
	v_fmac_f64_e32 v[0:1], v[26:27], v[30:31]
	s_clause 0x1
	global_load_b64 v[24:25], v10, s[8:9] scale_offset
	global_load_b64 v[26:27], v12, s[8:9] scale_offset
	s_wait_loadcnt 0x19
	v_fmac_f64_e32 v[8:9], v[52:53], v[30:31]
	s_wait_xcnt 0x0
	v_add_nc_u32_e32 v12, 0x700, v12
	s_wait_loadcnt 0x16
	v_fmac_f64_e32 v[0:1], v[54:55], v[32:33]
	s_delay_alu instid0(VALU_DEP_3) | instskip(SKIP_1) | instid1(VALU_DEP_2)
	v_fmac_f64_e32 v[8:9], v[56:57], v[32:33]
	s_wait_loadcnt 0x15
	v_fmac_f64_e32 v[0:1], v[58:59], v[34:35]
	s_wait_loadcnt 0x14
	s_delay_alu instid0(VALU_DEP_2) | instskip(SKIP_1) | instid1(VALU_DEP_2)
	v_fmac_f64_e32 v[8:9], v[60:61], v[34:35]
	s_wait_loadcnt 0x11
	v_fmac_f64_e32 v[0:1], v[62:63], v[36:37]
	s_delay_alu instid0(VALU_DEP_2) | instskip(SKIP_1) | instid1(VALU_DEP_2)
	v_fmac_f64_e32 v[8:9], v[64:65], v[36:37]
	s_wait_loadcnt 0x10
	v_fmac_f64_e32 v[0:1], v[66:67], v[38:39]
	s_wait_loadcnt 0xf
	s_delay_alu instid0(VALU_DEP_2) | instskip(SKIP_1) | instid1(VALU_DEP_2)
	v_fmac_f64_e32 v[8:9], v[68:69], v[38:39]
	s_wait_loadcnt 0xc
	v_fmac_f64_e32 v[0:1], v[72:73], v[40:41]
	s_delay_alu instid0(VALU_DEP_2) | instskip(SKIP_1) | instid1(VALU_DEP_2)
	v_fmac_f64_e32 v[8:9], v[74:75], v[40:41]
	s_wait_loadcnt 0xb
	v_fmac_f64_e32 v[0:1], v[70:71], v[42:43]
	s_wait_loadcnt 0xa
	s_delay_alu instid0(VALU_DEP_2) | instskip(SKIP_1) | instid1(VALU_DEP_2)
	v_fmac_f64_e32 v[8:9], v[76:77], v[42:43]
	s_wait_loadcnt 0x6
	v_fmac_f64_e32 v[0:1], v[78:79], v[16:17]
	s_delay_alu instid0(VALU_DEP_2) | instskip(NEXT) | instid1(VALU_DEP_2)
	v_fmac_f64_e32 v[8:9], v[80:81], v[16:17]
	v_fmac_f64_e32 v[0:1], v[46:47], v[18:19]
	s_wait_loadcnt 0x5
	s_delay_alu instid0(VALU_DEP_2) | instskip(SKIP_1) | instid1(VALU_DEP_2)
	v_fmac_f64_e32 v[8:9], v[48:49], v[18:19]
	s_wait_loadcnt 0x2
	v_fmac_f64_e32 v[0:1], v[82:83], v[20:21]
	s_delay_alu instid0(VALU_DEP_2) | instskip(SKIP_1) | instid1(VALU_DEP_2)
	v_fmac_f64_e32 v[8:9], v[84:85], v[20:21]
	s_wait_loadcnt 0x1
	v_fmac_f64_e32 v[0:1], v[24:25], v[22:23]
	s_wait_loadcnt 0x0
	s_delay_alu instid0(VALU_DEP_2)
	v_fmac_f64_e32 v[8:9], v[26:27], v[22:23]
	s_and_not1_b32 exec_lo, exec_lo, s2
	s_cbranch_execnz .LBB140_15
; %bb.16:
	s_or_b32 exec_lo, exec_lo, s2
.LBB140_17:
	s_delay_alu instid0(SALU_CYCLE_1)
	s_or_b32 exec_lo, exec_lo, s3
.LBB140_18:
	v_mbcnt_lo_u32_b32 v14, -1, 0
	s_delay_alu instid0(VALU_DEP_1) | instskip(NEXT) | instid1(VALU_DEP_1)
	v_or_b32_e32 v10, 32, v14
	v_cmp_gt_i32_e32 vcc_lo, 32, v10
	v_cndmask_b32_e32 v10, v14, v10, vcc_lo
	s_delay_alu instid0(VALU_DEP_1)
	v_lshlrev_b32_e32 v13, 2, v10
	ds_bpermute_b32 v10, v13, v0
	ds_bpermute_b32 v11, v13, v1
	s_wait_dscnt 0x0
	v_add_f64_e32 v[0:1], v[0:1], v[10:11]
	v_xor_b32_e32 v10, 16, v14
	s_delay_alu instid0(VALU_DEP_1)
	v_cmp_gt_i32_e32 vcc_lo, 32, v10
	v_cndmask_b32_e32 v10, v14, v10, vcc_lo
	ds_bpermute_b32 v12, v13, v8
	ds_bpermute_b32 v13, v13, v9
	s_wait_dscnt 0x0
	v_dual_add_f64 v[8:9], v[8:9], v[12:13] :: v_dual_lshlrev_b32 v13, 2, v10
	ds_bpermute_b32 v10, v13, v0
	ds_bpermute_b32 v11, v13, v1
	s_wait_dscnt 0x0
	v_add_f64_e32 v[0:1], v[0:1], v[10:11]
	v_xor_b32_e32 v10, 8, v14
	s_delay_alu instid0(VALU_DEP_1)
	v_cmp_gt_i32_e32 vcc_lo, 32, v10
	v_cndmask_b32_e32 v10, v14, v10, vcc_lo
	ds_bpermute_b32 v12, v13, v8
	ds_bpermute_b32 v13, v13, v9
	s_wait_dscnt 0x0
	v_dual_add_f64 v[8:9], v[8:9], v[12:13] :: v_dual_lshlrev_b32 v13, 2, v10
	;; [unrolled: 12-line block ×4, first 2 shown]
	ds_bpermute_b32 v10, v13, v0
	ds_bpermute_b32 v11, v13, v1
	s_wait_dscnt 0x0
	v_add_f64_e32 v[0:1], v[0:1], v[10:11]
	ds_bpermute_b32 v12, v13, v8
	ds_bpermute_b32 v13, v13, v9
	s_wait_dscnt 0x0
	v_dual_add_f64 v[10:11], v[8:9], v[12:13] :: v_dual_bitop2_b32 v8, 1, v14 bitop3:0x14
	s_delay_alu instid0(VALU_DEP_1) | instskip(SKIP_2) | instid1(VALU_DEP_2)
	v_cmp_gt_i32_e32 vcc_lo, 32, v8
	v_cndmask_b32_e32 v8, v14, v8, vcc_lo
	v_cmp_eq_u32_e32 vcc_lo, 63, v7
	v_lshlrev_b32_e32 v13, 2, v8
	ds_bpermute_b32 v8, v13, v0
	ds_bpermute_b32 v9, v13, v1
	;; [unrolled: 1-line block ×4, first 2 shown]
	s_and_b32 exec_lo, exec_lo, vcc_lo
	s_cbranch_execz .LBB140_23
; %bb.19:
	s_wait_dscnt 0x2
	v_add_f64_e32 v[8:9], v[0:1], v[8:9]
	s_wait_dscnt 0x0
	v_add_f64_e32 v[0:1], v[10:11], v[12:13]
	s_load_b64 s[0:1], s[0:1], 0x38
	s_mov_b32 s2, exec_lo
	v_cmpx_eq_f64_e32 0, v[4:5]
	s_xor_b32 s2, exec_lo, s2
	s_cbranch_execz .LBB140_21
; %bb.20:
	s_delay_alu instid0(VALU_DEP_3) | instskip(NEXT) | instid1(VALU_DEP_3)
	v_mul_f64_e32 v[8:9], v[2:3], v[8:9]
	v_dual_mul_f64 v[10:11], v[2:3], v[0:1] :: v_dual_lshlrev_b32 v0, 1, v6
                                        ; implicit-def: $vgpr6
                                        ; implicit-def: $vgpr2_vgpr3
                                        ; implicit-def: $vgpr4_vgpr5
	s_delay_alu instid0(VALU_DEP_1) | instskip(SKIP_1) | instid1(VALU_DEP_1)
	v_ashrrev_i32_e32 v1, 31, v0
	s_wait_kmcnt 0x0
	v_lshl_add_u64 v[0:1], v[0:1], 3, s[0:1]
	global_store_b128 v[0:1], v[8:11], off
                                        ; implicit-def: $vgpr8_vgpr9
                                        ; implicit-def: $vgpr0_vgpr1
.LBB140_21:
	s_wait_xcnt 0x0
	s_and_not1_saveexec_b32 s2, s2
	s_cbranch_execz .LBB140_23
; %bb.22:
	v_lshlrev_b32_e32 v6, 1, v6
	s_delay_alu instid0(VALU_DEP_1) | instskip(SKIP_1) | instid1(VALU_DEP_1)
	v_ashrrev_i32_e32 v7, 31, v6
	s_wait_kmcnt 0x0
	v_lshl_add_u64 v[14:15], v[6:7], 3, s[0:1]
	v_mul_f64_e32 v[6:7], v[2:3], v[8:9]
	v_mul_f64_e32 v[8:9], v[2:3], v[0:1]
	global_load_b128 v[10:13], v[14:15], off
	s_wait_loadcnt 0x0
	v_fmac_f64_e32 v[6:7], v[4:5], v[10:11]
	v_fmac_f64_e32 v[8:9], v[4:5], v[12:13]
	global_store_b128 v[14:15], v[6:9], off
.LBB140_23:
	s_sendmsg sendmsg(MSG_DEALLOC_VGPRS)
	s_endpgm
	.section	.rodata,"a",@progbits
	.p2align	6, 0x0
	.amdhsa_kernel _ZN9rocsparseL19gebsrmvn_2xn_kernelILj128ELj14ELj64EdEEvi20rocsparse_direction_NS_24const_host_device_scalarIT2_EEPKiS6_PKS3_S8_S4_PS3_21rocsparse_index_base_b
		.amdhsa_group_segment_fixed_size 0
		.amdhsa_private_segment_fixed_size 0
		.amdhsa_kernarg_size 72
		.amdhsa_user_sgpr_count 2
		.amdhsa_user_sgpr_dispatch_ptr 0
		.amdhsa_user_sgpr_queue_ptr 0
		.amdhsa_user_sgpr_kernarg_segment_ptr 1
		.amdhsa_user_sgpr_dispatch_id 0
		.amdhsa_user_sgpr_kernarg_preload_length 0
		.amdhsa_user_sgpr_kernarg_preload_offset 0
		.amdhsa_user_sgpr_private_segment_size 0
		.amdhsa_wavefront_size32 1
		.amdhsa_uses_dynamic_stack 0
		.amdhsa_enable_private_segment 0
		.amdhsa_system_sgpr_workgroup_id_x 1
		.amdhsa_system_sgpr_workgroup_id_y 0
		.amdhsa_system_sgpr_workgroup_id_z 0
		.amdhsa_system_sgpr_workgroup_info 0
		.amdhsa_system_vgpr_workitem_id 0
		.amdhsa_next_free_vgpr 92
		.amdhsa_next_free_sgpr 14
		.amdhsa_named_barrier_count 0
		.amdhsa_reserve_vcc 1
		.amdhsa_float_round_mode_32 0
		.amdhsa_float_round_mode_16_64 0
		.amdhsa_float_denorm_mode_32 3
		.amdhsa_float_denorm_mode_16_64 3
		.amdhsa_fp16_overflow 0
		.amdhsa_memory_ordered 1
		.amdhsa_forward_progress 1
		.amdhsa_inst_pref_size 23
		.amdhsa_round_robin_scheduling 0
		.amdhsa_exception_fp_ieee_invalid_op 0
		.amdhsa_exception_fp_denorm_src 0
		.amdhsa_exception_fp_ieee_div_zero 0
		.amdhsa_exception_fp_ieee_overflow 0
		.amdhsa_exception_fp_ieee_underflow 0
		.amdhsa_exception_fp_ieee_inexact 0
		.amdhsa_exception_int_div_zero 0
	.end_amdhsa_kernel
	.section	.text._ZN9rocsparseL19gebsrmvn_2xn_kernelILj128ELj14ELj64EdEEvi20rocsparse_direction_NS_24const_host_device_scalarIT2_EEPKiS6_PKS3_S8_S4_PS3_21rocsparse_index_base_b,"axG",@progbits,_ZN9rocsparseL19gebsrmvn_2xn_kernelILj128ELj14ELj64EdEEvi20rocsparse_direction_NS_24const_host_device_scalarIT2_EEPKiS6_PKS3_S8_S4_PS3_21rocsparse_index_base_b,comdat
.Lfunc_end140:
	.size	_ZN9rocsparseL19gebsrmvn_2xn_kernelILj128ELj14ELj64EdEEvi20rocsparse_direction_NS_24const_host_device_scalarIT2_EEPKiS6_PKS3_S8_S4_PS3_21rocsparse_index_base_b, .Lfunc_end140-_ZN9rocsparseL19gebsrmvn_2xn_kernelILj128ELj14ELj64EdEEvi20rocsparse_direction_NS_24const_host_device_scalarIT2_EEPKiS6_PKS3_S8_S4_PS3_21rocsparse_index_base_b
                                        ; -- End function
	.set _ZN9rocsparseL19gebsrmvn_2xn_kernelILj128ELj14ELj64EdEEvi20rocsparse_direction_NS_24const_host_device_scalarIT2_EEPKiS6_PKS3_S8_S4_PS3_21rocsparse_index_base_b.num_vgpr, 92
	.set _ZN9rocsparseL19gebsrmvn_2xn_kernelILj128ELj14ELj64EdEEvi20rocsparse_direction_NS_24const_host_device_scalarIT2_EEPKiS6_PKS3_S8_S4_PS3_21rocsparse_index_base_b.num_agpr, 0
	.set _ZN9rocsparseL19gebsrmvn_2xn_kernelILj128ELj14ELj64EdEEvi20rocsparse_direction_NS_24const_host_device_scalarIT2_EEPKiS6_PKS3_S8_S4_PS3_21rocsparse_index_base_b.numbered_sgpr, 14
	.set _ZN9rocsparseL19gebsrmvn_2xn_kernelILj128ELj14ELj64EdEEvi20rocsparse_direction_NS_24const_host_device_scalarIT2_EEPKiS6_PKS3_S8_S4_PS3_21rocsparse_index_base_b.num_named_barrier, 0
	.set _ZN9rocsparseL19gebsrmvn_2xn_kernelILj128ELj14ELj64EdEEvi20rocsparse_direction_NS_24const_host_device_scalarIT2_EEPKiS6_PKS3_S8_S4_PS3_21rocsparse_index_base_b.private_seg_size, 0
	.set _ZN9rocsparseL19gebsrmvn_2xn_kernelILj128ELj14ELj64EdEEvi20rocsparse_direction_NS_24const_host_device_scalarIT2_EEPKiS6_PKS3_S8_S4_PS3_21rocsparse_index_base_b.uses_vcc, 1
	.set _ZN9rocsparseL19gebsrmvn_2xn_kernelILj128ELj14ELj64EdEEvi20rocsparse_direction_NS_24const_host_device_scalarIT2_EEPKiS6_PKS3_S8_S4_PS3_21rocsparse_index_base_b.uses_flat_scratch, 0
	.set _ZN9rocsparseL19gebsrmvn_2xn_kernelILj128ELj14ELj64EdEEvi20rocsparse_direction_NS_24const_host_device_scalarIT2_EEPKiS6_PKS3_S8_S4_PS3_21rocsparse_index_base_b.has_dyn_sized_stack, 0
	.set _ZN9rocsparseL19gebsrmvn_2xn_kernelILj128ELj14ELj64EdEEvi20rocsparse_direction_NS_24const_host_device_scalarIT2_EEPKiS6_PKS3_S8_S4_PS3_21rocsparse_index_base_b.has_recursion, 0
	.set _ZN9rocsparseL19gebsrmvn_2xn_kernelILj128ELj14ELj64EdEEvi20rocsparse_direction_NS_24const_host_device_scalarIT2_EEPKiS6_PKS3_S8_S4_PS3_21rocsparse_index_base_b.has_indirect_call, 0
	.section	.AMDGPU.csdata,"",@progbits
; Kernel info:
; codeLenInByte = 2864
; TotalNumSgprs: 16
; NumVgprs: 92
; ScratchSize: 0
; MemoryBound: 1
; FloatMode: 240
; IeeeMode: 1
; LDSByteSize: 0 bytes/workgroup (compile time only)
; SGPRBlocks: 0
; VGPRBlocks: 5
; NumSGPRsForWavesPerEU: 16
; NumVGPRsForWavesPerEU: 92
; NamedBarCnt: 0
; Occupancy: 10
; WaveLimiterHint : 1
; COMPUTE_PGM_RSRC2:SCRATCH_EN: 0
; COMPUTE_PGM_RSRC2:USER_SGPR: 2
; COMPUTE_PGM_RSRC2:TRAP_HANDLER: 0
; COMPUTE_PGM_RSRC2:TGID_X_EN: 1
; COMPUTE_PGM_RSRC2:TGID_Y_EN: 0
; COMPUTE_PGM_RSRC2:TGID_Z_EN: 0
; COMPUTE_PGM_RSRC2:TIDIG_COMP_CNT: 0
	.section	.text._ZN9rocsparseL19gebsrmvn_2xn_kernelILj128ELj15ELj4EdEEvi20rocsparse_direction_NS_24const_host_device_scalarIT2_EEPKiS6_PKS3_S8_S4_PS3_21rocsparse_index_base_b,"axG",@progbits,_ZN9rocsparseL19gebsrmvn_2xn_kernelILj128ELj15ELj4EdEEvi20rocsparse_direction_NS_24const_host_device_scalarIT2_EEPKiS6_PKS3_S8_S4_PS3_21rocsparse_index_base_b,comdat
	.globl	_ZN9rocsparseL19gebsrmvn_2xn_kernelILj128ELj15ELj4EdEEvi20rocsparse_direction_NS_24const_host_device_scalarIT2_EEPKiS6_PKS3_S8_S4_PS3_21rocsparse_index_base_b ; -- Begin function _ZN9rocsparseL19gebsrmvn_2xn_kernelILj128ELj15ELj4EdEEvi20rocsparse_direction_NS_24const_host_device_scalarIT2_EEPKiS6_PKS3_S8_S4_PS3_21rocsparse_index_base_b
	.p2align	8
	.type	_ZN9rocsparseL19gebsrmvn_2xn_kernelILj128ELj15ELj4EdEEvi20rocsparse_direction_NS_24const_host_device_scalarIT2_EEPKiS6_PKS3_S8_S4_PS3_21rocsparse_index_base_b,@function
_ZN9rocsparseL19gebsrmvn_2xn_kernelILj128ELj15ELj4EdEEvi20rocsparse_direction_NS_24const_host_device_scalarIT2_EEPKiS6_PKS3_S8_S4_PS3_21rocsparse_index_base_b: ; @_ZN9rocsparseL19gebsrmvn_2xn_kernelILj128ELj15ELj4EdEEvi20rocsparse_direction_NS_24const_host_device_scalarIT2_EEPKiS6_PKS3_S8_S4_PS3_21rocsparse_index_base_b
; %bb.0:
	s_clause 0x2
	s_load_b64 s[12:13], s[0:1], 0x40
	s_load_b64 s[4:5], s[0:1], 0x8
	;; [unrolled: 1-line block ×3, first 2 shown]
	s_wait_kmcnt 0x0
	s_bitcmp1_b32 s13, 0
	v_mov_b64_e32 v[2:3], s[4:5]
	s_cselect_b32 s6, -1, 0
	s_delay_alu instid0(SALU_CYCLE_1)
	s_and_b32 vcc_lo, exec_lo, s6
	s_xor_b32 s6, s6, -1
	s_cbranch_vccnz .LBB141_2
; %bb.1:
	v_mov_b32_e32 v1, 0
	flat_load_b64 v[2:3], v1, s[4:5]
.LBB141_2:
	v_mov_b64_e32 v[4:5], s[2:3]
	s_and_not1_b32 vcc_lo, exec_lo, s6
	s_cbranch_vccnz .LBB141_4
; %bb.3:
	s_wait_xcnt 0x0
	v_mov_b32_e32 v1, 0
	flat_load_b64 v[4:5], v1, s[2:3]
.LBB141_4:
	s_wait_loadcnt_dscnt 0x0
	v_cmp_neq_f64_e32 vcc_lo, 0, v[2:3]
	s_delay_alu instid0(VALU_DEP_2) | instskip(SKIP_1) | instid1(SALU_CYCLE_1)
	v_cmp_neq_f64_e64 s2, 1.0, v[4:5]
	s_or_b32 s2, vcc_lo, s2
	s_and_saveexec_b32 s3, s2
	s_cbranch_execz .LBB141_23
; %bb.5:
	s_load_b64 s[2:3], s[0:1], 0x0
	s_bfe_u32 s4, ttmp6, 0x4000c
	s_and_b32 s5, ttmp6, 15
	s_add_co_i32 s4, s4, 1
	s_getreg_b32 s6, hwreg(HW_REG_IB_STS2, 6, 4)
	s_mul_i32 s4, ttmp9, s4
	v_lshrrev_b32_e32 v1, 2, v0
	s_add_co_i32 s5, s5, s4
	s_cmp_eq_u32 s6, 0
	s_cselect_b32 s4, ttmp9, s5
	s_delay_alu instid0(VALU_DEP_1) | instid1(SALU_CYCLE_1)
	v_lshl_or_b32 v6, s4, 5, v1
	s_wait_kmcnt 0x0
	s_delay_alu instid0(VALU_DEP_1)
	v_cmp_gt_i32_e32 vcc_lo, s2, v6
	s_and_b32 exec_lo, exec_lo, vcc_lo
	s_cbranch_execz .LBB141_23
; %bb.6:
	s_load_b256 s[4:11], s[0:1], 0x10
	v_ashrrev_i32_e32 v7, 31, v6
	s_cmp_lg_u32 s3, 0
	s_wait_kmcnt 0x0
	s_delay_alu instid0(VALU_DEP_1)
	v_lshl_add_u64 v[8:9], v[6:7], 2, s[4:5]
	v_and_b32_e32 v7, 3, v0
	global_load_b64 v[8:9], v[8:9], off
	s_wait_loadcnt 0x0
	v_subrev_nc_u32_e32 v0, s12, v8
	v_subrev_nc_u32_e32 v14, s12, v9
	s_delay_alu instid0(VALU_DEP_2) | instskip(NEXT) | instid1(VALU_DEP_1)
	v_add_nc_u32_e32 v15, v0, v7
	v_cmp_lt_i32_e64 s2, v15, v14
	s_cbranch_scc0 .LBB141_12
; %bb.7:
	v_mov_b64_e32 v[0:1], 0
	v_mov_b64_e32 v[8:9], 0
	s_and_saveexec_b32 s3, s2
	s_cbranch_execz .LBB141_11
; %bb.8:
	v_mad_u32 v10, v15, 30, 28
	v_mov_b64_e32 v[0:1], 0
	v_mov_b64_e32 v[8:9], 0
	v_dual_mov_b32 v13, 0 :: v_dual_mov_b32 v16, v15
	s_mov_b32 s4, 0
.LBB141_9:                              ; =>This Inner Loop Header: Depth=1
	global_load_b32 v11, v16, s[6:7] scale_offset
	v_subrev_nc_u32_e32 v12, 28, v10
	s_wait_xcnt 0x0
	v_add_nc_u32_e32 v16, 4, v16
	s_delay_alu instid0(VALU_DEP_2) | instskip(SKIP_1) | instid1(VALU_DEP_3)
	v_lshl_add_u64 v[22:23], v[12:13], 3, s[8:9]
	v_subrev_nc_u32_e32 v12, 26, v10
	v_cmp_ge_i32_e32 vcc_lo, v16, v14
	s_delay_alu instid0(VALU_DEP_2) | instskip(SKIP_2) | instid1(VALU_DEP_1)
	v_lshl_add_u64 v[26:27], v[12:13], 3, s[8:9]
	v_subrev_nc_u32_e32 v12, 24, v10
	s_or_b32 s4, vcc_lo, s4
	v_lshl_add_u64 v[30:31], v[12:13], 3, s[8:9]
	v_subrev_nc_u32_e32 v12, 22, v10
	s_delay_alu instid0(VALU_DEP_1) | instskip(SKIP_1) | instid1(VALU_DEP_1)
	v_lshl_add_u64 v[34:35], v[12:13], 3, s[8:9]
	v_subrev_nc_u32_e32 v12, 20, v10
	v_lshl_add_u64 v[38:39], v[12:13], 3, s[8:9]
	v_subrev_nc_u32_e32 v12, 18, v10
	s_delay_alu instid0(VALU_DEP_1) | instskip(SKIP_1) | instid1(VALU_DEP_1)
	v_lshl_add_u64 v[42:43], v[12:13], 3, s[8:9]
	v_add_nc_u32_e32 v12, -16, v10
	v_lshl_add_u64 v[46:47], v[12:13], 3, s[8:9]
	v_add_nc_u32_e32 v12, -14, v10
	s_delay_alu instid0(VALU_DEP_1) | instskip(SKIP_1) | instid1(VALU_DEP_1)
	v_lshl_add_u64 v[50:51], v[12:13], 3, s[8:9]
	v_add_nc_u32_e32 v12, -12, v10
	v_lshl_add_u64 v[54:55], v[12:13], 3, s[8:9]
	v_add_nc_u32_e32 v12, -10, v10
	;; [unrolled: 5-line block ×3, first 2 shown]
	s_wait_loadcnt 0x0
	v_subrev_nc_u32_e32 v11, s12, v11
	s_delay_alu instid0(VALU_DEP_1)
	v_mul_lo_u32 v17, v11, 15
	global_load_b128 v[18:21], v[22:23], off
	global_load_b64 v[62:63], v17, s[10:11] scale_offset
	v_add_nc_u32_e32 v11, 1, v17
	global_load_b128 v[22:25], v[26:27], off
	global_load_b64 v[64:65], v11, s[10:11] scale_offset
	s_wait_xcnt 0x0
	v_add_nc_u32_e32 v11, 2, v17
	global_load_b128 v[26:29], v[30:31], off
	global_load_b64 v[66:67], v11, s[10:11] scale_offset
	s_wait_xcnt 0x0
	;; [unrolled: 4-line block ×6, first 2 shown]
	v_add_nc_u32_e32 v11, 7, v17
	s_wait_loadcnt 0xc
	v_fmac_f64_e32 v[0:1], v[18:19], v[62:63]
	v_fmac_f64_e32 v[8:9], v[20:21], v[62:63]
	v_lshl_add_u64 v[62:63], v[12:13], 3, s[8:9]
	v_add_nc_u32_e32 v12, -4, v10
	global_load_b128 v[46:49], v[50:51], off
	global_load_b64 v[76:77], v11, s[10:11] scale_offset
	s_wait_xcnt 0x0
	v_add_nc_u32_e32 v11, 8, v17
	global_load_b128 v[50:53], v[54:55], off
	global_load_b64 v[78:79], v11, s[10:11] scale_offset
	s_wait_xcnt 0x0
	v_add_nc_u32_e32 v11, 9, v17
	;; [unrolled: 4-line block ×4, first 2 shown]
	global_load_b128 v[18:21], v[62:63], off
	global_load_b64 v[82:83], v11, s[10:11] scale_offset
	s_wait_xcnt 0x1
	v_lshl_add_u64 v[62:63], v[12:13], 3, s[8:9]
	s_wait_xcnt 0x0
	v_dual_add_nc_u32 v11, 12, v17 :: v_dual_add_nc_u32 v12, -2, v10
	s_wait_loadcnt 0x14
	v_fmac_f64_e32 v[0:1], v[22:23], v[64:65]
	v_fmac_f64_e32 v[8:9], v[24:25], v[64:65]
	global_load_b128 v[22:25], v[62:63], off
	global_load_b64 v[64:65], v11, s[10:11] scale_offset
	s_wait_xcnt 0x1
	v_lshl_add_u64 v[62:63], v[12:13], 3, s[8:9]
	s_wait_xcnt 0x0
	v_add_nc_u32_e32 v11, 13, v17
	s_wait_loadcnt 0x14
	v_fmac_f64_e32 v[0:1], v[26:27], v[66:67]
	v_fmac_f64_e32 v[8:9], v[28:29], v[66:67]
	global_load_b128 v[26:29], v[62:63], off
	global_load_b64 v[66:67], v11, s[10:11] scale_offset
	s_wait_xcnt 0x0
	v_mov_b32_e32 v11, v13
	s_delay_alu instid0(VALU_DEP_1)
	v_lshl_add_u64 v[62:63], v[10:11], 3, s[8:9]
	v_add_nc_u32_e32 v11, 14, v17
	v_add_nc_u32_e32 v10, 0x78, v10
	s_wait_loadcnt 0x14
	v_fmac_f64_e32 v[0:1], v[30:31], v[68:69]
	v_fmac_f64_e32 v[8:9], v[32:33], v[68:69]
	global_load_b128 v[30:33], v[62:63], off
	global_load_b64 v[68:69], v11, s[10:11] scale_offset
	s_wait_loadcnt 0x14
	v_fmac_f64_e32 v[0:1], v[34:35], v[70:71]
	v_fmac_f64_e32 v[8:9], v[36:37], v[70:71]
	s_wait_loadcnt 0x12
	s_delay_alu instid0(VALU_DEP_2) | instskip(NEXT) | instid1(VALU_DEP_2)
	v_fmac_f64_e32 v[0:1], v[38:39], v[72:73]
	v_fmac_f64_e32 v[8:9], v[40:41], v[72:73]
	s_wait_loadcnt 0x10
	s_delay_alu instid0(VALU_DEP_2) | instskip(NEXT) | instid1(VALU_DEP_2)
	v_fmac_f64_e32 v[0:1], v[42:43], v[74:75]
	v_fmac_f64_e32 v[8:9], v[44:45], v[74:75]
	s_wait_loadcnt 0xe
	s_delay_alu instid0(VALU_DEP_2) | instskip(NEXT) | instid1(VALU_DEP_2)
	v_fmac_f64_e32 v[0:1], v[46:47], v[76:77]
	v_fmac_f64_e32 v[8:9], v[48:49], v[76:77]
	s_wait_loadcnt 0xc
	s_delay_alu instid0(VALU_DEP_2) | instskip(NEXT) | instid1(VALU_DEP_2)
	v_fmac_f64_e32 v[0:1], v[50:51], v[78:79]
	v_fmac_f64_e32 v[8:9], v[52:53], v[78:79]
	s_wait_loadcnt 0xa
	s_delay_alu instid0(VALU_DEP_2) | instskip(NEXT) | instid1(VALU_DEP_2)
	v_fmac_f64_e32 v[0:1], v[54:55], v[80:81]
	v_fmac_f64_e32 v[8:9], v[56:57], v[80:81]
	s_wait_loadcnt 0x8
	s_delay_alu instid0(VALU_DEP_2) | instskip(NEXT) | instid1(VALU_DEP_2)
	v_fmac_f64_e32 v[0:1], v[58:59], v[84:85]
	v_fmac_f64_e32 v[8:9], v[60:61], v[84:85]
	s_wait_loadcnt 0x6
	s_delay_alu instid0(VALU_DEP_2) | instskip(NEXT) | instid1(VALU_DEP_2)
	v_fmac_f64_e32 v[0:1], v[18:19], v[82:83]
	v_fmac_f64_e32 v[8:9], v[20:21], v[82:83]
	s_wait_loadcnt 0x4
	s_delay_alu instid0(VALU_DEP_2) | instskip(NEXT) | instid1(VALU_DEP_2)
	v_fmac_f64_e32 v[0:1], v[22:23], v[64:65]
	v_fmac_f64_e32 v[8:9], v[24:25], v[64:65]
	s_wait_loadcnt 0x2
	s_delay_alu instid0(VALU_DEP_2) | instskip(NEXT) | instid1(VALU_DEP_2)
	v_fmac_f64_e32 v[0:1], v[26:27], v[66:67]
	v_fmac_f64_e32 v[8:9], v[28:29], v[66:67]
	s_wait_loadcnt 0x0
	s_delay_alu instid0(VALU_DEP_2) | instskip(NEXT) | instid1(VALU_DEP_2)
	v_fmac_f64_e32 v[0:1], v[30:31], v[68:69]
	v_fmac_f64_e32 v[8:9], v[32:33], v[68:69]
	s_and_not1_b32 exec_lo, exec_lo, s4
	s_cbranch_execnz .LBB141_9
; %bb.10:
	s_or_b32 exec_lo, exec_lo, s4
.LBB141_11:
	s_delay_alu instid0(SALU_CYCLE_1)
	s_or_b32 exec_lo, exec_lo, s3
	s_cbranch_execz .LBB141_13
	s_branch .LBB141_18
.LBB141_12:
                                        ; implicit-def: $vgpr0_vgpr1
                                        ; implicit-def: $vgpr8_vgpr9
.LBB141_13:
	v_mov_b64_e32 v[0:1], 0
	v_mov_b64_e32 v[8:9], 0
	s_and_saveexec_b32 s3, s2
	s_cbranch_execz .LBB141_17
; %bb.14:
	v_mad_u32 v12, v15, 30, 29
	v_mov_b64_e32 v[0:1], 0
	v_mov_b64_e32 v[8:9], 0
	v_mov_b32_e32 v11, 0
	s_mov_b32 s2, 0
.LBB141_15:                             ; =>This Inner Loop Header: Depth=1
	global_load_b32 v13, v15, s[6:7] scale_offset
	v_subrev_nc_u32_e32 v10, 29, v12
	s_wait_xcnt 0x0
	v_dual_add_nc_u32 v26, -14, v12 :: v_dual_add_nc_u32 v15, 4, v15
	v_dual_add_nc_u32 v34, -12, v12 :: v_dual_add_nc_u32 v40, -11, v12
	s_delay_alu instid0(VALU_DEP_3)
	v_lshl_add_u64 v[20:21], v[10:11], 3, s[8:9]
	v_dual_add_nc_u32 v10, -13, v12 :: v_dual_add_nc_u32 v46, -10, v12
	v_dual_add_nc_u32 v52, -9, v12 :: v_dual_add_nc_u32 v58, -8, v12
	;; [unrolled: 1-line block ×4, first 2 shown]
	v_cmp_ge_i32_e32 vcc_lo, v15, v14
	v_add_nc_u32_e32 v82, -2, v12
	s_or_b32 s2, vcc_lo, s2
	s_wait_loadcnt 0x0
	v_subrev_nc_u32_e32 v13, s12, v13
	s_delay_alu instid0(VALU_DEP_1)
	v_mul_lo_u32 v13, v13, 15
	s_clause 0x1
	global_load_b128 v[16:19], v[20:21], off
	global_load_b64 v[22:23], v26, s[8:9] scale_offset
	global_load_b64 v[24:25], v13, s[10:11] scale_offset
	v_add_nc_u32_e32 v28, 1, v13
	global_load_b64 v[20:21], v10, s[8:9] scale_offset
	global_load_b64 v[26:27], v28, s[10:11] scale_offset
	s_wait_xcnt 0x1
	v_subrev_nc_u32_e32 v10, 27, v12
	v_add_nc_u32_e32 v35, 2, v13
	s_clause 0x1
	global_load_b64 v[28:29], v10, s[8:9] scale_offset
	global_load_b64 v[30:31], v34, s[8:9] scale_offset
	global_load_b64 v[32:33], v35, s[10:11] scale_offset
	s_wait_xcnt 0x2
	v_subrev_nc_u32_e32 v10, 26, v12
	v_add_nc_u32_e32 v41, 3, v13
	s_clause 0x1
	global_load_b64 v[34:35], v10, s[8:9] scale_offset
	;; [unrolled: 7-line block ×8, first 2 shown]
	global_load_b64 v[72:73], v76, s[8:9] scale_offset
	global_load_b64 v[74:75], v77, s[10:11] scale_offset
	s_wait_xcnt 0x2
	v_subrev_nc_u32_e32 v10, 19, v12
	s_clause 0x1
	global_load_b64 v[76:77], v10, s[8:9] scale_offset
	global_load_b64 v[78:79], v80, s[8:9] scale_offset
	s_wait_xcnt 0x1
	v_dual_add_nc_u32 v10, 10, v13 :: v_dual_add_nc_u32 v83, 12, v13
	s_wait_loadcnt 0x1c
	v_fmac_f64_e32 v[0:1], v[16:17], v[24:25]
	v_fmac_f64_e32 v[8:9], v[22:23], v[24:25]
	v_add_nc_u32_e32 v24, -3, v12
	global_load_b64 v[80:81], v10, s[10:11] scale_offset
	s_wait_xcnt 0x0
	v_subrev_nc_u32_e32 v10, 18, v12
	v_add_nc_u32_e32 v25, 11, v13
	global_load_b64 v[16:17], v10, s[8:9] scale_offset
	s_wait_xcnt 0x0
	v_subrev_nc_u32_e32 v10, 17, v12
	s_wait_loadcnt 0x1c
	v_fmac_f64_e32 v[0:1], v[18:19], v[26:27]
	global_load_b64 v[18:19], v24, s[8:9] scale_offset
	global_load_b64 v[22:23], v25, s[10:11] scale_offset
	v_fmac_f64_e32 v[8:9], v[20:21], v[26:27]
	s_clause 0x1
	global_load_b64 v[20:21], v10, s[8:9] scale_offset
	global_load_b64 v[24:25], v82, s[8:9] scale_offset
	;; [unrolled: 1-line block ×3, first 2 shown]
	s_wait_xcnt 0x1
	v_dual_add_nc_u32 v10, -16, v12 :: v_dual_add_nc_u32 v82, -1, v12
	s_wait_xcnt 0x0
	v_dual_add_nc_u32 v83, 13, v13 :: v_dual_add_nc_u32 v13, 14, v13
	s_wait_loadcnt 0x1e
	v_fmac_f64_e32 v[0:1], v[28:29], v[32:33]
	v_fmac_f64_e32 v[8:9], v[30:31], v[32:33]
	s_clause 0x1
	global_load_b64 v[28:29], v10, s[8:9] scale_offset
	global_load_b64 v[30:31], v82, s[8:9] scale_offset
	;; [unrolled: 1-line block ×3, first 2 shown]
	s_wait_xcnt 0x2
	v_add_nc_u32_e32 v10, -15, v12
	s_wait_loadcnt 0x1e
	v_fmac_f64_e32 v[0:1], v[34:35], v[38:39]
	v_fmac_f64_e32 v[8:9], v[36:37], v[38:39]
	s_clause 0x1
	global_load_b64 v[34:35], v12, s[8:9] scale_offset
	global_load_b64 v[36:37], v10, s[8:9] scale_offset
	;; [unrolled: 1-line block ×3, first 2 shown]
	s_wait_xcnt 0x2
	v_add_nc_u32_e32 v12, 0x78, v12
	s_wait_loadcnt 0x1e
	v_fmac_f64_e32 v[0:1], v[40:41], v[44:45]
	v_fmac_f64_e32 v[8:9], v[42:43], v[44:45]
	s_wait_loadcnt 0x1b
	s_delay_alu instid0(VALU_DEP_2) | instskip(NEXT) | instid1(VALU_DEP_2)
	v_fmac_f64_e32 v[0:1], v[46:47], v[50:51]
	v_fmac_f64_e32 v[8:9], v[48:49], v[50:51]
	s_wait_loadcnt 0x18
	s_delay_alu instid0(VALU_DEP_2) | instskip(NEXT) | instid1(VALU_DEP_2)
	;; [unrolled: 4-line block ×10, first 2 shown]
	v_fmac_f64_e32 v[0:1], v[36:37], v[38:39]
	v_fmac_f64_e32 v[8:9], v[34:35], v[38:39]
	s_and_not1_b32 exec_lo, exec_lo, s2
	s_cbranch_execnz .LBB141_15
; %bb.16:
	s_or_b32 exec_lo, exec_lo, s2
.LBB141_17:
	s_delay_alu instid0(SALU_CYCLE_1)
	s_or_b32 exec_lo, exec_lo, s3
.LBB141_18:
	v_mbcnt_lo_u32_b32 v14, -1, 0
	s_delay_alu instid0(VALU_DEP_1) | instskip(NEXT) | instid1(VALU_DEP_1)
	v_xor_b32_e32 v10, 2, v14
	v_cmp_gt_i32_e32 vcc_lo, 32, v10
	v_cndmask_b32_e32 v10, v14, v10, vcc_lo
	s_delay_alu instid0(VALU_DEP_1)
	v_lshlrev_b32_e32 v13, 2, v10
	ds_bpermute_b32 v10, v13, v0
	ds_bpermute_b32 v11, v13, v1
	;; [unrolled: 1-line block ×4, first 2 shown]
	s_wait_dscnt 0x2
	v_add_f64_e32 v[0:1], v[0:1], v[10:11]
	s_wait_dscnt 0x0
	v_dual_add_f64 v[10:11], v[8:9], v[12:13] :: v_dual_bitop2_b32 v8, 1, v14 bitop3:0x14
	s_delay_alu instid0(VALU_DEP_1) | instskip(SKIP_2) | instid1(VALU_DEP_2)
	v_cmp_gt_i32_e32 vcc_lo, 32, v8
	v_cndmask_b32_e32 v8, v14, v8, vcc_lo
	v_cmp_eq_u32_e32 vcc_lo, 3, v7
	v_lshlrev_b32_e32 v13, 2, v8
	ds_bpermute_b32 v8, v13, v0
	ds_bpermute_b32 v9, v13, v1
	;; [unrolled: 1-line block ×4, first 2 shown]
	s_and_b32 exec_lo, exec_lo, vcc_lo
	s_cbranch_execz .LBB141_23
; %bb.19:
	s_wait_dscnt 0x2
	v_add_f64_e32 v[8:9], v[0:1], v[8:9]
	s_wait_dscnt 0x0
	v_add_f64_e32 v[0:1], v[10:11], v[12:13]
	s_load_b64 s[0:1], s[0:1], 0x38
	s_mov_b32 s2, exec_lo
	v_cmpx_eq_f64_e32 0, v[4:5]
	s_xor_b32 s2, exec_lo, s2
	s_cbranch_execz .LBB141_21
; %bb.20:
	s_delay_alu instid0(VALU_DEP_3) | instskip(NEXT) | instid1(VALU_DEP_3)
	v_mul_f64_e32 v[8:9], v[2:3], v[8:9]
	v_dual_mul_f64 v[10:11], v[2:3], v[0:1] :: v_dual_lshlrev_b32 v0, 1, v6
                                        ; implicit-def: $vgpr6
                                        ; implicit-def: $vgpr2_vgpr3
                                        ; implicit-def: $vgpr4_vgpr5
	s_delay_alu instid0(VALU_DEP_1) | instskip(SKIP_1) | instid1(VALU_DEP_1)
	v_ashrrev_i32_e32 v1, 31, v0
	s_wait_kmcnt 0x0
	v_lshl_add_u64 v[0:1], v[0:1], 3, s[0:1]
	global_store_b128 v[0:1], v[8:11], off
                                        ; implicit-def: $vgpr8_vgpr9
                                        ; implicit-def: $vgpr0_vgpr1
.LBB141_21:
	s_wait_xcnt 0x0
	s_and_not1_saveexec_b32 s2, s2
	s_cbranch_execz .LBB141_23
; %bb.22:
	v_lshlrev_b32_e32 v6, 1, v6
	s_delay_alu instid0(VALU_DEP_1) | instskip(SKIP_1) | instid1(VALU_DEP_1)
	v_ashrrev_i32_e32 v7, 31, v6
	s_wait_kmcnt 0x0
	v_lshl_add_u64 v[14:15], v[6:7], 3, s[0:1]
	v_mul_f64_e32 v[6:7], v[2:3], v[8:9]
	v_mul_f64_e32 v[8:9], v[2:3], v[0:1]
	global_load_b128 v[10:13], v[14:15], off
	s_wait_loadcnt 0x0
	v_fmac_f64_e32 v[6:7], v[4:5], v[10:11]
	v_fmac_f64_e32 v[8:9], v[4:5], v[12:13]
	global_store_b128 v[14:15], v[6:9], off
.LBB141_23:
	s_sendmsg sendmsg(MSG_DEALLOC_VGPRS)
	s_endpgm
	.section	.rodata,"a",@progbits
	.p2align	6, 0x0
	.amdhsa_kernel _ZN9rocsparseL19gebsrmvn_2xn_kernelILj128ELj15ELj4EdEEvi20rocsparse_direction_NS_24const_host_device_scalarIT2_EEPKiS6_PKS3_S8_S4_PS3_21rocsparse_index_base_b
		.amdhsa_group_segment_fixed_size 0
		.amdhsa_private_segment_fixed_size 0
		.amdhsa_kernarg_size 72
		.amdhsa_user_sgpr_count 2
		.amdhsa_user_sgpr_dispatch_ptr 0
		.amdhsa_user_sgpr_queue_ptr 0
		.amdhsa_user_sgpr_kernarg_segment_ptr 1
		.amdhsa_user_sgpr_dispatch_id 0
		.amdhsa_user_sgpr_kernarg_preload_length 0
		.amdhsa_user_sgpr_kernarg_preload_offset 0
		.amdhsa_user_sgpr_private_segment_size 0
		.amdhsa_wavefront_size32 1
		.amdhsa_uses_dynamic_stack 0
		.amdhsa_enable_private_segment 0
		.amdhsa_system_sgpr_workgroup_id_x 1
		.amdhsa_system_sgpr_workgroup_id_y 0
		.amdhsa_system_sgpr_workgroup_id_z 0
		.amdhsa_system_sgpr_workgroup_info 0
		.amdhsa_system_vgpr_workitem_id 0
		.amdhsa_next_free_vgpr 86
		.amdhsa_next_free_sgpr 14
		.amdhsa_named_barrier_count 0
		.amdhsa_reserve_vcc 1
		.amdhsa_float_round_mode_32 0
		.amdhsa_float_round_mode_16_64 0
		.amdhsa_float_denorm_mode_32 3
		.amdhsa_float_denorm_mode_16_64 3
		.amdhsa_fp16_overflow 0
		.amdhsa_memory_ordered 1
		.amdhsa_forward_progress 1
		.amdhsa_inst_pref_size 23
		.amdhsa_round_robin_scheduling 0
		.amdhsa_exception_fp_ieee_invalid_op 0
		.amdhsa_exception_fp_denorm_src 0
		.amdhsa_exception_fp_ieee_div_zero 0
		.amdhsa_exception_fp_ieee_overflow 0
		.amdhsa_exception_fp_ieee_underflow 0
		.amdhsa_exception_fp_ieee_inexact 0
		.amdhsa_exception_int_div_zero 0
	.end_amdhsa_kernel
	.section	.text._ZN9rocsparseL19gebsrmvn_2xn_kernelILj128ELj15ELj4EdEEvi20rocsparse_direction_NS_24const_host_device_scalarIT2_EEPKiS6_PKS3_S8_S4_PS3_21rocsparse_index_base_b,"axG",@progbits,_ZN9rocsparseL19gebsrmvn_2xn_kernelILj128ELj15ELj4EdEEvi20rocsparse_direction_NS_24const_host_device_scalarIT2_EEPKiS6_PKS3_S8_S4_PS3_21rocsparse_index_base_b,comdat
.Lfunc_end141:
	.size	_ZN9rocsparseL19gebsrmvn_2xn_kernelILj128ELj15ELj4EdEEvi20rocsparse_direction_NS_24const_host_device_scalarIT2_EEPKiS6_PKS3_S8_S4_PS3_21rocsparse_index_base_b, .Lfunc_end141-_ZN9rocsparseL19gebsrmvn_2xn_kernelILj128ELj15ELj4EdEEvi20rocsparse_direction_NS_24const_host_device_scalarIT2_EEPKiS6_PKS3_S8_S4_PS3_21rocsparse_index_base_b
                                        ; -- End function
	.set _ZN9rocsparseL19gebsrmvn_2xn_kernelILj128ELj15ELj4EdEEvi20rocsparse_direction_NS_24const_host_device_scalarIT2_EEPKiS6_PKS3_S8_S4_PS3_21rocsparse_index_base_b.num_vgpr, 86
	.set _ZN9rocsparseL19gebsrmvn_2xn_kernelILj128ELj15ELj4EdEEvi20rocsparse_direction_NS_24const_host_device_scalarIT2_EEPKiS6_PKS3_S8_S4_PS3_21rocsparse_index_base_b.num_agpr, 0
	.set _ZN9rocsparseL19gebsrmvn_2xn_kernelILj128ELj15ELj4EdEEvi20rocsparse_direction_NS_24const_host_device_scalarIT2_EEPKiS6_PKS3_S8_S4_PS3_21rocsparse_index_base_b.numbered_sgpr, 14
	.set _ZN9rocsparseL19gebsrmvn_2xn_kernelILj128ELj15ELj4EdEEvi20rocsparse_direction_NS_24const_host_device_scalarIT2_EEPKiS6_PKS3_S8_S4_PS3_21rocsparse_index_base_b.num_named_barrier, 0
	.set _ZN9rocsparseL19gebsrmvn_2xn_kernelILj128ELj15ELj4EdEEvi20rocsparse_direction_NS_24const_host_device_scalarIT2_EEPKiS6_PKS3_S8_S4_PS3_21rocsparse_index_base_b.private_seg_size, 0
	.set _ZN9rocsparseL19gebsrmvn_2xn_kernelILj128ELj15ELj4EdEEvi20rocsparse_direction_NS_24const_host_device_scalarIT2_EEPKiS6_PKS3_S8_S4_PS3_21rocsparse_index_base_b.uses_vcc, 1
	.set _ZN9rocsparseL19gebsrmvn_2xn_kernelILj128ELj15ELj4EdEEvi20rocsparse_direction_NS_24const_host_device_scalarIT2_EEPKiS6_PKS3_S8_S4_PS3_21rocsparse_index_base_b.uses_flat_scratch, 0
	.set _ZN9rocsparseL19gebsrmvn_2xn_kernelILj128ELj15ELj4EdEEvi20rocsparse_direction_NS_24const_host_device_scalarIT2_EEPKiS6_PKS3_S8_S4_PS3_21rocsparse_index_base_b.has_dyn_sized_stack, 0
	.set _ZN9rocsparseL19gebsrmvn_2xn_kernelILj128ELj15ELj4EdEEvi20rocsparse_direction_NS_24const_host_device_scalarIT2_EEPKiS6_PKS3_S8_S4_PS3_21rocsparse_index_base_b.has_recursion, 0
	.set _ZN9rocsparseL19gebsrmvn_2xn_kernelILj128ELj15ELj4EdEEvi20rocsparse_direction_NS_24const_host_device_scalarIT2_EEPKiS6_PKS3_S8_S4_PS3_21rocsparse_index_base_b.has_indirect_call, 0
	.section	.AMDGPU.csdata,"",@progbits
; Kernel info:
; codeLenInByte = 2860
; TotalNumSgprs: 16
; NumVgprs: 86
; ScratchSize: 0
; MemoryBound: 0
; FloatMode: 240
; IeeeMode: 1
; LDSByteSize: 0 bytes/workgroup (compile time only)
; SGPRBlocks: 0
; VGPRBlocks: 5
; NumSGPRsForWavesPerEU: 16
; NumVGPRsForWavesPerEU: 86
; NamedBarCnt: 0
; Occupancy: 10
; WaveLimiterHint : 1
; COMPUTE_PGM_RSRC2:SCRATCH_EN: 0
; COMPUTE_PGM_RSRC2:USER_SGPR: 2
; COMPUTE_PGM_RSRC2:TRAP_HANDLER: 0
; COMPUTE_PGM_RSRC2:TGID_X_EN: 1
; COMPUTE_PGM_RSRC2:TGID_Y_EN: 0
; COMPUTE_PGM_RSRC2:TGID_Z_EN: 0
; COMPUTE_PGM_RSRC2:TIDIG_COMP_CNT: 0
	.section	.text._ZN9rocsparseL19gebsrmvn_2xn_kernelILj128ELj15ELj8EdEEvi20rocsparse_direction_NS_24const_host_device_scalarIT2_EEPKiS6_PKS3_S8_S4_PS3_21rocsparse_index_base_b,"axG",@progbits,_ZN9rocsparseL19gebsrmvn_2xn_kernelILj128ELj15ELj8EdEEvi20rocsparse_direction_NS_24const_host_device_scalarIT2_EEPKiS6_PKS3_S8_S4_PS3_21rocsparse_index_base_b,comdat
	.globl	_ZN9rocsparseL19gebsrmvn_2xn_kernelILj128ELj15ELj8EdEEvi20rocsparse_direction_NS_24const_host_device_scalarIT2_EEPKiS6_PKS3_S8_S4_PS3_21rocsparse_index_base_b ; -- Begin function _ZN9rocsparseL19gebsrmvn_2xn_kernelILj128ELj15ELj8EdEEvi20rocsparse_direction_NS_24const_host_device_scalarIT2_EEPKiS6_PKS3_S8_S4_PS3_21rocsparse_index_base_b
	.p2align	8
	.type	_ZN9rocsparseL19gebsrmvn_2xn_kernelILj128ELj15ELj8EdEEvi20rocsparse_direction_NS_24const_host_device_scalarIT2_EEPKiS6_PKS3_S8_S4_PS3_21rocsparse_index_base_b,@function
_ZN9rocsparseL19gebsrmvn_2xn_kernelILj128ELj15ELj8EdEEvi20rocsparse_direction_NS_24const_host_device_scalarIT2_EEPKiS6_PKS3_S8_S4_PS3_21rocsparse_index_base_b: ; @_ZN9rocsparseL19gebsrmvn_2xn_kernelILj128ELj15ELj8EdEEvi20rocsparse_direction_NS_24const_host_device_scalarIT2_EEPKiS6_PKS3_S8_S4_PS3_21rocsparse_index_base_b
; %bb.0:
	s_clause 0x2
	s_load_b64 s[12:13], s[0:1], 0x40
	s_load_b64 s[4:5], s[0:1], 0x8
	;; [unrolled: 1-line block ×3, first 2 shown]
	s_wait_kmcnt 0x0
	s_bitcmp1_b32 s13, 0
	v_mov_b64_e32 v[2:3], s[4:5]
	s_cselect_b32 s6, -1, 0
	s_delay_alu instid0(SALU_CYCLE_1)
	s_and_b32 vcc_lo, exec_lo, s6
	s_xor_b32 s6, s6, -1
	s_cbranch_vccnz .LBB142_2
; %bb.1:
	v_mov_b32_e32 v1, 0
	flat_load_b64 v[2:3], v1, s[4:5]
.LBB142_2:
	v_mov_b64_e32 v[4:5], s[2:3]
	s_and_not1_b32 vcc_lo, exec_lo, s6
	s_cbranch_vccnz .LBB142_4
; %bb.3:
	s_wait_xcnt 0x0
	v_mov_b32_e32 v1, 0
	flat_load_b64 v[4:5], v1, s[2:3]
.LBB142_4:
	s_wait_loadcnt_dscnt 0x0
	v_cmp_neq_f64_e32 vcc_lo, 0, v[2:3]
	s_delay_alu instid0(VALU_DEP_2) | instskip(SKIP_1) | instid1(SALU_CYCLE_1)
	v_cmp_neq_f64_e64 s2, 1.0, v[4:5]
	s_or_b32 s2, vcc_lo, s2
	s_and_saveexec_b32 s3, s2
	s_cbranch_execz .LBB142_23
; %bb.5:
	s_load_b64 s[2:3], s[0:1], 0x0
	s_bfe_u32 s4, ttmp6, 0x4000c
	s_and_b32 s5, ttmp6, 15
	s_add_co_i32 s4, s4, 1
	s_getreg_b32 s6, hwreg(HW_REG_IB_STS2, 6, 4)
	s_mul_i32 s4, ttmp9, s4
	v_lshrrev_b32_e32 v1, 3, v0
	s_add_co_i32 s5, s5, s4
	s_cmp_eq_u32 s6, 0
	s_cselect_b32 s4, ttmp9, s5
	s_delay_alu instid0(VALU_DEP_1) | instid1(SALU_CYCLE_1)
	v_lshl_or_b32 v6, s4, 4, v1
	s_wait_kmcnt 0x0
	s_delay_alu instid0(VALU_DEP_1)
	v_cmp_gt_i32_e32 vcc_lo, s2, v6
	s_and_b32 exec_lo, exec_lo, vcc_lo
	s_cbranch_execz .LBB142_23
; %bb.6:
	s_load_b256 s[4:11], s[0:1], 0x10
	v_ashrrev_i32_e32 v7, 31, v6
	s_cmp_lg_u32 s3, 0
	s_wait_kmcnt 0x0
	s_delay_alu instid0(VALU_DEP_1)
	v_lshl_add_u64 v[8:9], v[6:7], 2, s[4:5]
	v_and_b32_e32 v7, 7, v0
	global_load_b64 v[8:9], v[8:9], off
	s_wait_loadcnt 0x0
	v_subrev_nc_u32_e32 v0, s12, v8
	v_subrev_nc_u32_e32 v14, s12, v9
	s_delay_alu instid0(VALU_DEP_2) | instskip(NEXT) | instid1(VALU_DEP_1)
	v_add_nc_u32_e32 v15, v0, v7
	v_cmp_lt_i32_e64 s2, v15, v14
	s_cbranch_scc0 .LBB142_12
; %bb.7:
	v_mov_b64_e32 v[0:1], 0
	v_mov_b64_e32 v[8:9], 0
	s_and_saveexec_b32 s3, s2
	s_cbranch_execz .LBB142_11
; %bb.8:
	v_mad_u32 v10, v15, 30, 28
	v_mov_b64_e32 v[0:1], 0
	v_mov_b64_e32 v[8:9], 0
	v_dual_mov_b32 v13, 0 :: v_dual_mov_b32 v16, v15
	s_mov_b32 s4, 0
.LBB142_9:                              ; =>This Inner Loop Header: Depth=1
	global_load_b32 v11, v16, s[6:7] scale_offset
	v_subrev_nc_u32_e32 v12, 28, v10
	s_wait_xcnt 0x0
	v_add_nc_u32_e32 v16, 8, v16
	s_delay_alu instid0(VALU_DEP_2) | instskip(SKIP_1) | instid1(VALU_DEP_3)
	v_lshl_add_u64 v[22:23], v[12:13], 3, s[8:9]
	v_subrev_nc_u32_e32 v12, 26, v10
	v_cmp_ge_i32_e32 vcc_lo, v16, v14
	s_delay_alu instid0(VALU_DEP_2) | instskip(SKIP_2) | instid1(VALU_DEP_1)
	v_lshl_add_u64 v[26:27], v[12:13], 3, s[8:9]
	v_subrev_nc_u32_e32 v12, 24, v10
	s_or_b32 s4, vcc_lo, s4
	v_lshl_add_u64 v[30:31], v[12:13], 3, s[8:9]
	v_subrev_nc_u32_e32 v12, 22, v10
	s_delay_alu instid0(VALU_DEP_1) | instskip(SKIP_1) | instid1(VALU_DEP_1)
	v_lshl_add_u64 v[34:35], v[12:13], 3, s[8:9]
	v_subrev_nc_u32_e32 v12, 20, v10
	v_lshl_add_u64 v[38:39], v[12:13], 3, s[8:9]
	v_subrev_nc_u32_e32 v12, 18, v10
	s_delay_alu instid0(VALU_DEP_1) | instskip(SKIP_1) | instid1(VALU_DEP_1)
	v_lshl_add_u64 v[42:43], v[12:13], 3, s[8:9]
	v_add_nc_u32_e32 v12, -16, v10
	v_lshl_add_u64 v[46:47], v[12:13], 3, s[8:9]
	v_add_nc_u32_e32 v12, -14, v10
	s_delay_alu instid0(VALU_DEP_1) | instskip(SKIP_1) | instid1(VALU_DEP_1)
	v_lshl_add_u64 v[50:51], v[12:13], 3, s[8:9]
	v_add_nc_u32_e32 v12, -12, v10
	v_lshl_add_u64 v[54:55], v[12:13], 3, s[8:9]
	v_add_nc_u32_e32 v12, -10, v10
	;; [unrolled: 5-line block ×3, first 2 shown]
	s_wait_loadcnt 0x0
	v_subrev_nc_u32_e32 v11, s12, v11
	s_delay_alu instid0(VALU_DEP_1)
	v_mul_lo_u32 v17, v11, 15
	global_load_b128 v[18:21], v[22:23], off
	global_load_b64 v[62:63], v17, s[10:11] scale_offset
	v_add_nc_u32_e32 v11, 1, v17
	global_load_b128 v[22:25], v[26:27], off
	global_load_b64 v[64:65], v11, s[10:11] scale_offset
	s_wait_xcnt 0x0
	v_add_nc_u32_e32 v11, 2, v17
	global_load_b128 v[26:29], v[30:31], off
	global_load_b64 v[66:67], v11, s[10:11] scale_offset
	s_wait_xcnt 0x0
	;; [unrolled: 4-line block ×6, first 2 shown]
	v_add_nc_u32_e32 v11, 7, v17
	s_wait_loadcnt 0xc
	v_fmac_f64_e32 v[0:1], v[18:19], v[62:63]
	v_fmac_f64_e32 v[8:9], v[20:21], v[62:63]
	v_lshl_add_u64 v[62:63], v[12:13], 3, s[8:9]
	v_add_nc_u32_e32 v12, -4, v10
	global_load_b128 v[46:49], v[50:51], off
	global_load_b64 v[76:77], v11, s[10:11] scale_offset
	s_wait_xcnt 0x0
	v_add_nc_u32_e32 v11, 8, v17
	global_load_b128 v[50:53], v[54:55], off
	global_load_b64 v[78:79], v11, s[10:11] scale_offset
	s_wait_xcnt 0x0
	v_add_nc_u32_e32 v11, 9, v17
	;; [unrolled: 4-line block ×4, first 2 shown]
	global_load_b128 v[18:21], v[62:63], off
	global_load_b64 v[82:83], v11, s[10:11] scale_offset
	s_wait_xcnt 0x1
	v_lshl_add_u64 v[62:63], v[12:13], 3, s[8:9]
	s_wait_xcnt 0x0
	v_dual_add_nc_u32 v11, 12, v17 :: v_dual_add_nc_u32 v12, -2, v10
	s_wait_loadcnt 0x14
	v_fmac_f64_e32 v[0:1], v[22:23], v[64:65]
	v_fmac_f64_e32 v[8:9], v[24:25], v[64:65]
	global_load_b128 v[22:25], v[62:63], off
	global_load_b64 v[64:65], v11, s[10:11] scale_offset
	s_wait_xcnt 0x1
	v_lshl_add_u64 v[62:63], v[12:13], 3, s[8:9]
	s_wait_xcnt 0x0
	v_add_nc_u32_e32 v11, 13, v17
	s_wait_loadcnt 0x14
	v_fmac_f64_e32 v[0:1], v[26:27], v[66:67]
	v_fmac_f64_e32 v[8:9], v[28:29], v[66:67]
	global_load_b128 v[26:29], v[62:63], off
	global_load_b64 v[66:67], v11, s[10:11] scale_offset
	s_wait_xcnt 0x0
	v_mov_b32_e32 v11, v13
	s_delay_alu instid0(VALU_DEP_1)
	v_lshl_add_u64 v[62:63], v[10:11], 3, s[8:9]
	v_add_nc_u32_e32 v11, 14, v17
	v_add_nc_u32_e32 v10, 0xf0, v10
	s_wait_loadcnt 0x14
	v_fmac_f64_e32 v[0:1], v[30:31], v[68:69]
	v_fmac_f64_e32 v[8:9], v[32:33], v[68:69]
	global_load_b128 v[30:33], v[62:63], off
	global_load_b64 v[68:69], v11, s[10:11] scale_offset
	s_wait_loadcnt 0x14
	v_fmac_f64_e32 v[0:1], v[34:35], v[70:71]
	v_fmac_f64_e32 v[8:9], v[36:37], v[70:71]
	s_wait_loadcnt 0x12
	s_delay_alu instid0(VALU_DEP_2) | instskip(NEXT) | instid1(VALU_DEP_2)
	v_fmac_f64_e32 v[0:1], v[38:39], v[72:73]
	v_fmac_f64_e32 v[8:9], v[40:41], v[72:73]
	s_wait_loadcnt 0x10
	s_delay_alu instid0(VALU_DEP_2) | instskip(NEXT) | instid1(VALU_DEP_2)
	;; [unrolled: 4-line block ×10, first 2 shown]
	v_fmac_f64_e32 v[0:1], v[30:31], v[68:69]
	v_fmac_f64_e32 v[8:9], v[32:33], v[68:69]
	s_and_not1_b32 exec_lo, exec_lo, s4
	s_cbranch_execnz .LBB142_9
; %bb.10:
	s_or_b32 exec_lo, exec_lo, s4
.LBB142_11:
	s_delay_alu instid0(SALU_CYCLE_1)
	s_or_b32 exec_lo, exec_lo, s3
	s_cbranch_execz .LBB142_13
	s_branch .LBB142_18
.LBB142_12:
                                        ; implicit-def: $vgpr0_vgpr1
                                        ; implicit-def: $vgpr8_vgpr9
.LBB142_13:
	v_mov_b64_e32 v[0:1], 0
	v_mov_b64_e32 v[8:9], 0
	s_and_saveexec_b32 s3, s2
	s_cbranch_execz .LBB142_17
; %bb.14:
	v_mad_u32 v12, v15, 30, 29
	v_mov_b64_e32 v[0:1], 0
	v_mov_b64_e32 v[8:9], 0
	v_mov_b32_e32 v11, 0
	s_mov_b32 s2, 0
.LBB142_15:                             ; =>This Inner Loop Header: Depth=1
	global_load_b32 v13, v15, s[6:7] scale_offset
	v_subrev_nc_u32_e32 v10, 29, v12
	s_wait_xcnt 0x0
	v_dual_add_nc_u32 v26, -14, v12 :: v_dual_add_nc_u32 v15, 8, v15
	v_dual_add_nc_u32 v34, -12, v12 :: v_dual_add_nc_u32 v40, -11, v12
	s_delay_alu instid0(VALU_DEP_3)
	v_lshl_add_u64 v[20:21], v[10:11], 3, s[8:9]
	v_dual_add_nc_u32 v10, -13, v12 :: v_dual_add_nc_u32 v46, -10, v12
	v_dual_add_nc_u32 v52, -9, v12 :: v_dual_add_nc_u32 v58, -8, v12
	;; [unrolled: 1-line block ×4, first 2 shown]
	v_cmp_ge_i32_e32 vcc_lo, v15, v14
	v_add_nc_u32_e32 v82, -2, v12
	s_or_b32 s2, vcc_lo, s2
	s_wait_loadcnt 0x0
	v_subrev_nc_u32_e32 v13, s12, v13
	s_delay_alu instid0(VALU_DEP_1)
	v_mul_lo_u32 v13, v13, 15
	s_clause 0x1
	global_load_b128 v[16:19], v[20:21], off
	global_load_b64 v[22:23], v26, s[8:9] scale_offset
	global_load_b64 v[24:25], v13, s[10:11] scale_offset
	v_add_nc_u32_e32 v28, 1, v13
	global_load_b64 v[20:21], v10, s[8:9] scale_offset
	global_load_b64 v[26:27], v28, s[10:11] scale_offset
	s_wait_xcnt 0x1
	v_subrev_nc_u32_e32 v10, 27, v12
	v_add_nc_u32_e32 v35, 2, v13
	s_clause 0x1
	global_load_b64 v[28:29], v10, s[8:9] scale_offset
	global_load_b64 v[30:31], v34, s[8:9] scale_offset
	global_load_b64 v[32:33], v35, s[10:11] scale_offset
	s_wait_xcnt 0x2
	v_subrev_nc_u32_e32 v10, 26, v12
	v_add_nc_u32_e32 v41, 3, v13
	s_clause 0x1
	global_load_b64 v[34:35], v10, s[8:9] scale_offset
	;; [unrolled: 7-line block ×8, first 2 shown]
	global_load_b64 v[72:73], v76, s[8:9] scale_offset
	global_load_b64 v[74:75], v77, s[10:11] scale_offset
	s_wait_xcnt 0x2
	v_subrev_nc_u32_e32 v10, 19, v12
	s_clause 0x1
	global_load_b64 v[76:77], v10, s[8:9] scale_offset
	global_load_b64 v[78:79], v80, s[8:9] scale_offset
	s_wait_xcnt 0x1
	v_dual_add_nc_u32 v10, 10, v13 :: v_dual_add_nc_u32 v83, 12, v13
	s_wait_loadcnt 0x1c
	v_fmac_f64_e32 v[0:1], v[16:17], v[24:25]
	v_fmac_f64_e32 v[8:9], v[22:23], v[24:25]
	v_add_nc_u32_e32 v24, -3, v12
	global_load_b64 v[80:81], v10, s[10:11] scale_offset
	s_wait_xcnt 0x0
	v_subrev_nc_u32_e32 v10, 18, v12
	v_add_nc_u32_e32 v25, 11, v13
	global_load_b64 v[16:17], v10, s[8:9] scale_offset
	s_wait_xcnt 0x0
	v_subrev_nc_u32_e32 v10, 17, v12
	s_wait_loadcnt 0x1c
	v_fmac_f64_e32 v[0:1], v[18:19], v[26:27]
	global_load_b64 v[18:19], v24, s[8:9] scale_offset
	global_load_b64 v[22:23], v25, s[10:11] scale_offset
	v_fmac_f64_e32 v[8:9], v[20:21], v[26:27]
	s_clause 0x1
	global_load_b64 v[20:21], v10, s[8:9] scale_offset
	global_load_b64 v[24:25], v82, s[8:9] scale_offset
	;; [unrolled: 1-line block ×3, first 2 shown]
	s_wait_xcnt 0x1
	v_dual_add_nc_u32 v10, -16, v12 :: v_dual_add_nc_u32 v82, -1, v12
	s_wait_xcnt 0x0
	v_dual_add_nc_u32 v83, 13, v13 :: v_dual_add_nc_u32 v13, 14, v13
	s_wait_loadcnt 0x1e
	v_fmac_f64_e32 v[0:1], v[28:29], v[32:33]
	v_fmac_f64_e32 v[8:9], v[30:31], v[32:33]
	s_clause 0x1
	global_load_b64 v[28:29], v10, s[8:9] scale_offset
	global_load_b64 v[30:31], v82, s[8:9] scale_offset
	;; [unrolled: 1-line block ×3, first 2 shown]
	s_wait_xcnt 0x2
	v_add_nc_u32_e32 v10, -15, v12
	s_wait_loadcnt 0x1e
	v_fmac_f64_e32 v[0:1], v[34:35], v[38:39]
	v_fmac_f64_e32 v[8:9], v[36:37], v[38:39]
	s_clause 0x1
	global_load_b64 v[34:35], v12, s[8:9] scale_offset
	global_load_b64 v[36:37], v10, s[8:9] scale_offset
	;; [unrolled: 1-line block ×3, first 2 shown]
	s_wait_xcnt 0x2
	v_add_nc_u32_e32 v12, 0xf0, v12
	s_wait_loadcnt 0x1e
	v_fmac_f64_e32 v[0:1], v[40:41], v[44:45]
	v_fmac_f64_e32 v[8:9], v[42:43], v[44:45]
	s_wait_loadcnt 0x1b
	s_delay_alu instid0(VALU_DEP_2) | instskip(NEXT) | instid1(VALU_DEP_2)
	v_fmac_f64_e32 v[0:1], v[46:47], v[50:51]
	v_fmac_f64_e32 v[8:9], v[48:49], v[50:51]
	s_wait_loadcnt 0x18
	s_delay_alu instid0(VALU_DEP_2) | instskip(NEXT) | instid1(VALU_DEP_2)
	;; [unrolled: 4-line block ×10, first 2 shown]
	v_fmac_f64_e32 v[0:1], v[36:37], v[38:39]
	v_fmac_f64_e32 v[8:9], v[34:35], v[38:39]
	s_and_not1_b32 exec_lo, exec_lo, s2
	s_cbranch_execnz .LBB142_15
; %bb.16:
	s_or_b32 exec_lo, exec_lo, s2
.LBB142_17:
	s_delay_alu instid0(SALU_CYCLE_1)
	s_or_b32 exec_lo, exec_lo, s3
.LBB142_18:
	v_mbcnt_lo_u32_b32 v14, -1, 0
	s_delay_alu instid0(VALU_DEP_1) | instskip(NEXT) | instid1(VALU_DEP_1)
	v_xor_b32_e32 v10, 4, v14
	v_cmp_gt_i32_e32 vcc_lo, 32, v10
	v_cndmask_b32_e32 v10, v14, v10, vcc_lo
	s_delay_alu instid0(VALU_DEP_1)
	v_lshlrev_b32_e32 v13, 2, v10
	ds_bpermute_b32 v10, v13, v0
	ds_bpermute_b32 v11, v13, v1
	s_wait_dscnt 0x0
	v_add_f64_e32 v[0:1], v[0:1], v[10:11]
	v_xor_b32_e32 v10, 2, v14
	s_delay_alu instid0(VALU_DEP_1)
	v_cmp_gt_i32_e32 vcc_lo, 32, v10
	v_cndmask_b32_e32 v10, v14, v10, vcc_lo
	ds_bpermute_b32 v12, v13, v8
	ds_bpermute_b32 v13, v13, v9
	s_wait_dscnt 0x0
	v_dual_add_f64 v[8:9], v[8:9], v[12:13] :: v_dual_lshlrev_b32 v13, 2, v10
	ds_bpermute_b32 v10, v13, v0
	ds_bpermute_b32 v11, v13, v1
	s_wait_dscnt 0x0
	v_add_f64_e32 v[0:1], v[0:1], v[10:11]
	ds_bpermute_b32 v12, v13, v8
	ds_bpermute_b32 v13, v13, v9
	s_wait_dscnt 0x0
	v_dual_add_f64 v[10:11], v[8:9], v[12:13] :: v_dual_bitop2_b32 v8, 1, v14 bitop3:0x14
	s_delay_alu instid0(VALU_DEP_1) | instskip(SKIP_2) | instid1(VALU_DEP_2)
	v_cmp_gt_i32_e32 vcc_lo, 32, v8
	v_cndmask_b32_e32 v8, v14, v8, vcc_lo
	v_cmp_eq_u32_e32 vcc_lo, 7, v7
	v_lshlrev_b32_e32 v13, 2, v8
	ds_bpermute_b32 v8, v13, v0
	ds_bpermute_b32 v9, v13, v1
	;; [unrolled: 1-line block ×4, first 2 shown]
	s_and_b32 exec_lo, exec_lo, vcc_lo
	s_cbranch_execz .LBB142_23
; %bb.19:
	s_wait_dscnt 0x2
	v_add_f64_e32 v[8:9], v[0:1], v[8:9]
	s_wait_dscnt 0x0
	v_add_f64_e32 v[0:1], v[10:11], v[12:13]
	s_load_b64 s[0:1], s[0:1], 0x38
	s_mov_b32 s2, exec_lo
	v_cmpx_eq_f64_e32 0, v[4:5]
	s_xor_b32 s2, exec_lo, s2
	s_cbranch_execz .LBB142_21
; %bb.20:
	s_delay_alu instid0(VALU_DEP_3) | instskip(NEXT) | instid1(VALU_DEP_3)
	v_mul_f64_e32 v[8:9], v[2:3], v[8:9]
	v_dual_mul_f64 v[10:11], v[2:3], v[0:1] :: v_dual_lshlrev_b32 v0, 1, v6
                                        ; implicit-def: $vgpr6
                                        ; implicit-def: $vgpr2_vgpr3
                                        ; implicit-def: $vgpr4_vgpr5
	s_delay_alu instid0(VALU_DEP_1) | instskip(SKIP_1) | instid1(VALU_DEP_1)
	v_ashrrev_i32_e32 v1, 31, v0
	s_wait_kmcnt 0x0
	v_lshl_add_u64 v[0:1], v[0:1], 3, s[0:1]
	global_store_b128 v[0:1], v[8:11], off
                                        ; implicit-def: $vgpr8_vgpr9
                                        ; implicit-def: $vgpr0_vgpr1
.LBB142_21:
	s_wait_xcnt 0x0
	s_and_not1_saveexec_b32 s2, s2
	s_cbranch_execz .LBB142_23
; %bb.22:
	v_lshlrev_b32_e32 v6, 1, v6
	s_delay_alu instid0(VALU_DEP_1) | instskip(SKIP_1) | instid1(VALU_DEP_1)
	v_ashrrev_i32_e32 v7, 31, v6
	s_wait_kmcnt 0x0
	v_lshl_add_u64 v[14:15], v[6:7], 3, s[0:1]
	v_mul_f64_e32 v[6:7], v[2:3], v[8:9]
	v_mul_f64_e32 v[8:9], v[2:3], v[0:1]
	global_load_b128 v[10:13], v[14:15], off
	s_wait_loadcnt 0x0
	v_fmac_f64_e32 v[6:7], v[4:5], v[10:11]
	v_fmac_f64_e32 v[8:9], v[4:5], v[12:13]
	global_store_b128 v[14:15], v[6:9], off
.LBB142_23:
	s_sendmsg sendmsg(MSG_DEALLOC_VGPRS)
	s_endpgm
	.section	.rodata,"a",@progbits
	.p2align	6, 0x0
	.amdhsa_kernel _ZN9rocsparseL19gebsrmvn_2xn_kernelILj128ELj15ELj8EdEEvi20rocsparse_direction_NS_24const_host_device_scalarIT2_EEPKiS6_PKS3_S8_S4_PS3_21rocsparse_index_base_b
		.amdhsa_group_segment_fixed_size 0
		.amdhsa_private_segment_fixed_size 0
		.amdhsa_kernarg_size 72
		.amdhsa_user_sgpr_count 2
		.amdhsa_user_sgpr_dispatch_ptr 0
		.amdhsa_user_sgpr_queue_ptr 0
		.amdhsa_user_sgpr_kernarg_segment_ptr 1
		.amdhsa_user_sgpr_dispatch_id 0
		.amdhsa_user_sgpr_kernarg_preload_length 0
		.amdhsa_user_sgpr_kernarg_preload_offset 0
		.amdhsa_user_sgpr_private_segment_size 0
		.amdhsa_wavefront_size32 1
		.amdhsa_uses_dynamic_stack 0
		.amdhsa_enable_private_segment 0
		.amdhsa_system_sgpr_workgroup_id_x 1
		.amdhsa_system_sgpr_workgroup_id_y 0
		.amdhsa_system_sgpr_workgroup_id_z 0
		.amdhsa_system_sgpr_workgroup_info 0
		.amdhsa_system_vgpr_workitem_id 0
		.amdhsa_next_free_vgpr 86
		.amdhsa_next_free_sgpr 14
		.amdhsa_named_barrier_count 0
		.amdhsa_reserve_vcc 1
		.amdhsa_float_round_mode_32 0
		.amdhsa_float_round_mode_16_64 0
		.amdhsa_float_denorm_mode_32 3
		.amdhsa_float_denorm_mode_16_64 3
		.amdhsa_fp16_overflow 0
		.amdhsa_memory_ordered 1
		.amdhsa_forward_progress 1
		.amdhsa_inst_pref_size 23
		.amdhsa_round_robin_scheduling 0
		.amdhsa_exception_fp_ieee_invalid_op 0
		.amdhsa_exception_fp_denorm_src 0
		.amdhsa_exception_fp_ieee_div_zero 0
		.amdhsa_exception_fp_ieee_overflow 0
		.amdhsa_exception_fp_ieee_underflow 0
		.amdhsa_exception_fp_ieee_inexact 0
		.amdhsa_exception_int_div_zero 0
	.end_amdhsa_kernel
	.section	.text._ZN9rocsparseL19gebsrmvn_2xn_kernelILj128ELj15ELj8EdEEvi20rocsparse_direction_NS_24const_host_device_scalarIT2_EEPKiS6_PKS3_S8_S4_PS3_21rocsparse_index_base_b,"axG",@progbits,_ZN9rocsparseL19gebsrmvn_2xn_kernelILj128ELj15ELj8EdEEvi20rocsparse_direction_NS_24const_host_device_scalarIT2_EEPKiS6_PKS3_S8_S4_PS3_21rocsparse_index_base_b,comdat
.Lfunc_end142:
	.size	_ZN9rocsparseL19gebsrmvn_2xn_kernelILj128ELj15ELj8EdEEvi20rocsparse_direction_NS_24const_host_device_scalarIT2_EEPKiS6_PKS3_S8_S4_PS3_21rocsparse_index_base_b, .Lfunc_end142-_ZN9rocsparseL19gebsrmvn_2xn_kernelILj128ELj15ELj8EdEEvi20rocsparse_direction_NS_24const_host_device_scalarIT2_EEPKiS6_PKS3_S8_S4_PS3_21rocsparse_index_base_b
                                        ; -- End function
	.set _ZN9rocsparseL19gebsrmvn_2xn_kernelILj128ELj15ELj8EdEEvi20rocsparse_direction_NS_24const_host_device_scalarIT2_EEPKiS6_PKS3_S8_S4_PS3_21rocsparse_index_base_b.num_vgpr, 86
	.set _ZN9rocsparseL19gebsrmvn_2xn_kernelILj128ELj15ELj8EdEEvi20rocsparse_direction_NS_24const_host_device_scalarIT2_EEPKiS6_PKS3_S8_S4_PS3_21rocsparse_index_base_b.num_agpr, 0
	.set _ZN9rocsparseL19gebsrmvn_2xn_kernelILj128ELj15ELj8EdEEvi20rocsparse_direction_NS_24const_host_device_scalarIT2_EEPKiS6_PKS3_S8_S4_PS3_21rocsparse_index_base_b.numbered_sgpr, 14
	.set _ZN9rocsparseL19gebsrmvn_2xn_kernelILj128ELj15ELj8EdEEvi20rocsparse_direction_NS_24const_host_device_scalarIT2_EEPKiS6_PKS3_S8_S4_PS3_21rocsparse_index_base_b.num_named_barrier, 0
	.set _ZN9rocsparseL19gebsrmvn_2xn_kernelILj128ELj15ELj8EdEEvi20rocsparse_direction_NS_24const_host_device_scalarIT2_EEPKiS6_PKS3_S8_S4_PS3_21rocsparse_index_base_b.private_seg_size, 0
	.set _ZN9rocsparseL19gebsrmvn_2xn_kernelILj128ELj15ELj8EdEEvi20rocsparse_direction_NS_24const_host_device_scalarIT2_EEPKiS6_PKS3_S8_S4_PS3_21rocsparse_index_base_b.uses_vcc, 1
	.set _ZN9rocsparseL19gebsrmvn_2xn_kernelILj128ELj15ELj8EdEEvi20rocsparse_direction_NS_24const_host_device_scalarIT2_EEPKiS6_PKS3_S8_S4_PS3_21rocsparse_index_base_b.uses_flat_scratch, 0
	.set _ZN9rocsparseL19gebsrmvn_2xn_kernelILj128ELj15ELj8EdEEvi20rocsparse_direction_NS_24const_host_device_scalarIT2_EEPKiS6_PKS3_S8_S4_PS3_21rocsparse_index_base_b.has_dyn_sized_stack, 0
	.set _ZN9rocsparseL19gebsrmvn_2xn_kernelILj128ELj15ELj8EdEEvi20rocsparse_direction_NS_24const_host_device_scalarIT2_EEPKiS6_PKS3_S8_S4_PS3_21rocsparse_index_base_b.has_recursion, 0
	.set _ZN9rocsparseL19gebsrmvn_2xn_kernelILj128ELj15ELj8EdEEvi20rocsparse_direction_NS_24const_host_device_scalarIT2_EEPKiS6_PKS3_S8_S4_PS3_21rocsparse_index_base_b.has_indirect_call, 0
	.section	.AMDGPU.csdata,"",@progbits
; Kernel info:
; codeLenInByte = 2932
; TotalNumSgprs: 16
; NumVgprs: 86
; ScratchSize: 0
; MemoryBound: 0
; FloatMode: 240
; IeeeMode: 1
; LDSByteSize: 0 bytes/workgroup (compile time only)
; SGPRBlocks: 0
; VGPRBlocks: 5
; NumSGPRsForWavesPerEU: 16
; NumVGPRsForWavesPerEU: 86
; NamedBarCnt: 0
; Occupancy: 10
; WaveLimiterHint : 1
; COMPUTE_PGM_RSRC2:SCRATCH_EN: 0
; COMPUTE_PGM_RSRC2:USER_SGPR: 2
; COMPUTE_PGM_RSRC2:TRAP_HANDLER: 0
; COMPUTE_PGM_RSRC2:TGID_X_EN: 1
; COMPUTE_PGM_RSRC2:TGID_Y_EN: 0
; COMPUTE_PGM_RSRC2:TGID_Z_EN: 0
; COMPUTE_PGM_RSRC2:TIDIG_COMP_CNT: 0
	.section	.text._ZN9rocsparseL19gebsrmvn_2xn_kernelILj128ELj15ELj16EdEEvi20rocsparse_direction_NS_24const_host_device_scalarIT2_EEPKiS6_PKS3_S8_S4_PS3_21rocsparse_index_base_b,"axG",@progbits,_ZN9rocsparseL19gebsrmvn_2xn_kernelILj128ELj15ELj16EdEEvi20rocsparse_direction_NS_24const_host_device_scalarIT2_EEPKiS6_PKS3_S8_S4_PS3_21rocsparse_index_base_b,comdat
	.globl	_ZN9rocsparseL19gebsrmvn_2xn_kernelILj128ELj15ELj16EdEEvi20rocsparse_direction_NS_24const_host_device_scalarIT2_EEPKiS6_PKS3_S8_S4_PS3_21rocsparse_index_base_b ; -- Begin function _ZN9rocsparseL19gebsrmvn_2xn_kernelILj128ELj15ELj16EdEEvi20rocsparse_direction_NS_24const_host_device_scalarIT2_EEPKiS6_PKS3_S8_S4_PS3_21rocsparse_index_base_b
	.p2align	8
	.type	_ZN9rocsparseL19gebsrmvn_2xn_kernelILj128ELj15ELj16EdEEvi20rocsparse_direction_NS_24const_host_device_scalarIT2_EEPKiS6_PKS3_S8_S4_PS3_21rocsparse_index_base_b,@function
_ZN9rocsparseL19gebsrmvn_2xn_kernelILj128ELj15ELj16EdEEvi20rocsparse_direction_NS_24const_host_device_scalarIT2_EEPKiS6_PKS3_S8_S4_PS3_21rocsparse_index_base_b: ; @_ZN9rocsparseL19gebsrmvn_2xn_kernelILj128ELj15ELj16EdEEvi20rocsparse_direction_NS_24const_host_device_scalarIT2_EEPKiS6_PKS3_S8_S4_PS3_21rocsparse_index_base_b
; %bb.0:
	s_clause 0x2
	s_load_b64 s[12:13], s[0:1], 0x40
	s_load_b64 s[4:5], s[0:1], 0x8
	;; [unrolled: 1-line block ×3, first 2 shown]
	s_wait_kmcnt 0x0
	s_bitcmp1_b32 s13, 0
	v_mov_b64_e32 v[2:3], s[4:5]
	s_cselect_b32 s6, -1, 0
	s_delay_alu instid0(SALU_CYCLE_1)
	s_and_b32 vcc_lo, exec_lo, s6
	s_xor_b32 s6, s6, -1
	s_cbranch_vccnz .LBB143_2
; %bb.1:
	v_mov_b32_e32 v1, 0
	flat_load_b64 v[2:3], v1, s[4:5]
.LBB143_2:
	v_mov_b64_e32 v[4:5], s[2:3]
	s_and_not1_b32 vcc_lo, exec_lo, s6
	s_cbranch_vccnz .LBB143_4
; %bb.3:
	s_wait_xcnt 0x0
	v_mov_b32_e32 v1, 0
	flat_load_b64 v[4:5], v1, s[2:3]
.LBB143_4:
	s_wait_loadcnt_dscnt 0x0
	v_cmp_neq_f64_e32 vcc_lo, 0, v[2:3]
	s_delay_alu instid0(VALU_DEP_2) | instskip(SKIP_1) | instid1(SALU_CYCLE_1)
	v_cmp_neq_f64_e64 s2, 1.0, v[4:5]
	s_or_b32 s2, vcc_lo, s2
	s_and_saveexec_b32 s3, s2
	s_cbranch_execz .LBB143_23
; %bb.5:
	s_load_b64 s[2:3], s[0:1], 0x0
	s_bfe_u32 s4, ttmp6, 0x4000c
	s_and_b32 s5, ttmp6, 15
	s_add_co_i32 s4, s4, 1
	s_getreg_b32 s6, hwreg(HW_REG_IB_STS2, 6, 4)
	s_mul_i32 s4, ttmp9, s4
	v_lshrrev_b32_e32 v1, 4, v0
	s_add_co_i32 s5, s5, s4
	s_cmp_eq_u32 s6, 0
	s_cselect_b32 s4, ttmp9, s5
	s_delay_alu instid0(VALU_DEP_1) | instid1(SALU_CYCLE_1)
	v_lshl_or_b32 v6, s4, 3, v1
	s_wait_kmcnt 0x0
	s_delay_alu instid0(VALU_DEP_1)
	v_cmp_gt_i32_e32 vcc_lo, s2, v6
	s_and_b32 exec_lo, exec_lo, vcc_lo
	s_cbranch_execz .LBB143_23
; %bb.6:
	s_load_b256 s[4:11], s[0:1], 0x10
	v_ashrrev_i32_e32 v7, 31, v6
	s_cmp_lg_u32 s3, 0
	s_wait_kmcnt 0x0
	s_delay_alu instid0(VALU_DEP_1)
	v_lshl_add_u64 v[8:9], v[6:7], 2, s[4:5]
	v_and_b32_e32 v7, 15, v0
	global_load_b64 v[8:9], v[8:9], off
	s_wait_loadcnt 0x0
	v_subrev_nc_u32_e32 v0, s12, v8
	v_subrev_nc_u32_e32 v14, s12, v9
	s_delay_alu instid0(VALU_DEP_2) | instskip(NEXT) | instid1(VALU_DEP_1)
	v_add_nc_u32_e32 v15, v0, v7
	v_cmp_lt_i32_e64 s2, v15, v14
	s_cbranch_scc0 .LBB143_12
; %bb.7:
	v_mov_b64_e32 v[0:1], 0
	v_mov_b64_e32 v[8:9], 0
	s_and_saveexec_b32 s3, s2
	s_cbranch_execz .LBB143_11
; %bb.8:
	v_mad_u32 v10, v15, 30, 28
	v_mov_b64_e32 v[0:1], 0
	v_mov_b64_e32 v[8:9], 0
	v_dual_mov_b32 v13, 0 :: v_dual_mov_b32 v16, v15
	s_mov_b32 s4, 0
.LBB143_9:                              ; =>This Inner Loop Header: Depth=1
	global_load_b32 v11, v16, s[6:7] scale_offset
	v_subrev_nc_u32_e32 v12, 28, v10
	s_wait_xcnt 0x0
	v_add_nc_u32_e32 v16, 16, v16
	s_delay_alu instid0(VALU_DEP_2) | instskip(SKIP_1) | instid1(VALU_DEP_3)
	v_lshl_add_u64 v[22:23], v[12:13], 3, s[8:9]
	v_subrev_nc_u32_e32 v12, 26, v10
	v_cmp_ge_i32_e32 vcc_lo, v16, v14
	s_delay_alu instid0(VALU_DEP_2) | instskip(SKIP_2) | instid1(VALU_DEP_1)
	v_lshl_add_u64 v[26:27], v[12:13], 3, s[8:9]
	v_subrev_nc_u32_e32 v12, 24, v10
	s_or_b32 s4, vcc_lo, s4
	v_lshl_add_u64 v[30:31], v[12:13], 3, s[8:9]
	v_subrev_nc_u32_e32 v12, 22, v10
	s_delay_alu instid0(VALU_DEP_1) | instskip(SKIP_1) | instid1(VALU_DEP_1)
	v_lshl_add_u64 v[34:35], v[12:13], 3, s[8:9]
	v_subrev_nc_u32_e32 v12, 20, v10
	v_lshl_add_u64 v[38:39], v[12:13], 3, s[8:9]
	v_subrev_nc_u32_e32 v12, 18, v10
	s_delay_alu instid0(VALU_DEP_1) | instskip(SKIP_1) | instid1(VALU_DEP_1)
	v_lshl_add_u64 v[42:43], v[12:13], 3, s[8:9]
	v_add_nc_u32_e32 v12, -16, v10
	v_lshl_add_u64 v[46:47], v[12:13], 3, s[8:9]
	v_add_nc_u32_e32 v12, -14, v10
	s_delay_alu instid0(VALU_DEP_1) | instskip(SKIP_1) | instid1(VALU_DEP_1)
	v_lshl_add_u64 v[50:51], v[12:13], 3, s[8:9]
	v_add_nc_u32_e32 v12, -12, v10
	v_lshl_add_u64 v[54:55], v[12:13], 3, s[8:9]
	v_add_nc_u32_e32 v12, -10, v10
	;; [unrolled: 5-line block ×3, first 2 shown]
	s_wait_loadcnt 0x0
	v_subrev_nc_u32_e32 v11, s12, v11
	s_delay_alu instid0(VALU_DEP_1)
	v_mul_lo_u32 v17, v11, 15
	global_load_b128 v[18:21], v[22:23], off
	global_load_b64 v[62:63], v17, s[10:11] scale_offset
	v_add_nc_u32_e32 v11, 1, v17
	global_load_b128 v[22:25], v[26:27], off
	global_load_b64 v[64:65], v11, s[10:11] scale_offset
	s_wait_xcnt 0x0
	v_add_nc_u32_e32 v11, 2, v17
	global_load_b128 v[26:29], v[30:31], off
	global_load_b64 v[66:67], v11, s[10:11] scale_offset
	s_wait_xcnt 0x0
	;; [unrolled: 4-line block ×6, first 2 shown]
	v_add_nc_u32_e32 v11, 7, v17
	s_wait_loadcnt 0xc
	v_fmac_f64_e32 v[0:1], v[18:19], v[62:63]
	v_fmac_f64_e32 v[8:9], v[20:21], v[62:63]
	v_lshl_add_u64 v[62:63], v[12:13], 3, s[8:9]
	v_add_nc_u32_e32 v12, -4, v10
	global_load_b128 v[46:49], v[50:51], off
	global_load_b64 v[76:77], v11, s[10:11] scale_offset
	s_wait_xcnt 0x0
	v_add_nc_u32_e32 v11, 8, v17
	global_load_b128 v[50:53], v[54:55], off
	global_load_b64 v[78:79], v11, s[10:11] scale_offset
	s_wait_xcnt 0x0
	v_add_nc_u32_e32 v11, 9, v17
	;; [unrolled: 4-line block ×4, first 2 shown]
	global_load_b128 v[18:21], v[62:63], off
	global_load_b64 v[82:83], v11, s[10:11] scale_offset
	s_wait_xcnt 0x1
	v_lshl_add_u64 v[62:63], v[12:13], 3, s[8:9]
	s_wait_xcnt 0x0
	v_dual_add_nc_u32 v11, 12, v17 :: v_dual_add_nc_u32 v12, -2, v10
	s_wait_loadcnt 0x14
	v_fmac_f64_e32 v[0:1], v[22:23], v[64:65]
	v_fmac_f64_e32 v[8:9], v[24:25], v[64:65]
	global_load_b128 v[22:25], v[62:63], off
	global_load_b64 v[64:65], v11, s[10:11] scale_offset
	s_wait_xcnt 0x1
	v_lshl_add_u64 v[62:63], v[12:13], 3, s[8:9]
	s_wait_xcnt 0x0
	v_add_nc_u32_e32 v11, 13, v17
	s_wait_loadcnt 0x14
	v_fmac_f64_e32 v[0:1], v[26:27], v[66:67]
	v_fmac_f64_e32 v[8:9], v[28:29], v[66:67]
	global_load_b128 v[26:29], v[62:63], off
	global_load_b64 v[66:67], v11, s[10:11] scale_offset
	s_wait_xcnt 0x0
	v_mov_b32_e32 v11, v13
	s_delay_alu instid0(VALU_DEP_1)
	v_lshl_add_u64 v[62:63], v[10:11], 3, s[8:9]
	v_add_nc_u32_e32 v11, 14, v17
	v_add_nc_u32_e32 v10, 0x1e0, v10
	s_wait_loadcnt 0x14
	v_fmac_f64_e32 v[0:1], v[30:31], v[68:69]
	v_fmac_f64_e32 v[8:9], v[32:33], v[68:69]
	global_load_b128 v[30:33], v[62:63], off
	global_load_b64 v[68:69], v11, s[10:11] scale_offset
	s_wait_loadcnt 0x14
	v_fmac_f64_e32 v[0:1], v[34:35], v[70:71]
	v_fmac_f64_e32 v[8:9], v[36:37], v[70:71]
	s_wait_loadcnt 0x12
	s_delay_alu instid0(VALU_DEP_2) | instskip(NEXT) | instid1(VALU_DEP_2)
	v_fmac_f64_e32 v[0:1], v[38:39], v[72:73]
	v_fmac_f64_e32 v[8:9], v[40:41], v[72:73]
	s_wait_loadcnt 0x10
	s_delay_alu instid0(VALU_DEP_2) | instskip(NEXT) | instid1(VALU_DEP_2)
	v_fmac_f64_e32 v[0:1], v[42:43], v[74:75]
	v_fmac_f64_e32 v[8:9], v[44:45], v[74:75]
	s_wait_loadcnt 0xe
	s_delay_alu instid0(VALU_DEP_2) | instskip(NEXT) | instid1(VALU_DEP_2)
	v_fmac_f64_e32 v[0:1], v[46:47], v[76:77]
	v_fmac_f64_e32 v[8:9], v[48:49], v[76:77]
	s_wait_loadcnt 0xc
	s_delay_alu instid0(VALU_DEP_2) | instskip(NEXT) | instid1(VALU_DEP_2)
	v_fmac_f64_e32 v[0:1], v[50:51], v[78:79]
	v_fmac_f64_e32 v[8:9], v[52:53], v[78:79]
	s_wait_loadcnt 0xa
	s_delay_alu instid0(VALU_DEP_2) | instskip(NEXT) | instid1(VALU_DEP_2)
	v_fmac_f64_e32 v[0:1], v[54:55], v[80:81]
	v_fmac_f64_e32 v[8:9], v[56:57], v[80:81]
	s_wait_loadcnt 0x8
	s_delay_alu instid0(VALU_DEP_2) | instskip(NEXT) | instid1(VALU_DEP_2)
	v_fmac_f64_e32 v[0:1], v[58:59], v[84:85]
	v_fmac_f64_e32 v[8:9], v[60:61], v[84:85]
	s_wait_loadcnt 0x6
	s_delay_alu instid0(VALU_DEP_2) | instskip(NEXT) | instid1(VALU_DEP_2)
	v_fmac_f64_e32 v[0:1], v[18:19], v[82:83]
	v_fmac_f64_e32 v[8:9], v[20:21], v[82:83]
	s_wait_loadcnt 0x4
	s_delay_alu instid0(VALU_DEP_2) | instskip(NEXT) | instid1(VALU_DEP_2)
	v_fmac_f64_e32 v[0:1], v[22:23], v[64:65]
	v_fmac_f64_e32 v[8:9], v[24:25], v[64:65]
	s_wait_loadcnt 0x2
	s_delay_alu instid0(VALU_DEP_2) | instskip(NEXT) | instid1(VALU_DEP_2)
	v_fmac_f64_e32 v[0:1], v[26:27], v[66:67]
	v_fmac_f64_e32 v[8:9], v[28:29], v[66:67]
	s_wait_loadcnt 0x0
	s_delay_alu instid0(VALU_DEP_2) | instskip(NEXT) | instid1(VALU_DEP_2)
	v_fmac_f64_e32 v[0:1], v[30:31], v[68:69]
	v_fmac_f64_e32 v[8:9], v[32:33], v[68:69]
	s_and_not1_b32 exec_lo, exec_lo, s4
	s_cbranch_execnz .LBB143_9
; %bb.10:
	s_or_b32 exec_lo, exec_lo, s4
.LBB143_11:
	s_delay_alu instid0(SALU_CYCLE_1)
	s_or_b32 exec_lo, exec_lo, s3
	s_cbranch_execz .LBB143_13
	s_branch .LBB143_18
.LBB143_12:
                                        ; implicit-def: $vgpr0_vgpr1
                                        ; implicit-def: $vgpr8_vgpr9
.LBB143_13:
	v_mov_b64_e32 v[0:1], 0
	v_mov_b64_e32 v[8:9], 0
	s_and_saveexec_b32 s3, s2
	s_cbranch_execz .LBB143_17
; %bb.14:
	v_mad_u32 v12, v15, 30, 29
	v_mov_b64_e32 v[0:1], 0
	v_mov_b64_e32 v[8:9], 0
	v_mov_b32_e32 v11, 0
	s_mov_b32 s2, 0
.LBB143_15:                             ; =>This Inner Loop Header: Depth=1
	global_load_b32 v13, v15, s[6:7] scale_offset
	v_subrev_nc_u32_e32 v10, 29, v12
	s_wait_xcnt 0x0
	v_dual_add_nc_u32 v26, -14, v12 :: v_dual_add_nc_u32 v15, 16, v15
	v_dual_add_nc_u32 v34, -12, v12 :: v_dual_add_nc_u32 v40, -11, v12
	s_delay_alu instid0(VALU_DEP_3)
	v_lshl_add_u64 v[20:21], v[10:11], 3, s[8:9]
	v_dual_add_nc_u32 v10, -13, v12 :: v_dual_add_nc_u32 v46, -10, v12
	v_dual_add_nc_u32 v52, -9, v12 :: v_dual_add_nc_u32 v58, -8, v12
	;; [unrolled: 1-line block ×4, first 2 shown]
	v_cmp_ge_i32_e32 vcc_lo, v15, v14
	v_add_nc_u32_e32 v82, -2, v12
	s_or_b32 s2, vcc_lo, s2
	s_wait_loadcnt 0x0
	v_subrev_nc_u32_e32 v13, s12, v13
	s_delay_alu instid0(VALU_DEP_1)
	v_mul_lo_u32 v13, v13, 15
	s_clause 0x1
	global_load_b128 v[16:19], v[20:21], off
	global_load_b64 v[22:23], v26, s[8:9] scale_offset
	global_load_b64 v[24:25], v13, s[10:11] scale_offset
	v_add_nc_u32_e32 v28, 1, v13
	global_load_b64 v[20:21], v10, s[8:9] scale_offset
	global_load_b64 v[26:27], v28, s[10:11] scale_offset
	s_wait_xcnt 0x1
	v_subrev_nc_u32_e32 v10, 27, v12
	v_add_nc_u32_e32 v35, 2, v13
	s_clause 0x1
	global_load_b64 v[28:29], v10, s[8:9] scale_offset
	global_load_b64 v[30:31], v34, s[8:9] scale_offset
	global_load_b64 v[32:33], v35, s[10:11] scale_offset
	s_wait_xcnt 0x2
	v_subrev_nc_u32_e32 v10, 26, v12
	v_add_nc_u32_e32 v41, 3, v13
	s_clause 0x1
	global_load_b64 v[34:35], v10, s[8:9] scale_offset
	;; [unrolled: 7-line block ×8, first 2 shown]
	global_load_b64 v[72:73], v76, s[8:9] scale_offset
	global_load_b64 v[74:75], v77, s[10:11] scale_offset
	s_wait_xcnt 0x2
	v_subrev_nc_u32_e32 v10, 19, v12
	s_clause 0x1
	global_load_b64 v[76:77], v10, s[8:9] scale_offset
	global_load_b64 v[78:79], v80, s[8:9] scale_offset
	s_wait_xcnt 0x1
	v_dual_add_nc_u32 v10, 10, v13 :: v_dual_add_nc_u32 v83, 12, v13
	s_wait_loadcnt 0x1c
	v_fmac_f64_e32 v[0:1], v[16:17], v[24:25]
	v_fmac_f64_e32 v[8:9], v[22:23], v[24:25]
	v_add_nc_u32_e32 v24, -3, v12
	global_load_b64 v[80:81], v10, s[10:11] scale_offset
	s_wait_xcnt 0x0
	v_subrev_nc_u32_e32 v10, 18, v12
	v_add_nc_u32_e32 v25, 11, v13
	global_load_b64 v[16:17], v10, s[8:9] scale_offset
	s_wait_xcnt 0x0
	v_subrev_nc_u32_e32 v10, 17, v12
	s_wait_loadcnt 0x1c
	v_fmac_f64_e32 v[0:1], v[18:19], v[26:27]
	global_load_b64 v[18:19], v24, s[8:9] scale_offset
	global_load_b64 v[22:23], v25, s[10:11] scale_offset
	v_fmac_f64_e32 v[8:9], v[20:21], v[26:27]
	s_clause 0x1
	global_load_b64 v[20:21], v10, s[8:9] scale_offset
	global_load_b64 v[24:25], v82, s[8:9] scale_offset
	;; [unrolled: 1-line block ×3, first 2 shown]
	s_wait_xcnt 0x1
	v_dual_add_nc_u32 v10, -16, v12 :: v_dual_add_nc_u32 v82, -1, v12
	s_wait_xcnt 0x0
	v_dual_add_nc_u32 v83, 13, v13 :: v_dual_add_nc_u32 v13, 14, v13
	s_wait_loadcnt 0x1e
	v_fmac_f64_e32 v[0:1], v[28:29], v[32:33]
	v_fmac_f64_e32 v[8:9], v[30:31], v[32:33]
	s_clause 0x1
	global_load_b64 v[28:29], v10, s[8:9] scale_offset
	global_load_b64 v[30:31], v82, s[8:9] scale_offset
	;; [unrolled: 1-line block ×3, first 2 shown]
	s_wait_xcnt 0x2
	v_add_nc_u32_e32 v10, -15, v12
	s_wait_loadcnt 0x1e
	v_fmac_f64_e32 v[0:1], v[34:35], v[38:39]
	v_fmac_f64_e32 v[8:9], v[36:37], v[38:39]
	s_clause 0x1
	global_load_b64 v[34:35], v12, s[8:9] scale_offset
	global_load_b64 v[36:37], v10, s[8:9] scale_offset
	;; [unrolled: 1-line block ×3, first 2 shown]
	s_wait_xcnt 0x2
	v_add_nc_u32_e32 v12, 0x1e0, v12
	s_wait_loadcnt 0x1e
	v_fmac_f64_e32 v[0:1], v[40:41], v[44:45]
	v_fmac_f64_e32 v[8:9], v[42:43], v[44:45]
	s_wait_loadcnt 0x1b
	s_delay_alu instid0(VALU_DEP_2) | instskip(NEXT) | instid1(VALU_DEP_2)
	v_fmac_f64_e32 v[0:1], v[46:47], v[50:51]
	v_fmac_f64_e32 v[8:9], v[48:49], v[50:51]
	s_wait_loadcnt 0x18
	s_delay_alu instid0(VALU_DEP_2) | instskip(NEXT) | instid1(VALU_DEP_2)
	;; [unrolled: 4-line block ×10, first 2 shown]
	v_fmac_f64_e32 v[0:1], v[36:37], v[38:39]
	v_fmac_f64_e32 v[8:9], v[34:35], v[38:39]
	s_and_not1_b32 exec_lo, exec_lo, s2
	s_cbranch_execnz .LBB143_15
; %bb.16:
	s_or_b32 exec_lo, exec_lo, s2
.LBB143_17:
	s_delay_alu instid0(SALU_CYCLE_1)
	s_or_b32 exec_lo, exec_lo, s3
.LBB143_18:
	v_mbcnt_lo_u32_b32 v14, -1, 0
	s_delay_alu instid0(VALU_DEP_1) | instskip(NEXT) | instid1(VALU_DEP_1)
	v_xor_b32_e32 v10, 8, v14
	v_cmp_gt_i32_e32 vcc_lo, 32, v10
	v_cndmask_b32_e32 v10, v14, v10, vcc_lo
	s_delay_alu instid0(VALU_DEP_1)
	v_lshlrev_b32_e32 v13, 2, v10
	ds_bpermute_b32 v10, v13, v0
	ds_bpermute_b32 v11, v13, v1
	s_wait_dscnt 0x0
	v_add_f64_e32 v[0:1], v[0:1], v[10:11]
	v_xor_b32_e32 v10, 4, v14
	s_delay_alu instid0(VALU_DEP_1)
	v_cmp_gt_i32_e32 vcc_lo, 32, v10
	v_cndmask_b32_e32 v10, v14, v10, vcc_lo
	ds_bpermute_b32 v12, v13, v8
	ds_bpermute_b32 v13, v13, v9
	s_wait_dscnt 0x0
	v_dual_add_f64 v[8:9], v[8:9], v[12:13] :: v_dual_lshlrev_b32 v13, 2, v10
	ds_bpermute_b32 v10, v13, v0
	ds_bpermute_b32 v11, v13, v1
	s_wait_dscnt 0x0
	v_add_f64_e32 v[0:1], v[0:1], v[10:11]
	v_xor_b32_e32 v10, 2, v14
	s_delay_alu instid0(VALU_DEP_1)
	v_cmp_gt_i32_e32 vcc_lo, 32, v10
	v_cndmask_b32_e32 v10, v14, v10, vcc_lo
	ds_bpermute_b32 v12, v13, v8
	ds_bpermute_b32 v13, v13, v9
	s_wait_dscnt 0x0
	v_dual_add_f64 v[8:9], v[8:9], v[12:13] :: v_dual_lshlrev_b32 v13, 2, v10
	ds_bpermute_b32 v10, v13, v0
	ds_bpermute_b32 v11, v13, v1
	s_wait_dscnt 0x0
	v_add_f64_e32 v[0:1], v[0:1], v[10:11]
	ds_bpermute_b32 v12, v13, v8
	ds_bpermute_b32 v13, v13, v9
	s_wait_dscnt 0x0
	v_dual_add_f64 v[10:11], v[8:9], v[12:13] :: v_dual_bitop2_b32 v8, 1, v14 bitop3:0x14
	s_delay_alu instid0(VALU_DEP_1) | instskip(SKIP_2) | instid1(VALU_DEP_2)
	v_cmp_gt_i32_e32 vcc_lo, 32, v8
	v_cndmask_b32_e32 v8, v14, v8, vcc_lo
	v_cmp_eq_u32_e32 vcc_lo, 15, v7
	v_lshlrev_b32_e32 v13, 2, v8
	ds_bpermute_b32 v8, v13, v0
	ds_bpermute_b32 v9, v13, v1
	ds_bpermute_b32 v12, v13, v10
	ds_bpermute_b32 v13, v13, v11
	s_and_b32 exec_lo, exec_lo, vcc_lo
	s_cbranch_execz .LBB143_23
; %bb.19:
	s_wait_dscnt 0x2
	v_add_f64_e32 v[8:9], v[0:1], v[8:9]
	s_wait_dscnt 0x0
	v_add_f64_e32 v[0:1], v[10:11], v[12:13]
	s_load_b64 s[0:1], s[0:1], 0x38
	s_mov_b32 s2, exec_lo
	v_cmpx_eq_f64_e32 0, v[4:5]
	s_xor_b32 s2, exec_lo, s2
	s_cbranch_execz .LBB143_21
; %bb.20:
	s_delay_alu instid0(VALU_DEP_3) | instskip(NEXT) | instid1(VALU_DEP_3)
	v_mul_f64_e32 v[8:9], v[2:3], v[8:9]
	v_dual_mul_f64 v[10:11], v[2:3], v[0:1] :: v_dual_lshlrev_b32 v0, 1, v6
                                        ; implicit-def: $vgpr6
                                        ; implicit-def: $vgpr2_vgpr3
                                        ; implicit-def: $vgpr4_vgpr5
	s_delay_alu instid0(VALU_DEP_1) | instskip(SKIP_1) | instid1(VALU_DEP_1)
	v_ashrrev_i32_e32 v1, 31, v0
	s_wait_kmcnt 0x0
	v_lshl_add_u64 v[0:1], v[0:1], 3, s[0:1]
	global_store_b128 v[0:1], v[8:11], off
                                        ; implicit-def: $vgpr8_vgpr9
                                        ; implicit-def: $vgpr0_vgpr1
.LBB143_21:
	s_wait_xcnt 0x0
	s_and_not1_saveexec_b32 s2, s2
	s_cbranch_execz .LBB143_23
; %bb.22:
	v_lshlrev_b32_e32 v6, 1, v6
	s_delay_alu instid0(VALU_DEP_1) | instskip(SKIP_1) | instid1(VALU_DEP_1)
	v_ashrrev_i32_e32 v7, 31, v6
	s_wait_kmcnt 0x0
	v_lshl_add_u64 v[14:15], v[6:7], 3, s[0:1]
	v_mul_f64_e32 v[6:7], v[2:3], v[8:9]
	v_mul_f64_e32 v[8:9], v[2:3], v[0:1]
	global_load_b128 v[10:13], v[14:15], off
	s_wait_loadcnt 0x0
	v_fmac_f64_e32 v[6:7], v[4:5], v[10:11]
	v_fmac_f64_e32 v[8:9], v[4:5], v[12:13]
	global_store_b128 v[14:15], v[6:9], off
.LBB143_23:
	s_sendmsg sendmsg(MSG_DEALLOC_VGPRS)
	s_endpgm
	.section	.rodata,"a",@progbits
	.p2align	6, 0x0
	.amdhsa_kernel _ZN9rocsparseL19gebsrmvn_2xn_kernelILj128ELj15ELj16EdEEvi20rocsparse_direction_NS_24const_host_device_scalarIT2_EEPKiS6_PKS3_S8_S4_PS3_21rocsparse_index_base_b
		.amdhsa_group_segment_fixed_size 0
		.amdhsa_private_segment_fixed_size 0
		.amdhsa_kernarg_size 72
		.amdhsa_user_sgpr_count 2
		.amdhsa_user_sgpr_dispatch_ptr 0
		.amdhsa_user_sgpr_queue_ptr 0
		.amdhsa_user_sgpr_kernarg_segment_ptr 1
		.amdhsa_user_sgpr_dispatch_id 0
		.amdhsa_user_sgpr_kernarg_preload_length 0
		.amdhsa_user_sgpr_kernarg_preload_offset 0
		.amdhsa_user_sgpr_private_segment_size 0
		.amdhsa_wavefront_size32 1
		.amdhsa_uses_dynamic_stack 0
		.amdhsa_enable_private_segment 0
		.amdhsa_system_sgpr_workgroup_id_x 1
		.amdhsa_system_sgpr_workgroup_id_y 0
		.amdhsa_system_sgpr_workgroup_id_z 0
		.amdhsa_system_sgpr_workgroup_info 0
		.amdhsa_system_vgpr_workitem_id 0
		.amdhsa_next_free_vgpr 86
		.amdhsa_next_free_sgpr 14
		.amdhsa_named_barrier_count 0
		.amdhsa_reserve_vcc 1
		.amdhsa_float_round_mode_32 0
		.amdhsa_float_round_mode_16_64 0
		.amdhsa_float_denorm_mode_32 3
		.amdhsa_float_denorm_mode_16_64 3
		.amdhsa_fp16_overflow 0
		.amdhsa_memory_ordered 1
		.amdhsa_forward_progress 1
		.amdhsa_inst_pref_size 24
		.amdhsa_round_robin_scheduling 0
		.amdhsa_exception_fp_ieee_invalid_op 0
		.amdhsa_exception_fp_denorm_src 0
		.amdhsa_exception_fp_ieee_div_zero 0
		.amdhsa_exception_fp_ieee_overflow 0
		.amdhsa_exception_fp_ieee_underflow 0
		.amdhsa_exception_fp_ieee_inexact 0
		.amdhsa_exception_int_div_zero 0
	.end_amdhsa_kernel
	.section	.text._ZN9rocsparseL19gebsrmvn_2xn_kernelILj128ELj15ELj16EdEEvi20rocsparse_direction_NS_24const_host_device_scalarIT2_EEPKiS6_PKS3_S8_S4_PS3_21rocsparse_index_base_b,"axG",@progbits,_ZN9rocsparseL19gebsrmvn_2xn_kernelILj128ELj15ELj16EdEEvi20rocsparse_direction_NS_24const_host_device_scalarIT2_EEPKiS6_PKS3_S8_S4_PS3_21rocsparse_index_base_b,comdat
.Lfunc_end143:
	.size	_ZN9rocsparseL19gebsrmvn_2xn_kernelILj128ELj15ELj16EdEEvi20rocsparse_direction_NS_24const_host_device_scalarIT2_EEPKiS6_PKS3_S8_S4_PS3_21rocsparse_index_base_b, .Lfunc_end143-_ZN9rocsparseL19gebsrmvn_2xn_kernelILj128ELj15ELj16EdEEvi20rocsparse_direction_NS_24const_host_device_scalarIT2_EEPKiS6_PKS3_S8_S4_PS3_21rocsparse_index_base_b
                                        ; -- End function
	.set _ZN9rocsparseL19gebsrmvn_2xn_kernelILj128ELj15ELj16EdEEvi20rocsparse_direction_NS_24const_host_device_scalarIT2_EEPKiS6_PKS3_S8_S4_PS3_21rocsparse_index_base_b.num_vgpr, 86
	.set _ZN9rocsparseL19gebsrmvn_2xn_kernelILj128ELj15ELj16EdEEvi20rocsparse_direction_NS_24const_host_device_scalarIT2_EEPKiS6_PKS3_S8_S4_PS3_21rocsparse_index_base_b.num_agpr, 0
	.set _ZN9rocsparseL19gebsrmvn_2xn_kernelILj128ELj15ELj16EdEEvi20rocsparse_direction_NS_24const_host_device_scalarIT2_EEPKiS6_PKS3_S8_S4_PS3_21rocsparse_index_base_b.numbered_sgpr, 14
	.set _ZN9rocsparseL19gebsrmvn_2xn_kernelILj128ELj15ELj16EdEEvi20rocsparse_direction_NS_24const_host_device_scalarIT2_EEPKiS6_PKS3_S8_S4_PS3_21rocsparse_index_base_b.num_named_barrier, 0
	.set _ZN9rocsparseL19gebsrmvn_2xn_kernelILj128ELj15ELj16EdEEvi20rocsparse_direction_NS_24const_host_device_scalarIT2_EEPKiS6_PKS3_S8_S4_PS3_21rocsparse_index_base_b.private_seg_size, 0
	.set _ZN9rocsparseL19gebsrmvn_2xn_kernelILj128ELj15ELj16EdEEvi20rocsparse_direction_NS_24const_host_device_scalarIT2_EEPKiS6_PKS3_S8_S4_PS3_21rocsparse_index_base_b.uses_vcc, 1
	.set _ZN9rocsparseL19gebsrmvn_2xn_kernelILj128ELj15ELj16EdEEvi20rocsparse_direction_NS_24const_host_device_scalarIT2_EEPKiS6_PKS3_S8_S4_PS3_21rocsparse_index_base_b.uses_flat_scratch, 0
	.set _ZN9rocsparseL19gebsrmvn_2xn_kernelILj128ELj15ELj16EdEEvi20rocsparse_direction_NS_24const_host_device_scalarIT2_EEPKiS6_PKS3_S8_S4_PS3_21rocsparse_index_base_b.has_dyn_sized_stack, 0
	.set _ZN9rocsparseL19gebsrmvn_2xn_kernelILj128ELj15ELj16EdEEvi20rocsparse_direction_NS_24const_host_device_scalarIT2_EEPKiS6_PKS3_S8_S4_PS3_21rocsparse_index_base_b.has_recursion, 0
	.set _ZN9rocsparseL19gebsrmvn_2xn_kernelILj128ELj15ELj16EdEEvi20rocsparse_direction_NS_24const_host_device_scalarIT2_EEPKiS6_PKS3_S8_S4_PS3_21rocsparse_index_base_b.has_indirect_call, 0
	.section	.AMDGPU.csdata,"",@progbits
; Kernel info:
; codeLenInByte = 3004
; TotalNumSgprs: 16
; NumVgprs: 86
; ScratchSize: 0
; MemoryBound: 0
; FloatMode: 240
; IeeeMode: 1
; LDSByteSize: 0 bytes/workgroup (compile time only)
; SGPRBlocks: 0
; VGPRBlocks: 5
; NumSGPRsForWavesPerEU: 16
; NumVGPRsForWavesPerEU: 86
; NamedBarCnt: 0
; Occupancy: 10
; WaveLimiterHint : 1
; COMPUTE_PGM_RSRC2:SCRATCH_EN: 0
; COMPUTE_PGM_RSRC2:USER_SGPR: 2
; COMPUTE_PGM_RSRC2:TRAP_HANDLER: 0
; COMPUTE_PGM_RSRC2:TGID_X_EN: 1
; COMPUTE_PGM_RSRC2:TGID_Y_EN: 0
; COMPUTE_PGM_RSRC2:TGID_Z_EN: 0
; COMPUTE_PGM_RSRC2:TIDIG_COMP_CNT: 0
	.section	.text._ZN9rocsparseL19gebsrmvn_2xn_kernelILj128ELj15ELj32EdEEvi20rocsparse_direction_NS_24const_host_device_scalarIT2_EEPKiS6_PKS3_S8_S4_PS3_21rocsparse_index_base_b,"axG",@progbits,_ZN9rocsparseL19gebsrmvn_2xn_kernelILj128ELj15ELj32EdEEvi20rocsparse_direction_NS_24const_host_device_scalarIT2_EEPKiS6_PKS3_S8_S4_PS3_21rocsparse_index_base_b,comdat
	.globl	_ZN9rocsparseL19gebsrmvn_2xn_kernelILj128ELj15ELj32EdEEvi20rocsparse_direction_NS_24const_host_device_scalarIT2_EEPKiS6_PKS3_S8_S4_PS3_21rocsparse_index_base_b ; -- Begin function _ZN9rocsparseL19gebsrmvn_2xn_kernelILj128ELj15ELj32EdEEvi20rocsparse_direction_NS_24const_host_device_scalarIT2_EEPKiS6_PKS3_S8_S4_PS3_21rocsparse_index_base_b
	.p2align	8
	.type	_ZN9rocsparseL19gebsrmvn_2xn_kernelILj128ELj15ELj32EdEEvi20rocsparse_direction_NS_24const_host_device_scalarIT2_EEPKiS6_PKS3_S8_S4_PS3_21rocsparse_index_base_b,@function
_ZN9rocsparseL19gebsrmvn_2xn_kernelILj128ELj15ELj32EdEEvi20rocsparse_direction_NS_24const_host_device_scalarIT2_EEPKiS6_PKS3_S8_S4_PS3_21rocsparse_index_base_b: ; @_ZN9rocsparseL19gebsrmvn_2xn_kernelILj128ELj15ELj32EdEEvi20rocsparse_direction_NS_24const_host_device_scalarIT2_EEPKiS6_PKS3_S8_S4_PS3_21rocsparse_index_base_b
; %bb.0:
	s_clause 0x2
	s_load_b64 s[12:13], s[0:1], 0x40
	s_load_b64 s[4:5], s[0:1], 0x8
	;; [unrolled: 1-line block ×3, first 2 shown]
	s_wait_kmcnt 0x0
	s_bitcmp1_b32 s13, 0
	v_mov_b64_e32 v[2:3], s[4:5]
	s_cselect_b32 s6, -1, 0
	s_delay_alu instid0(SALU_CYCLE_1)
	s_and_b32 vcc_lo, exec_lo, s6
	s_xor_b32 s6, s6, -1
	s_cbranch_vccnz .LBB144_2
; %bb.1:
	v_mov_b32_e32 v1, 0
	flat_load_b64 v[2:3], v1, s[4:5]
.LBB144_2:
	v_mov_b64_e32 v[4:5], s[2:3]
	s_and_not1_b32 vcc_lo, exec_lo, s6
	s_cbranch_vccnz .LBB144_4
; %bb.3:
	s_wait_xcnt 0x0
	v_mov_b32_e32 v1, 0
	flat_load_b64 v[4:5], v1, s[2:3]
.LBB144_4:
	s_wait_loadcnt_dscnt 0x0
	v_cmp_neq_f64_e32 vcc_lo, 0, v[2:3]
	s_delay_alu instid0(VALU_DEP_2) | instskip(SKIP_1) | instid1(SALU_CYCLE_1)
	v_cmp_neq_f64_e64 s2, 1.0, v[4:5]
	s_or_b32 s2, vcc_lo, s2
	s_and_saveexec_b32 s3, s2
	s_cbranch_execz .LBB144_23
; %bb.5:
	s_load_b64 s[2:3], s[0:1], 0x0
	s_bfe_u32 s4, ttmp6, 0x4000c
	s_and_b32 s5, ttmp6, 15
	s_add_co_i32 s4, s4, 1
	s_getreg_b32 s6, hwreg(HW_REG_IB_STS2, 6, 4)
	s_mul_i32 s4, ttmp9, s4
	v_lshrrev_b32_e32 v1, 5, v0
	s_add_co_i32 s5, s5, s4
	s_cmp_eq_u32 s6, 0
	s_cselect_b32 s4, ttmp9, s5
	s_delay_alu instid0(VALU_DEP_1) | instid1(SALU_CYCLE_1)
	v_lshl_or_b32 v6, s4, 2, v1
	s_wait_kmcnt 0x0
	s_delay_alu instid0(VALU_DEP_1)
	v_cmp_gt_i32_e32 vcc_lo, s2, v6
	s_and_b32 exec_lo, exec_lo, vcc_lo
	s_cbranch_execz .LBB144_23
; %bb.6:
	s_load_b256 s[4:11], s[0:1], 0x10
	v_ashrrev_i32_e32 v7, 31, v6
	s_cmp_lg_u32 s3, 0
	s_wait_kmcnt 0x0
	s_delay_alu instid0(VALU_DEP_1)
	v_lshl_add_u64 v[8:9], v[6:7], 2, s[4:5]
	v_and_b32_e32 v7, 31, v0
	global_load_b64 v[8:9], v[8:9], off
	s_wait_loadcnt 0x0
	v_subrev_nc_u32_e32 v0, s12, v8
	v_subrev_nc_u32_e32 v14, s12, v9
	s_delay_alu instid0(VALU_DEP_2) | instskip(NEXT) | instid1(VALU_DEP_1)
	v_add_nc_u32_e32 v15, v0, v7
	v_cmp_lt_i32_e64 s2, v15, v14
	s_cbranch_scc0 .LBB144_12
; %bb.7:
	v_mov_b64_e32 v[0:1], 0
	v_mov_b64_e32 v[8:9], 0
	s_and_saveexec_b32 s3, s2
	s_cbranch_execz .LBB144_11
; %bb.8:
	v_mad_u32 v10, v15, 30, 28
	v_mov_b64_e32 v[0:1], 0
	v_mov_b64_e32 v[8:9], 0
	v_dual_mov_b32 v13, 0 :: v_dual_mov_b32 v16, v15
	s_mov_b32 s4, 0
.LBB144_9:                              ; =>This Inner Loop Header: Depth=1
	global_load_b32 v11, v16, s[6:7] scale_offset
	v_subrev_nc_u32_e32 v12, 28, v10
	s_wait_xcnt 0x0
	v_add_nc_u32_e32 v16, 32, v16
	s_delay_alu instid0(VALU_DEP_2) | instskip(SKIP_1) | instid1(VALU_DEP_3)
	v_lshl_add_u64 v[22:23], v[12:13], 3, s[8:9]
	v_subrev_nc_u32_e32 v12, 26, v10
	v_cmp_ge_i32_e32 vcc_lo, v16, v14
	s_delay_alu instid0(VALU_DEP_2) | instskip(SKIP_2) | instid1(VALU_DEP_1)
	v_lshl_add_u64 v[26:27], v[12:13], 3, s[8:9]
	v_subrev_nc_u32_e32 v12, 24, v10
	s_or_b32 s4, vcc_lo, s4
	v_lshl_add_u64 v[30:31], v[12:13], 3, s[8:9]
	v_subrev_nc_u32_e32 v12, 22, v10
	s_delay_alu instid0(VALU_DEP_1) | instskip(SKIP_1) | instid1(VALU_DEP_1)
	v_lshl_add_u64 v[34:35], v[12:13], 3, s[8:9]
	v_subrev_nc_u32_e32 v12, 20, v10
	v_lshl_add_u64 v[38:39], v[12:13], 3, s[8:9]
	v_subrev_nc_u32_e32 v12, 18, v10
	s_delay_alu instid0(VALU_DEP_1) | instskip(SKIP_1) | instid1(VALU_DEP_1)
	v_lshl_add_u64 v[42:43], v[12:13], 3, s[8:9]
	v_add_nc_u32_e32 v12, -16, v10
	v_lshl_add_u64 v[46:47], v[12:13], 3, s[8:9]
	v_add_nc_u32_e32 v12, -14, v10
	s_delay_alu instid0(VALU_DEP_1) | instskip(SKIP_1) | instid1(VALU_DEP_1)
	v_lshl_add_u64 v[50:51], v[12:13], 3, s[8:9]
	v_add_nc_u32_e32 v12, -12, v10
	v_lshl_add_u64 v[54:55], v[12:13], 3, s[8:9]
	v_add_nc_u32_e32 v12, -10, v10
	;; [unrolled: 5-line block ×3, first 2 shown]
	s_wait_loadcnt 0x0
	v_subrev_nc_u32_e32 v11, s12, v11
	s_delay_alu instid0(VALU_DEP_1)
	v_mul_lo_u32 v17, v11, 15
	global_load_b128 v[18:21], v[22:23], off
	global_load_b64 v[62:63], v17, s[10:11] scale_offset
	v_add_nc_u32_e32 v11, 1, v17
	global_load_b128 v[22:25], v[26:27], off
	global_load_b64 v[64:65], v11, s[10:11] scale_offset
	s_wait_xcnt 0x0
	v_add_nc_u32_e32 v11, 2, v17
	global_load_b128 v[26:29], v[30:31], off
	global_load_b64 v[66:67], v11, s[10:11] scale_offset
	s_wait_xcnt 0x0
	;; [unrolled: 4-line block ×6, first 2 shown]
	v_add_nc_u32_e32 v11, 7, v17
	s_wait_loadcnt 0xc
	v_fmac_f64_e32 v[0:1], v[18:19], v[62:63]
	v_fmac_f64_e32 v[8:9], v[20:21], v[62:63]
	v_lshl_add_u64 v[62:63], v[12:13], 3, s[8:9]
	v_add_nc_u32_e32 v12, -4, v10
	global_load_b128 v[46:49], v[50:51], off
	global_load_b64 v[76:77], v11, s[10:11] scale_offset
	s_wait_xcnt 0x0
	v_add_nc_u32_e32 v11, 8, v17
	global_load_b128 v[50:53], v[54:55], off
	global_load_b64 v[78:79], v11, s[10:11] scale_offset
	s_wait_xcnt 0x0
	v_add_nc_u32_e32 v11, 9, v17
	;; [unrolled: 4-line block ×4, first 2 shown]
	global_load_b128 v[18:21], v[62:63], off
	global_load_b64 v[82:83], v11, s[10:11] scale_offset
	s_wait_xcnt 0x1
	v_lshl_add_u64 v[62:63], v[12:13], 3, s[8:9]
	s_wait_xcnt 0x0
	v_dual_add_nc_u32 v11, 12, v17 :: v_dual_add_nc_u32 v12, -2, v10
	s_wait_loadcnt 0x14
	v_fmac_f64_e32 v[0:1], v[22:23], v[64:65]
	v_fmac_f64_e32 v[8:9], v[24:25], v[64:65]
	global_load_b128 v[22:25], v[62:63], off
	global_load_b64 v[64:65], v11, s[10:11] scale_offset
	s_wait_xcnt 0x1
	v_lshl_add_u64 v[62:63], v[12:13], 3, s[8:9]
	s_wait_xcnt 0x0
	v_add_nc_u32_e32 v11, 13, v17
	s_wait_loadcnt 0x14
	v_fmac_f64_e32 v[0:1], v[26:27], v[66:67]
	v_fmac_f64_e32 v[8:9], v[28:29], v[66:67]
	global_load_b128 v[26:29], v[62:63], off
	global_load_b64 v[66:67], v11, s[10:11] scale_offset
	s_wait_xcnt 0x0
	v_mov_b32_e32 v11, v13
	s_delay_alu instid0(VALU_DEP_1)
	v_lshl_add_u64 v[62:63], v[10:11], 3, s[8:9]
	v_add_nc_u32_e32 v11, 14, v17
	v_add_nc_u32_e32 v10, 0x3c0, v10
	s_wait_loadcnt 0x14
	v_fmac_f64_e32 v[0:1], v[30:31], v[68:69]
	v_fmac_f64_e32 v[8:9], v[32:33], v[68:69]
	global_load_b128 v[30:33], v[62:63], off
	global_load_b64 v[68:69], v11, s[10:11] scale_offset
	s_wait_loadcnt 0x14
	v_fmac_f64_e32 v[0:1], v[34:35], v[70:71]
	v_fmac_f64_e32 v[8:9], v[36:37], v[70:71]
	s_wait_loadcnt 0x12
	s_delay_alu instid0(VALU_DEP_2) | instskip(NEXT) | instid1(VALU_DEP_2)
	v_fmac_f64_e32 v[0:1], v[38:39], v[72:73]
	v_fmac_f64_e32 v[8:9], v[40:41], v[72:73]
	s_wait_loadcnt 0x10
	s_delay_alu instid0(VALU_DEP_2) | instskip(NEXT) | instid1(VALU_DEP_2)
	;; [unrolled: 4-line block ×10, first 2 shown]
	v_fmac_f64_e32 v[0:1], v[30:31], v[68:69]
	v_fmac_f64_e32 v[8:9], v[32:33], v[68:69]
	s_and_not1_b32 exec_lo, exec_lo, s4
	s_cbranch_execnz .LBB144_9
; %bb.10:
	s_or_b32 exec_lo, exec_lo, s4
.LBB144_11:
	s_delay_alu instid0(SALU_CYCLE_1)
	s_or_b32 exec_lo, exec_lo, s3
	s_cbranch_execz .LBB144_13
	s_branch .LBB144_18
.LBB144_12:
                                        ; implicit-def: $vgpr0_vgpr1
                                        ; implicit-def: $vgpr8_vgpr9
.LBB144_13:
	v_mov_b64_e32 v[0:1], 0
	v_mov_b64_e32 v[8:9], 0
	s_and_saveexec_b32 s3, s2
	s_cbranch_execz .LBB144_17
; %bb.14:
	v_mad_u32 v12, v15, 30, 29
	v_mov_b64_e32 v[0:1], 0
	v_mov_b64_e32 v[8:9], 0
	v_mov_b32_e32 v11, 0
	s_mov_b32 s2, 0
.LBB144_15:                             ; =>This Inner Loop Header: Depth=1
	global_load_b32 v13, v15, s[6:7] scale_offset
	v_subrev_nc_u32_e32 v10, 29, v12
	s_wait_xcnt 0x0
	v_dual_add_nc_u32 v26, -14, v12 :: v_dual_add_nc_u32 v15, 32, v15
	v_dual_add_nc_u32 v34, -12, v12 :: v_dual_add_nc_u32 v40, -11, v12
	s_delay_alu instid0(VALU_DEP_3)
	v_lshl_add_u64 v[20:21], v[10:11], 3, s[8:9]
	v_dual_add_nc_u32 v10, -13, v12 :: v_dual_add_nc_u32 v46, -10, v12
	v_dual_add_nc_u32 v52, -9, v12 :: v_dual_add_nc_u32 v58, -8, v12
	;; [unrolled: 1-line block ×4, first 2 shown]
	v_cmp_ge_i32_e32 vcc_lo, v15, v14
	v_add_nc_u32_e32 v82, -2, v12
	s_or_b32 s2, vcc_lo, s2
	s_wait_loadcnt 0x0
	v_subrev_nc_u32_e32 v13, s12, v13
	s_delay_alu instid0(VALU_DEP_1)
	v_mul_lo_u32 v13, v13, 15
	s_clause 0x1
	global_load_b128 v[16:19], v[20:21], off
	global_load_b64 v[22:23], v26, s[8:9] scale_offset
	global_load_b64 v[24:25], v13, s[10:11] scale_offset
	v_add_nc_u32_e32 v28, 1, v13
	global_load_b64 v[20:21], v10, s[8:9] scale_offset
	global_load_b64 v[26:27], v28, s[10:11] scale_offset
	s_wait_xcnt 0x1
	v_subrev_nc_u32_e32 v10, 27, v12
	v_add_nc_u32_e32 v35, 2, v13
	s_clause 0x1
	global_load_b64 v[28:29], v10, s[8:9] scale_offset
	global_load_b64 v[30:31], v34, s[8:9] scale_offset
	global_load_b64 v[32:33], v35, s[10:11] scale_offset
	s_wait_xcnt 0x2
	v_subrev_nc_u32_e32 v10, 26, v12
	v_add_nc_u32_e32 v41, 3, v13
	s_clause 0x1
	global_load_b64 v[34:35], v10, s[8:9] scale_offset
	;; [unrolled: 7-line block ×8, first 2 shown]
	global_load_b64 v[72:73], v76, s[8:9] scale_offset
	global_load_b64 v[74:75], v77, s[10:11] scale_offset
	s_wait_xcnt 0x2
	v_subrev_nc_u32_e32 v10, 19, v12
	s_clause 0x1
	global_load_b64 v[76:77], v10, s[8:9] scale_offset
	global_load_b64 v[78:79], v80, s[8:9] scale_offset
	s_wait_xcnt 0x1
	v_dual_add_nc_u32 v10, 10, v13 :: v_dual_add_nc_u32 v83, 12, v13
	s_wait_loadcnt 0x1c
	v_fmac_f64_e32 v[0:1], v[16:17], v[24:25]
	v_fmac_f64_e32 v[8:9], v[22:23], v[24:25]
	v_add_nc_u32_e32 v24, -3, v12
	global_load_b64 v[80:81], v10, s[10:11] scale_offset
	s_wait_xcnt 0x0
	v_subrev_nc_u32_e32 v10, 18, v12
	v_add_nc_u32_e32 v25, 11, v13
	global_load_b64 v[16:17], v10, s[8:9] scale_offset
	s_wait_xcnt 0x0
	v_subrev_nc_u32_e32 v10, 17, v12
	s_wait_loadcnt 0x1c
	v_fmac_f64_e32 v[0:1], v[18:19], v[26:27]
	global_load_b64 v[18:19], v24, s[8:9] scale_offset
	global_load_b64 v[22:23], v25, s[10:11] scale_offset
	v_fmac_f64_e32 v[8:9], v[20:21], v[26:27]
	s_clause 0x1
	global_load_b64 v[20:21], v10, s[8:9] scale_offset
	global_load_b64 v[24:25], v82, s[8:9] scale_offset
	global_load_b64 v[26:27], v83, s[10:11] scale_offset
	s_wait_xcnt 0x1
	v_dual_add_nc_u32 v10, -16, v12 :: v_dual_add_nc_u32 v82, -1, v12
	s_wait_xcnt 0x0
	v_dual_add_nc_u32 v83, 13, v13 :: v_dual_add_nc_u32 v13, 14, v13
	s_wait_loadcnt 0x1e
	v_fmac_f64_e32 v[0:1], v[28:29], v[32:33]
	v_fmac_f64_e32 v[8:9], v[30:31], v[32:33]
	s_clause 0x1
	global_load_b64 v[28:29], v10, s[8:9] scale_offset
	global_load_b64 v[30:31], v82, s[8:9] scale_offset
	;; [unrolled: 1-line block ×3, first 2 shown]
	s_wait_xcnt 0x2
	v_add_nc_u32_e32 v10, -15, v12
	s_wait_loadcnt 0x1e
	v_fmac_f64_e32 v[0:1], v[34:35], v[38:39]
	v_fmac_f64_e32 v[8:9], v[36:37], v[38:39]
	s_clause 0x1
	global_load_b64 v[34:35], v12, s[8:9] scale_offset
	global_load_b64 v[36:37], v10, s[8:9] scale_offset
	;; [unrolled: 1-line block ×3, first 2 shown]
	s_wait_xcnt 0x2
	v_add_nc_u32_e32 v12, 0x3c0, v12
	s_wait_loadcnt 0x1e
	v_fmac_f64_e32 v[0:1], v[40:41], v[44:45]
	v_fmac_f64_e32 v[8:9], v[42:43], v[44:45]
	s_wait_loadcnt 0x1b
	s_delay_alu instid0(VALU_DEP_2) | instskip(NEXT) | instid1(VALU_DEP_2)
	v_fmac_f64_e32 v[0:1], v[46:47], v[50:51]
	v_fmac_f64_e32 v[8:9], v[48:49], v[50:51]
	s_wait_loadcnt 0x18
	s_delay_alu instid0(VALU_DEP_2) | instskip(NEXT) | instid1(VALU_DEP_2)
	;; [unrolled: 4-line block ×10, first 2 shown]
	v_fmac_f64_e32 v[0:1], v[36:37], v[38:39]
	v_fmac_f64_e32 v[8:9], v[34:35], v[38:39]
	s_and_not1_b32 exec_lo, exec_lo, s2
	s_cbranch_execnz .LBB144_15
; %bb.16:
	s_or_b32 exec_lo, exec_lo, s2
.LBB144_17:
	s_delay_alu instid0(SALU_CYCLE_1)
	s_or_b32 exec_lo, exec_lo, s3
.LBB144_18:
	v_mbcnt_lo_u32_b32 v14, -1, 0
	s_delay_alu instid0(VALU_DEP_1) | instskip(NEXT) | instid1(VALU_DEP_1)
	v_xor_b32_e32 v10, 16, v14
	v_cmp_gt_i32_e32 vcc_lo, 32, v10
	v_cndmask_b32_e32 v10, v14, v10, vcc_lo
	s_delay_alu instid0(VALU_DEP_1)
	v_lshlrev_b32_e32 v13, 2, v10
	ds_bpermute_b32 v10, v13, v0
	ds_bpermute_b32 v11, v13, v1
	s_wait_dscnt 0x0
	v_add_f64_e32 v[0:1], v[0:1], v[10:11]
	v_xor_b32_e32 v10, 8, v14
	s_delay_alu instid0(VALU_DEP_1)
	v_cmp_gt_i32_e32 vcc_lo, 32, v10
	v_cndmask_b32_e32 v10, v14, v10, vcc_lo
	ds_bpermute_b32 v12, v13, v8
	ds_bpermute_b32 v13, v13, v9
	s_wait_dscnt 0x0
	v_dual_add_f64 v[8:9], v[8:9], v[12:13] :: v_dual_lshlrev_b32 v13, 2, v10
	ds_bpermute_b32 v10, v13, v0
	ds_bpermute_b32 v11, v13, v1
	s_wait_dscnt 0x0
	v_add_f64_e32 v[0:1], v[0:1], v[10:11]
	v_xor_b32_e32 v10, 4, v14
	s_delay_alu instid0(VALU_DEP_1)
	v_cmp_gt_i32_e32 vcc_lo, 32, v10
	v_cndmask_b32_e32 v10, v14, v10, vcc_lo
	ds_bpermute_b32 v12, v13, v8
	ds_bpermute_b32 v13, v13, v9
	s_wait_dscnt 0x0
	v_dual_add_f64 v[8:9], v[8:9], v[12:13] :: v_dual_lshlrev_b32 v13, 2, v10
	;; [unrolled: 12-line block ×3, first 2 shown]
	ds_bpermute_b32 v10, v13, v0
	ds_bpermute_b32 v11, v13, v1
	s_wait_dscnt 0x0
	v_add_f64_e32 v[0:1], v[0:1], v[10:11]
	ds_bpermute_b32 v12, v13, v8
	ds_bpermute_b32 v13, v13, v9
	s_wait_dscnt 0x0
	v_dual_add_f64 v[10:11], v[8:9], v[12:13] :: v_dual_bitop2_b32 v8, 1, v14 bitop3:0x14
	s_delay_alu instid0(VALU_DEP_1) | instskip(SKIP_2) | instid1(VALU_DEP_2)
	v_cmp_gt_i32_e32 vcc_lo, 32, v8
	v_cndmask_b32_e32 v8, v14, v8, vcc_lo
	v_cmp_eq_u32_e32 vcc_lo, 31, v7
	v_lshlrev_b32_e32 v13, 2, v8
	ds_bpermute_b32 v8, v13, v0
	ds_bpermute_b32 v9, v13, v1
	;; [unrolled: 1-line block ×4, first 2 shown]
	s_and_b32 exec_lo, exec_lo, vcc_lo
	s_cbranch_execz .LBB144_23
; %bb.19:
	s_wait_dscnt 0x2
	v_add_f64_e32 v[8:9], v[0:1], v[8:9]
	s_wait_dscnt 0x0
	v_add_f64_e32 v[0:1], v[10:11], v[12:13]
	s_load_b64 s[0:1], s[0:1], 0x38
	s_mov_b32 s2, exec_lo
	v_cmpx_eq_f64_e32 0, v[4:5]
	s_xor_b32 s2, exec_lo, s2
	s_cbranch_execz .LBB144_21
; %bb.20:
	s_delay_alu instid0(VALU_DEP_3) | instskip(NEXT) | instid1(VALU_DEP_3)
	v_mul_f64_e32 v[8:9], v[2:3], v[8:9]
	v_dual_mul_f64 v[10:11], v[2:3], v[0:1] :: v_dual_lshlrev_b32 v0, 1, v6
                                        ; implicit-def: $vgpr6
                                        ; implicit-def: $vgpr2_vgpr3
                                        ; implicit-def: $vgpr4_vgpr5
	s_delay_alu instid0(VALU_DEP_1) | instskip(SKIP_1) | instid1(VALU_DEP_1)
	v_ashrrev_i32_e32 v1, 31, v0
	s_wait_kmcnt 0x0
	v_lshl_add_u64 v[0:1], v[0:1], 3, s[0:1]
	global_store_b128 v[0:1], v[8:11], off
                                        ; implicit-def: $vgpr8_vgpr9
                                        ; implicit-def: $vgpr0_vgpr1
.LBB144_21:
	s_wait_xcnt 0x0
	s_and_not1_saveexec_b32 s2, s2
	s_cbranch_execz .LBB144_23
; %bb.22:
	v_lshlrev_b32_e32 v6, 1, v6
	s_delay_alu instid0(VALU_DEP_1) | instskip(SKIP_1) | instid1(VALU_DEP_1)
	v_ashrrev_i32_e32 v7, 31, v6
	s_wait_kmcnt 0x0
	v_lshl_add_u64 v[14:15], v[6:7], 3, s[0:1]
	v_mul_f64_e32 v[6:7], v[2:3], v[8:9]
	v_mul_f64_e32 v[8:9], v[2:3], v[0:1]
	global_load_b128 v[10:13], v[14:15], off
	s_wait_loadcnt 0x0
	v_fmac_f64_e32 v[6:7], v[4:5], v[10:11]
	v_fmac_f64_e32 v[8:9], v[4:5], v[12:13]
	global_store_b128 v[14:15], v[6:9], off
.LBB144_23:
	s_sendmsg sendmsg(MSG_DEALLOC_VGPRS)
	s_endpgm
	.section	.rodata,"a",@progbits
	.p2align	6, 0x0
	.amdhsa_kernel _ZN9rocsparseL19gebsrmvn_2xn_kernelILj128ELj15ELj32EdEEvi20rocsparse_direction_NS_24const_host_device_scalarIT2_EEPKiS6_PKS3_S8_S4_PS3_21rocsparse_index_base_b
		.amdhsa_group_segment_fixed_size 0
		.amdhsa_private_segment_fixed_size 0
		.amdhsa_kernarg_size 72
		.amdhsa_user_sgpr_count 2
		.amdhsa_user_sgpr_dispatch_ptr 0
		.amdhsa_user_sgpr_queue_ptr 0
		.amdhsa_user_sgpr_kernarg_segment_ptr 1
		.amdhsa_user_sgpr_dispatch_id 0
		.amdhsa_user_sgpr_kernarg_preload_length 0
		.amdhsa_user_sgpr_kernarg_preload_offset 0
		.amdhsa_user_sgpr_private_segment_size 0
		.amdhsa_wavefront_size32 1
		.amdhsa_uses_dynamic_stack 0
		.amdhsa_enable_private_segment 0
		.amdhsa_system_sgpr_workgroup_id_x 1
		.amdhsa_system_sgpr_workgroup_id_y 0
		.amdhsa_system_sgpr_workgroup_id_z 0
		.amdhsa_system_sgpr_workgroup_info 0
		.amdhsa_system_vgpr_workitem_id 0
		.amdhsa_next_free_vgpr 86
		.amdhsa_next_free_sgpr 14
		.amdhsa_named_barrier_count 0
		.amdhsa_reserve_vcc 1
		.amdhsa_float_round_mode_32 0
		.amdhsa_float_round_mode_16_64 0
		.amdhsa_float_denorm_mode_32 3
		.amdhsa_float_denorm_mode_16_64 3
		.amdhsa_fp16_overflow 0
		.amdhsa_memory_ordered 1
		.amdhsa_forward_progress 1
		.amdhsa_inst_pref_size 25
		.amdhsa_round_robin_scheduling 0
		.amdhsa_exception_fp_ieee_invalid_op 0
		.amdhsa_exception_fp_denorm_src 0
		.amdhsa_exception_fp_ieee_div_zero 0
		.amdhsa_exception_fp_ieee_overflow 0
		.amdhsa_exception_fp_ieee_underflow 0
		.amdhsa_exception_fp_ieee_inexact 0
		.amdhsa_exception_int_div_zero 0
	.end_amdhsa_kernel
	.section	.text._ZN9rocsparseL19gebsrmvn_2xn_kernelILj128ELj15ELj32EdEEvi20rocsparse_direction_NS_24const_host_device_scalarIT2_EEPKiS6_PKS3_S8_S4_PS3_21rocsparse_index_base_b,"axG",@progbits,_ZN9rocsparseL19gebsrmvn_2xn_kernelILj128ELj15ELj32EdEEvi20rocsparse_direction_NS_24const_host_device_scalarIT2_EEPKiS6_PKS3_S8_S4_PS3_21rocsparse_index_base_b,comdat
.Lfunc_end144:
	.size	_ZN9rocsparseL19gebsrmvn_2xn_kernelILj128ELj15ELj32EdEEvi20rocsparse_direction_NS_24const_host_device_scalarIT2_EEPKiS6_PKS3_S8_S4_PS3_21rocsparse_index_base_b, .Lfunc_end144-_ZN9rocsparseL19gebsrmvn_2xn_kernelILj128ELj15ELj32EdEEvi20rocsparse_direction_NS_24const_host_device_scalarIT2_EEPKiS6_PKS3_S8_S4_PS3_21rocsparse_index_base_b
                                        ; -- End function
	.set _ZN9rocsparseL19gebsrmvn_2xn_kernelILj128ELj15ELj32EdEEvi20rocsparse_direction_NS_24const_host_device_scalarIT2_EEPKiS6_PKS3_S8_S4_PS3_21rocsparse_index_base_b.num_vgpr, 86
	.set _ZN9rocsparseL19gebsrmvn_2xn_kernelILj128ELj15ELj32EdEEvi20rocsparse_direction_NS_24const_host_device_scalarIT2_EEPKiS6_PKS3_S8_S4_PS3_21rocsparse_index_base_b.num_agpr, 0
	.set _ZN9rocsparseL19gebsrmvn_2xn_kernelILj128ELj15ELj32EdEEvi20rocsparse_direction_NS_24const_host_device_scalarIT2_EEPKiS6_PKS3_S8_S4_PS3_21rocsparse_index_base_b.numbered_sgpr, 14
	.set _ZN9rocsparseL19gebsrmvn_2xn_kernelILj128ELj15ELj32EdEEvi20rocsparse_direction_NS_24const_host_device_scalarIT2_EEPKiS6_PKS3_S8_S4_PS3_21rocsparse_index_base_b.num_named_barrier, 0
	.set _ZN9rocsparseL19gebsrmvn_2xn_kernelILj128ELj15ELj32EdEEvi20rocsparse_direction_NS_24const_host_device_scalarIT2_EEPKiS6_PKS3_S8_S4_PS3_21rocsparse_index_base_b.private_seg_size, 0
	.set _ZN9rocsparseL19gebsrmvn_2xn_kernelILj128ELj15ELj32EdEEvi20rocsparse_direction_NS_24const_host_device_scalarIT2_EEPKiS6_PKS3_S8_S4_PS3_21rocsparse_index_base_b.uses_vcc, 1
	.set _ZN9rocsparseL19gebsrmvn_2xn_kernelILj128ELj15ELj32EdEEvi20rocsparse_direction_NS_24const_host_device_scalarIT2_EEPKiS6_PKS3_S8_S4_PS3_21rocsparse_index_base_b.uses_flat_scratch, 0
	.set _ZN9rocsparseL19gebsrmvn_2xn_kernelILj128ELj15ELj32EdEEvi20rocsparse_direction_NS_24const_host_device_scalarIT2_EEPKiS6_PKS3_S8_S4_PS3_21rocsparse_index_base_b.has_dyn_sized_stack, 0
	.set _ZN9rocsparseL19gebsrmvn_2xn_kernelILj128ELj15ELj32EdEEvi20rocsparse_direction_NS_24const_host_device_scalarIT2_EEPKiS6_PKS3_S8_S4_PS3_21rocsparse_index_base_b.has_recursion, 0
	.set _ZN9rocsparseL19gebsrmvn_2xn_kernelILj128ELj15ELj32EdEEvi20rocsparse_direction_NS_24const_host_device_scalarIT2_EEPKiS6_PKS3_S8_S4_PS3_21rocsparse_index_base_b.has_indirect_call, 0
	.section	.AMDGPU.csdata,"",@progbits
; Kernel info:
; codeLenInByte = 3076
; TotalNumSgprs: 16
; NumVgprs: 86
; ScratchSize: 0
; MemoryBound: 0
; FloatMode: 240
; IeeeMode: 1
; LDSByteSize: 0 bytes/workgroup (compile time only)
; SGPRBlocks: 0
; VGPRBlocks: 5
; NumSGPRsForWavesPerEU: 16
; NumVGPRsForWavesPerEU: 86
; NamedBarCnt: 0
; Occupancy: 10
; WaveLimiterHint : 1
; COMPUTE_PGM_RSRC2:SCRATCH_EN: 0
; COMPUTE_PGM_RSRC2:USER_SGPR: 2
; COMPUTE_PGM_RSRC2:TRAP_HANDLER: 0
; COMPUTE_PGM_RSRC2:TGID_X_EN: 1
; COMPUTE_PGM_RSRC2:TGID_Y_EN: 0
; COMPUTE_PGM_RSRC2:TGID_Z_EN: 0
; COMPUTE_PGM_RSRC2:TIDIG_COMP_CNT: 0
	.section	.text._ZN9rocsparseL19gebsrmvn_2xn_kernelILj128ELj15ELj64EdEEvi20rocsparse_direction_NS_24const_host_device_scalarIT2_EEPKiS6_PKS3_S8_S4_PS3_21rocsparse_index_base_b,"axG",@progbits,_ZN9rocsparseL19gebsrmvn_2xn_kernelILj128ELj15ELj64EdEEvi20rocsparse_direction_NS_24const_host_device_scalarIT2_EEPKiS6_PKS3_S8_S4_PS3_21rocsparse_index_base_b,comdat
	.globl	_ZN9rocsparseL19gebsrmvn_2xn_kernelILj128ELj15ELj64EdEEvi20rocsparse_direction_NS_24const_host_device_scalarIT2_EEPKiS6_PKS3_S8_S4_PS3_21rocsparse_index_base_b ; -- Begin function _ZN9rocsparseL19gebsrmvn_2xn_kernelILj128ELj15ELj64EdEEvi20rocsparse_direction_NS_24const_host_device_scalarIT2_EEPKiS6_PKS3_S8_S4_PS3_21rocsparse_index_base_b
	.p2align	8
	.type	_ZN9rocsparseL19gebsrmvn_2xn_kernelILj128ELj15ELj64EdEEvi20rocsparse_direction_NS_24const_host_device_scalarIT2_EEPKiS6_PKS3_S8_S4_PS3_21rocsparse_index_base_b,@function
_ZN9rocsparseL19gebsrmvn_2xn_kernelILj128ELj15ELj64EdEEvi20rocsparse_direction_NS_24const_host_device_scalarIT2_EEPKiS6_PKS3_S8_S4_PS3_21rocsparse_index_base_b: ; @_ZN9rocsparseL19gebsrmvn_2xn_kernelILj128ELj15ELj64EdEEvi20rocsparse_direction_NS_24const_host_device_scalarIT2_EEPKiS6_PKS3_S8_S4_PS3_21rocsparse_index_base_b
; %bb.0:
	s_clause 0x2
	s_load_b64 s[12:13], s[0:1], 0x40
	s_load_b64 s[4:5], s[0:1], 0x8
	;; [unrolled: 1-line block ×3, first 2 shown]
	s_wait_kmcnt 0x0
	s_bitcmp1_b32 s13, 0
	v_mov_b64_e32 v[2:3], s[4:5]
	s_cselect_b32 s6, -1, 0
	s_delay_alu instid0(SALU_CYCLE_1)
	s_and_b32 vcc_lo, exec_lo, s6
	s_xor_b32 s6, s6, -1
	s_cbranch_vccnz .LBB145_2
; %bb.1:
	v_mov_b32_e32 v1, 0
	flat_load_b64 v[2:3], v1, s[4:5]
.LBB145_2:
	v_mov_b64_e32 v[4:5], s[2:3]
	s_and_not1_b32 vcc_lo, exec_lo, s6
	s_cbranch_vccnz .LBB145_4
; %bb.3:
	s_wait_xcnt 0x0
	v_mov_b32_e32 v1, 0
	flat_load_b64 v[4:5], v1, s[2:3]
.LBB145_4:
	s_wait_loadcnt_dscnt 0x0
	v_cmp_neq_f64_e32 vcc_lo, 0, v[2:3]
	s_delay_alu instid0(VALU_DEP_2) | instskip(SKIP_1) | instid1(SALU_CYCLE_1)
	v_cmp_neq_f64_e64 s2, 1.0, v[4:5]
	s_or_b32 s2, vcc_lo, s2
	s_and_saveexec_b32 s3, s2
	s_cbranch_execz .LBB145_23
; %bb.5:
	s_load_b64 s[2:3], s[0:1], 0x0
	s_bfe_u32 s4, ttmp6, 0x4000c
	s_and_b32 s5, ttmp6, 15
	s_add_co_i32 s4, s4, 1
	s_getreg_b32 s6, hwreg(HW_REG_IB_STS2, 6, 4)
	s_mul_i32 s4, ttmp9, s4
	v_lshrrev_b32_e32 v1, 6, v0
	s_add_co_i32 s5, s5, s4
	s_cmp_eq_u32 s6, 0
	s_cselect_b32 s4, ttmp9, s5
	s_delay_alu instid0(VALU_DEP_1) | instid1(SALU_CYCLE_1)
	v_lshl_or_b32 v6, s4, 1, v1
	s_wait_kmcnt 0x0
	s_delay_alu instid0(VALU_DEP_1)
	v_cmp_gt_i32_e32 vcc_lo, s2, v6
	s_and_b32 exec_lo, exec_lo, vcc_lo
	s_cbranch_execz .LBB145_23
; %bb.6:
	s_load_b256 s[4:11], s[0:1], 0x10
	v_ashrrev_i32_e32 v7, 31, v6
	s_cmp_lg_u32 s3, 0
	s_wait_kmcnt 0x0
	s_delay_alu instid0(VALU_DEP_1)
	v_lshl_add_u64 v[8:9], v[6:7], 2, s[4:5]
	v_and_b32_e32 v7, 63, v0
	global_load_b64 v[8:9], v[8:9], off
	s_wait_loadcnt 0x0
	v_subrev_nc_u32_e32 v0, s12, v8
	v_subrev_nc_u32_e32 v14, s12, v9
	s_delay_alu instid0(VALU_DEP_2) | instskip(NEXT) | instid1(VALU_DEP_1)
	v_add_nc_u32_e32 v15, v0, v7
	v_cmp_lt_i32_e64 s2, v15, v14
	s_cbranch_scc0 .LBB145_12
; %bb.7:
	v_mov_b64_e32 v[0:1], 0
	v_mov_b64_e32 v[8:9], 0
	s_and_saveexec_b32 s3, s2
	s_cbranch_execz .LBB145_11
; %bb.8:
	v_mad_u32 v10, v15, 30, 28
	v_mov_b64_e32 v[0:1], 0
	v_mov_b64_e32 v[8:9], 0
	v_dual_mov_b32 v13, 0 :: v_dual_mov_b32 v16, v15
	s_mov_b32 s4, 0
.LBB145_9:                              ; =>This Inner Loop Header: Depth=1
	global_load_b32 v11, v16, s[6:7] scale_offset
	v_subrev_nc_u32_e32 v12, 28, v10
	s_wait_xcnt 0x0
	v_add_nc_u32_e32 v16, 64, v16
	s_delay_alu instid0(VALU_DEP_2) | instskip(SKIP_1) | instid1(VALU_DEP_3)
	v_lshl_add_u64 v[22:23], v[12:13], 3, s[8:9]
	v_subrev_nc_u32_e32 v12, 26, v10
	v_cmp_ge_i32_e32 vcc_lo, v16, v14
	s_delay_alu instid0(VALU_DEP_2) | instskip(SKIP_2) | instid1(VALU_DEP_1)
	v_lshl_add_u64 v[26:27], v[12:13], 3, s[8:9]
	v_subrev_nc_u32_e32 v12, 24, v10
	s_or_b32 s4, vcc_lo, s4
	v_lshl_add_u64 v[30:31], v[12:13], 3, s[8:9]
	v_subrev_nc_u32_e32 v12, 22, v10
	s_delay_alu instid0(VALU_DEP_1) | instskip(SKIP_1) | instid1(VALU_DEP_1)
	v_lshl_add_u64 v[34:35], v[12:13], 3, s[8:9]
	v_subrev_nc_u32_e32 v12, 20, v10
	v_lshl_add_u64 v[38:39], v[12:13], 3, s[8:9]
	v_subrev_nc_u32_e32 v12, 18, v10
	s_delay_alu instid0(VALU_DEP_1) | instskip(SKIP_1) | instid1(VALU_DEP_1)
	v_lshl_add_u64 v[42:43], v[12:13], 3, s[8:9]
	v_add_nc_u32_e32 v12, -16, v10
	v_lshl_add_u64 v[46:47], v[12:13], 3, s[8:9]
	v_add_nc_u32_e32 v12, -14, v10
	s_delay_alu instid0(VALU_DEP_1) | instskip(SKIP_1) | instid1(VALU_DEP_1)
	v_lshl_add_u64 v[50:51], v[12:13], 3, s[8:9]
	v_add_nc_u32_e32 v12, -12, v10
	v_lshl_add_u64 v[54:55], v[12:13], 3, s[8:9]
	v_add_nc_u32_e32 v12, -10, v10
	;; [unrolled: 5-line block ×3, first 2 shown]
	s_wait_loadcnt 0x0
	v_subrev_nc_u32_e32 v11, s12, v11
	s_delay_alu instid0(VALU_DEP_1)
	v_mul_lo_u32 v17, v11, 15
	global_load_b128 v[18:21], v[22:23], off
	global_load_b64 v[62:63], v17, s[10:11] scale_offset
	v_add_nc_u32_e32 v11, 1, v17
	global_load_b128 v[22:25], v[26:27], off
	global_load_b64 v[64:65], v11, s[10:11] scale_offset
	s_wait_xcnt 0x0
	v_add_nc_u32_e32 v11, 2, v17
	global_load_b128 v[26:29], v[30:31], off
	global_load_b64 v[66:67], v11, s[10:11] scale_offset
	s_wait_xcnt 0x0
	;; [unrolled: 4-line block ×6, first 2 shown]
	v_add_nc_u32_e32 v11, 7, v17
	s_wait_loadcnt 0xc
	v_fmac_f64_e32 v[0:1], v[18:19], v[62:63]
	v_fmac_f64_e32 v[8:9], v[20:21], v[62:63]
	v_lshl_add_u64 v[62:63], v[12:13], 3, s[8:9]
	v_add_nc_u32_e32 v12, -4, v10
	global_load_b128 v[46:49], v[50:51], off
	global_load_b64 v[76:77], v11, s[10:11] scale_offset
	s_wait_xcnt 0x0
	v_add_nc_u32_e32 v11, 8, v17
	global_load_b128 v[50:53], v[54:55], off
	global_load_b64 v[78:79], v11, s[10:11] scale_offset
	s_wait_xcnt 0x0
	v_add_nc_u32_e32 v11, 9, v17
	;; [unrolled: 4-line block ×4, first 2 shown]
	global_load_b128 v[18:21], v[62:63], off
	global_load_b64 v[82:83], v11, s[10:11] scale_offset
	s_wait_xcnt 0x1
	v_lshl_add_u64 v[62:63], v[12:13], 3, s[8:9]
	s_wait_xcnt 0x0
	v_dual_add_nc_u32 v11, 12, v17 :: v_dual_add_nc_u32 v12, -2, v10
	s_wait_loadcnt 0x14
	v_fmac_f64_e32 v[0:1], v[22:23], v[64:65]
	v_fmac_f64_e32 v[8:9], v[24:25], v[64:65]
	global_load_b128 v[22:25], v[62:63], off
	global_load_b64 v[64:65], v11, s[10:11] scale_offset
	s_wait_xcnt 0x1
	v_lshl_add_u64 v[62:63], v[12:13], 3, s[8:9]
	s_wait_xcnt 0x0
	v_add_nc_u32_e32 v11, 13, v17
	s_wait_loadcnt 0x14
	v_fmac_f64_e32 v[0:1], v[26:27], v[66:67]
	v_fmac_f64_e32 v[8:9], v[28:29], v[66:67]
	global_load_b128 v[26:29], v[62:63], off
	global_load_b64 v[66:67], v11, s[10:11] scale_offset
	s_wait_xcnt 0x0
	v_mov_b32_e32 v11, v13
	s_delay_alu instid0(VALU_DEP_1)
	v_lshl_add_u64 v[62:63], v[10:11], 3, s[8:9]
	v_add_nc_u32_e32 v11, 14, v17
	v_add_nc_u32_e32 v10, 0x780, v10
	s_wait_loadcnt 0x14
	v_fmac_f64_e32 v[0:1], v[30:31], v[68:69]
	v_fmac_f64_e32 v[8:9], v[32:33], v[68:69]
	global_load_b128 v[30:33], v[62:63], off
	global_load_b64 v[68:69], v11, s[10:11] scale_offset
	s_wait_loadcnt 0x14
	v_fmac_f64_e32 v[0:1], v[34:35], v[70:71]
	v_fmac_f64_e32 v[8:9], v[36:37], v[70:71]
	s_wait_loadcnt 0x12
	s_delay_alu instid0(VALU_DEP_2) | instskip(NEXT) | instid1(VALU_DEP_2)
	v_fmac_f64_e32 v[0:1], v[38:39], v[72:73]
	v_fmac_f64_e32 v[8:9], v[40:41], v[72:73]
	s_wait_loadcnt 0x10
	s_delay_alu instid0(VALU_DEP_2) | instskip(NEXT) | instid1(VALU_DEP_2)
	;; [unrolled: 4-line block ×10, first 2 shown]
	v_fmac_f64_e32 v[0:1], v[30:31], v[68:69]
	v_fmac_f64_e32 v[8:9], v[32:33], v[68:69]
	s_and_not1_b32 exec_lo, exec_lo, s4
	s_cbranch_execnz .LBB145_9
; %bb.10:
	s_or_b32 exec_lo, exec_lo, s4
.LBB145_11:
	s_delay_alu instid0(SALU_CYCLE_1)
	s_or_b32 exec_lo, exec_lo, s3
	s_cbranch_execz .LBB145_13
	s_branch .LBB145_18
.LBB145_12:
                                        ; implicit-def: $vgpr0_vgpr1
                                        ; implicit-def: $vgpr8_vgpr9
.LBB145_13:
	v_mov_b64_e32 v[0:1], 0
	v_mov_b64_e32 v[8:9], 0
	s_and_saveexec_b32 s3, s2
	s_cbranch_execz .LBB145_17
; %bb.14:
	v_mad_u32 v12, v15, 30, 29
	v_mov_b64_e32 v[0:1], 0
	v_mov_b64_e32 v[8:9], 0
	v_mov_b32_e32 v11, 0
	s_mov_b32 s2, 0
.LBB145_15:                             ; =>This Inner Loop Header: Depth=1
	global_load_b32 v13, v15, s[6:7] scale_offset
	v_subrev_nc_u32_e32 v10, 29, v12
	s_wait_xcnt 0x0
	v_dual_add_nc_u32 v26, -14, v12 :: v_dual_add_nc_u32 v15, 64, v15
	v_dual_add_nc_u32 v34, -12, v12 :: v_dual_add_nc_u32 v40, -11, v12
	s_delay_alu instid0(VALU_DEP_3)
	v_lshl_add_u64 v[20:21], v[10:11], 3, s[8:9]
	v_dual_add_nc_u32 v10, -13, v12 :: v_dual_add_nc_u32 v46, -10, v12
	v_dual_add_nc_u32 v52, -9, v12 :: v_dual_add_nc_u32 v58, -8, v12
	;; [unrolled: 1-line block ×4, first 2 shown]
	v_cmp_ge_i32_e32 vcc_lo, v15, v14
	v_add_nc_u32_e32 v82, -2, v12
	s_or_b32 s2, vcc_lo, s2
	s_wait_loadcnt 0x0
	v_subrev_nc_u32_e32 v13, s12, v13
	s_delay_alu instid0(VALU_DEP_1)
	v_mul_lo_u32 v13, v13, 15
	s_clause 0x1
	global_load_b128 v[16:19], v[20:21], off
	global_load_b64 v[22:23], v26, s[8:9] scale_offset
	global_load_b64 v[24:25], v13, s[10:11] scale_offset
	v_add_nc_u32_e32 v28, 1, v13
	global_load_b64 v[20:21], v10, s[8:9] scale_offset
	global_load_b64 v[26:27], v28, s[10:11] scale_offset
	s_wait_xcnt 0x1
	v_subrev_nc_u32_e32 v10, 27, v12
	v_add_nc_u32_e32 v35, 2, v13
	s_clause 0x1
	global_load_b64 v[28:29], v10, s[8:9] scale_offset
	global_load_b64 v[30:31], v34, s[8:9] scale_offset
	global_load_b64 v[32:33], v35, s[10:11] scale_offset
	s_wait_xcnt 0x2
	v_subrev_nc_u32_e32 v10, 26, v12
	v_add_nc_u32_e32 v41, 3, v13
	s_clause 0x1
	global_load_b64 v[34:35], v10, s[8:9] scale_offset
	;; [unrolled: 7-line block ×8, first 2 shown]
	global_load_b64 v[72:73], v76, s[8:9] scale_offset
	global_load_b64 v[74:75], v77, s[10:11] scale_offset
	s_wait_xcnt 0x2
	v_subrev_nc_u32_e32 v10, 19, v12
	s_clause 0x1
	global_load_b64 v[76:77], v10, s[8:9] scale_offset
	global_load_b64 v[78:79], v80, s[8:9] scale_offset
	s_wait_xcnt 0x1
	v_dual_add_nc_u32 v10, 10, v13 :: v_dual_add_nc_u32 v83, 12, v13
	s_wait_loadcnt 0x1c
	v_fmac_f64_e32 v[0:1], v[16:17], v[24:25]
	v_fmac_f64_e32 v[8:9], v[22:23], v[24:25]
	v_add_nc_u32_e32 v24, -3, v12
	global_load_b64 v[80:81], v10, s[10:11] scale_offset
	s_wait_xcnt 0x0
	v_subrev_nc_u32_e32 v10, 18, v12
	v_add_nc_u32_e32 v25, 11, v13
	global_load_b64 v[16:17], v10, s[8:9] scale_offset
	s_wait_xcnt 0x0
	v_subrev_nc_u32_e32 v10, 17, v12
	s_wait_loadcnt 0x1c
	v_fmac_f64_e32 v[0:1], v[18:19], v[26:27]
	global_load_b64 v[18:19], v24, s[8:9] scale_offset
	global_load_b64 v[22:23], v25, s[10:11] scale_offset
	v_fmac_f64_e32 v[8:9], v[20:21], v[26:27]
	s_clause 0x1
	global_load_b64 v[20:21], v10, s[8:9] scale_offset
	global_load_b64 v[24:25], v82, s[8:9] scale_offset
	;; [unrolled: 1-line block ×3, first 2 shown]
	s_wait_xcnt 0x1
	v_dual_add_nc_u32 v10, -16, v12 :: v_dual_add_nc_u32 v82, -1, v12
	s_wait_xcnt 0x0
	v_dual_add_nc_u32 v83, 13, v13 :: v_dual_add_nc_u32 v13, 14, v13
	s_wait_loadcnt 0x1e
	v_fmac_f64_e32 v[0:1], v[28:29], v[32:33]
	v_fmac_f64_e32 v[8:9], v[30:31], v[32:33]
	s_clause 0x1
	global_load_b64 v[28:29], v10, s[8:9] scale_offset
	global_load_b64 v[30:31], v82, s[8:9] scale_offset
	;; [unrolled: 1-line block ×3, first 2 shown]
	s_wait_xcnt 0x2
	v_add_nc_u32_e32 v10, -15, v12
	s_wait_loadcnt 0x1e
	v_fmac_f64_e32 v[0:1], v[34:35], v[38:39]
	v_fmac_f64_e32 v[8:9], v[36:37], v[38:39]
	s_clause 0x1
	global_load_b64 v[34:35], v12, s[8:9] scale_offset
	global_load_b64 v[36:37], v10, s[8:9] scale_offset
	;; [unrolled: 1-line block ×3, first 2 shown]
	s_wait_xcnt 0x2
	v_add_nc_u32_e32 v12, 0x780, v12
	s_wait_loadcnt 0x1e
	v_fmac_f64_e32 v[0:1], v[40:41], v[44:45]
	v_fmac_f64_e32 v[8:9], v[42:43], v[44:45]
	s_wait_loadcnt 0x1b
	s_delay_alu instid0(VALU_DEP_2) | instskip(NEXT) | instid1(VALU_DEP_2)
	v_fmac_f64_e32 v[0:1], v[46:47], v[50:51]
	v_fmac_f64_e32 v[8:9], v[48:49], v[50:51]
	s_wait_loadcnt 0x18
	s_delay_alu instid0(VALU_DEP_2) | instskip(NEXT) | instid1(VALU_DEP_2)
	;; [unrolled: 4-line block ×10, first 2 shown]
	v_fmac_f64_e32 v[0:1], v[36:37], v[38:39]
	v_fmac_f64_e32 v[8:9], v[34:35], v[38:39]
	s_and_not1_b32 exec_lo, exec_lo, s2
	s_cbranch_execnz .LBB145_15
; %bb.16:
	s_or_b32 exec_lo, exec_lo, s2
.LBB145_17:
	s_delay_alu instid0(SALU_CYCLE_1)
	s_or_b32 exec_lo, exec_lo, s3
.LBB145_18:
	v_mbcnt_lo_u32_b32 v14, -1, 0
	s_delay_alu instid0(VALU_DEP_1) | instskip(NEXT) | instid1(VALU_DEP_1)
	v_or_b32_e32 v10, 32, v14
	v_cmp_gt_i32_e32 vcc_lo, 32, v10
	v_cndmask_b32_e32 v10, v14, v10, vcc_lo
	s_delay_alu instid0(VALU_DEP_1)
	v_lshlrev_b32_e32 v13, 2, v10
	ds_bpermute_b32 v10, v13, v0
	ds_bpermute_b32 v11, v13, v1
	s_wait_dscnt 0x0
	v_add_f64_e32 v[0:1], v[0:1], v[10:11]
	v_xor_b32_e32 v10, 16, v14
	s_delay_alu instid0(VALU_DEP_1)
	v_cmp_gt_i32_e32 vcc_lo, 32, v10
	v_cndmask_b32_e32 v10, v14, v10, vcc_lo
	ds_bpermute_b32 v12, v13, v8
	ds_bpermute_b32 v13, v13, v9
	s_wait_dscnt 0x0
	v_dual_add_f64 v[8:9], v[8:9], v[12:13] :: v_dual_lshlrev_b32 v13, 2, v10
	ds_bpermute_b32 v10, v13, v0
	ds_bpermute_b32 v11, v13, v1
	s_wait_dscnt 0x0
	v_add_f64_e32 v[0:1], v[0:1], v[10:11]
	v_xor_b32_e32 v10, 8, v14
	s_delay_alu instid0(VALU_DEP_1)
	v_cmp_gt_i32_e32 vcc_lo, 32, v10
	v_cndmask_b32_e32 v10, v14, v10, vcc_lo
	ds_bpermute_b32 v12, v13, v8
	ds_bpermute_b32 v13, v13, v9
	s_wait_dscnt 0x0
	v_dual_add_f64 v[8:9], v[8:9], v[12:13] :: v_dual_lshlrev_b32 v13, 2, v10
	;; [unrolled: 12-line block ×4, first 2 shown]
	ds_bpermute_b32 v10, v13, v0
	ds_bpermute_b32 v11, v13, v1
	s_wait_dscnt 0x0
	v_add_f64_e32 v[0:1], v[0:1], v[10:11]
	ds_bpermute_b32 v12, v13, v8
	ds_bpermute_b32 v13, v13, v9
	s_wait_dscnt 0x0
	v_dual_add_f64 v[10:11], v[8:9], v[12:13] :: v_dual_bitop2_b32 v8, 1, v14 bitop3:0x14
	s_delay_alu instid0(VALU_DEP_1) | instskip(SKIP_2) | instid1(VALU_DEP_2)
	v_cmp_gt_i32_e32 vcc_lo, 32, v8
	v_cndmask_b32_e32 v8, v14, v8, vcc_lo
	v_cmp_eq_u32_e32 vcc_lo, 63, v7
	v_lshlrev_b32_e32 v13, 2, v8
	ds_bpermute_b32 v8, v13, v0
	ds_bpermute_b32 v9, v13, v1
	;; [unrolled: 1-line block ×4, first 2 shown]
	s_and_b32 exec_lo, exec_lo, vcc_lo
	s_cbranch_execz .LBB145_23
; %bb.19:
	s_wait_dscnt 0x2
	v_add_f64_e32 v[8:9], v[0:1], v[8:9]
	s_wait_dscnt 0x0
	v_add_f64_e32 v[0:1], v[10:11], v[12:13]
	s_load_b64 s[0:1], s[0:1], 0x38
	s_mov_b32 s2, exec_lo
	v_cmpx_eq_f64_e32 0, v[4:5]
	s_xor_b32 s2, exec_lo, s2
	s_cbranch_execz .LBB145_21
; %bb.20:
	s_delay_alu instid0(VALU_DEP_3) | instskip(NEXT) | instid1(VALU_DEP_3)
	v_mul_f64_e32 v[8:9], v[2:3], v[8:9]
	v_dual_mul_f64 v[10:11], v[2:3], v[0:1] :: v_dual_lshlrev_b32 v0, 1, v6
                                        ; implicit-def: $vgpr6
                                        ; implicit-def: $vgpr2_vgpr3
                                        ; implicit-def: $vgpr4_vgpr5
	s_delay_alu instid0(VALU_DEP_1) | instskip(SKIP_1) | instid1(VALU_DEP_1)
	v_ashrrev_i32_e32 v1, 31, v0
	s_wait_kmcnt 0x0
	v_lshl_add_u64 v[0:1], v[0:1], 3, s[0:1]
	global_store_b128 v[0:1], v[8:11], off
                                        ; implicit-def: $vgpr8_vgpr9
                                        ; implicit-def: $vgpr0_vgpr1
.LBB145_21:
	s_wait_xcnt 0x0
	s_and_not1_saveexec_b32 s2, s2
	s_cbranch_execz .LBB145_23
; %bb.22:
	v_lshlrev_b32_e32 v6, 1, v6
	s_delay_alu instid0(VALU_DEP_1) | instskip(SKIP_1) | instid1(VALU_DEP_1)
	v_ashrrev_i32_e32 v7, 31, v6
	s_wait_kmcnt 0x0
	v_lshl_add_u64 v[14:15], v[6:7], 3, s[0:1]
	v_mul_f64_e32 v[6:7], v[2:3], v[8:9]
	v_mul_f64_e32 v[8:9], v[2:3], v[0:1]
	global_load_b128 v[10:13], v[14:15], off
	s_wait_loadcnt 0x0
	v_fmac_f64_e32 v[6:7], v[4:5], v[10:11]
	v_fmac_f64_e32 v[8:9], v[4:5], v[12:13]
	global_store_b128 v[14:15], v[6:9], off
.LBB145_23:
	s_sendmsg sendmsg(MSG_DEALLOC_VGPRS)
	s_endpgm
	.section	.rodata,"a",@progbits
	.p2align	6, 0x0
	.amdhsa_kernel _ZN9rocsparseL19gebsrmvn_2xn_kernelILj128ELj15ELj64EdEEvi20rocsparse_direction_NS_24const_host_device_scalarIT2_EEPKiS6_PKS3_S8_S4_PS3_21rocsparse_index_base_b
		.amdhsa_group_segment_fixed_size 0
		.amdhsa_private_segment_fixed_size 0
		.amdhsa_kernarg_size 72
		.amdhsa_user_sgpr_count 2
		.amdhsa_user_sgpr_dispatch_ptr 0
		.amdhsa_user_sgpr_queue_ptr 0
		.amdhsa_user_sgpr_kernarg_segment_ptr 1
		.amdhsa_user_sgpr_dispatch_id 0
		.amdhsa_user_sgpr_kernarg_preload_length 0
		.amdhsa_user_sgpr_kernarg_preload_offset 0
		.amdhsa_user_sgpr_private_segment_size 0
		.amdhsa_wavefront_size32 1
		.amdhsa_uses_dynamic_stack 0
		.amdhsa_enable_private_segment 0
		.amdhsa_system_sgpr_workgroup_id_x 1
		.amdhsa_system_sgpr_workgroup_id_y 0
		.amdhsa_system_sgpr_workgroup_id_z 0
		.amdhsa_system_sgpr_workgroup_info 0
		.amdhsa_system_vgpr_workitem_id 0
		.amdhsa_next_free_vgpr 86
		.amdhsa_next_free_sgpr 14
		.amdhsa_named_barrier_count 0
		.amdhsa_reserve_vcc 1
		.amdhsa_float_round_mode_32 0
		.amdhsa_float_round_mode_16_64 0
		.amdhsa_float_denorm_mode_32 3
		.amdhsa_float_denorm_mode_16_64 3
		.amdhsa_fp16_overflow 0
		.amdhsa_memory_ordered 1
		.amdhsa_forward_progress 1
		.amdhsa_inst_pref_size 25
		.amdhsa_round_robin_scheduling 0
		.amdhsa_exception_fp_ieee_invalid_op 0
		.amdhsa_exception_fp_denorm_src 0
		.amdhsa_exception_fp_ieee_div_zero 0
		.amdhsa_exception_fp_ieee_overflow 0
		.amdhsa_exception_fp_ieee_underflow 0
		.amdhsa_exception_fp_ieee_inexact 0
		.amdhsa_exception_int_div_zero 0
	.end_amdhsa_kernel
	.section	.text._ZN9rocsparseL19gebsrmvn_2xn_kernelILj128ELj15ELj64EdEEvi20rocsparse_direction_NS_24const_host_device_scalarIT2_EEPKiS6_PKS3_S8_S4_PS3_21rocsparse_index_base_b,"axG",@progbits,_ZN9rocsparseL19gebsrmvn_2xn_kernelILj128ELj15ELj64EdEEvi20rocsparse_direction_NS_24const_host_device_scalarIT2_EEPKiS6_PKS3_S8_S4_PS3_21rocsparse_index_base_b,comdat
.Lfunc_end145:
	.size	_ZN9rocsparseL19gebsrmvn_2xn_kernelILj128ELj15ELj64EdEEvi20rocsparse_direction_NS_24const_host_device_scalarIT2_EEPKiS6_PKS3_S8_S4_PS3_21rocsparse_index_base_b, .Lfunc_end145-_ZN9rocsparseL19gebsrmvn_2xn_kernelILj128ELj15ELj64EdEEvi20rocsparse_direction_NS_24const_host_device_scalarIT2_EEPKiS6_PKS3_S8_S4_PS3_21rocsparse_index_base_b
                                        ; -- End function
	.set _ZN9rocsparseL19gebsrmvn_2xn_kernelILj128ELj15ELj64EdEEvi20rocsparse_direction_NS_24const_host_device_scalarIT2_EEPKiS6_PKS3_S8_S4_PS3_21rocsparse_index_base_b.num_vgpr, 86
	.set _ZN9rocsparseL19gebsrmvn_2xn_kernelILj128ELj15ELj64EdEEvi20rocsparse_direction_NS_24const_host_device_scalarIT2_EEPKiS6_PKS3_S8_S4_PS3_21rocsparse_index_base_b.num_agpr, 0
	.set _ZN9rocsparseL19gebsrmvn_2xn_kernelILj128ELj15ELj64EdEEvi20rocsparse_direction_NS_24const_host_device_scalarIT2_EEPKiS6_PKS3_S8_S4_PS3_21rocsparse_index_base_b.numbered_sgpr, 14
	.set _ZN9rocsparseL19gebsrmvn_2xn_kernelILj128ELj15ELj64EdEEvi20rocsparse_direction_NS_24const_host_device_scalarIT2_EEPKiS6_PKS3_S8_S4_PS3_21rocsparse_index_base_b.num_named_barrier, 0
	.set _ZN9rocsparseL19gebsrmvn_2xn_kernelILj128ELj15ELj64EdEEvi20rocsparse_direction_NS_24const_host_device_scalarIT2_EEPKiS6_PKS3_S8_S4_PS3_21rocsparse_index_base_b.private_seg_size, 0
	.set _ZN9rocsparseL19gebsrmvn_2xn_kernelILj128ELj15ELj64EdEEvi20rocsparse_direction_NS_24const_host_device_scalarIT2_EEPKiS6_PKS3_S8_S4_PS3_21rocsparse_index_base_b.uses_vcc, 1
	.set _ZN9rocsparseL19gebsrmvn_2xn_kernelILj128ELj15ELj64EdEEvi20rocsparse_direction_NS_24const_host_device_scalarIT2_EEPKiS6_PKS3_S8_S4_PS3_21rocsparse_index_base_b.uses_flat_scratch, 0
	.set _ZN9rocsparseL19gebsrmvn_2xn_kernelILj128ELj15ELj64EdEEvi20rocsparse_direction_NS_24const_host_device_scalarIT2_EEPKiS6_PKS3_S8_S4_PS3_21rocsparse_index_base_b.has_dyn_sized_stack, 0
	.set _ZN9rocsparseL19gebsrmvn_2xn_kernelILj128ELj15ELj64EdEEvi20rocsparse_direction_NS_24const_host_device_scalarIT2_EEPKiS6_PKS3_S8_S4_PS3_21rocsparse_index_base_b.has_recursion, 0
	.set _ZN9rocsparseL19gebsrmvn_2xn_kernelILj128ELj15ELj64EdEEvi20rocsparse_direction_NS_24const_host_device_scalarIT2_EEPKiS6_PKS3_S8_S4_PS3_21rocsparse_index_base_b.has_indirect_call, 0
	.section	.AMDGPU.csdata,"",@progbits
; Kernel info:
; codeLenInByte = 3148
; TotalNumSgprs: 16
; NumVgprs: 86
; ScratchSize: 0
; MemoryBound: 0
; FloatMode: 240
; IeeeMode: 1
; LDSByteSize: 0 bytes/workgroup (compile time only)
; SGPRBlocks: 0
; VGPRBlocks: 5
; NumSGPRsForWavesPerEU: 16
; NumVGPRsForWavesPerEU: 86
; NamedBarCnt: 0
; Occupancy: 10
; WaveLimiterHint : 1
; COMPUTE_PGM_RSRC2:SCRATCH_EN: 0
; COMPUTE_PGM_RSRC2:USER_SGPR: 2
; COMPUTE_PGM_RSRC2:TRAP_HANDLER: 0
; COMPUTE_PGM_RSRC2:TGID_X_EN: 1
; COMPUTE_PGM_RSRC2:TGID_Y_EN: 0
; COMPUTE_PGM_RSRC2:TGID_Z_EN: 0
; COMPUTE_PGM_RSRC2:TIDIG_COMP_CNT: 0
	.section	.text._ZN9rocsparseL19gebsrmvn_2xn_kernelILj128ELj16ELj4EdEEvi20rocsparse_direction_NS_24const_host_device_scalarIT2_EEPKiS6_PKS3_S8_S4_PS3_21rocsparse_index_base_b,"axG",@progbits,_ZN9rocsparseL19gebsrmvn_2xn_kernelILj128ELj16ELj4EdEEvi20rocsparse_direction_NS_24const_host_device_scalarIT2_EEPKiS6_PKS3_S8_S4_PS3_21rocsparse_index_base_b,comdat
	.globl	_ZN9rocsparseL19gebsrmvn_2xn_kernelILj128ELj16ELj4EdEEvi20rocsparse_direction_NS_24const_host_device_scalarIT2_EEPKiS6_PKS3_S8_S4_PS3_21rocsparse_index_base_b ; -- Begin function _ZN9rocsparseL19gebsrmvn_2xn_kernelILj128ELj16ELj4EdEEvi20rocsparse_direction_NS_24const_host_device_scalarIT2_EEPKiS6_PKS3_S8_S4_PS3_21rocsparse_index_base_b
	.p2align	8
	.type	_ZN9rocsparseL19gebsrmvn_2xn_kernelILj128ELj16ELj4EdEEvi20rocsparse_direction_NS_24const_host_device_scalarIT2_EEPKiS6_PKS3_S8_S4_PS3_21rocsparse_index_base_b,@function
_ZN9rocsparseL19gebsrmvn_2xn_kernelILj128ELj16ELj4EdEEvi20rocsparse_direction_NS_24const_host_device_scalarIT2_EEPKiS6_PKS3_S8_S4_PS3_21rocsparse_index_base_b: ; @_ZN9rocsparseL19gebsrmvn_2xn_kernelILj128ELj16ELj4EdEEvi20rocsparse_direction_NS_24const_host_device_scalarIT2_EEPKiS6_PKS3_S8_S4_PS3_21rocsparse_index_base_b
; %bb.0:
	s_clause 0x2
	s_load_b64 s[12:13], s[0:1], 0x40
	s_load_b64 s[4:5], s[0:1], 0x8
	;; [unrolled: 1-line block ×3, first 2 shown]
	s_wait_kmcnt 0x0
	s_bitcmp1_b32 s13, 0
	v_mov_b64_e32 v[2:3], s[4:5]
	s_cselect_b32 s6, -1, 0
	s_delay_alu instid0(SALU_CYCLE_1)
	s_and_b32 vcc_lo, exec_lo, s6
	s_xor_b32 s6, s6, -1
	s_cbranch_vccnz .LBB146_2
; %bb.1:
	v_mov_b32_e32 v1, 0
	flat_load_b64 v[2:3], v1, s[4:5]
.LBB146_2:
	v_mov_b64_e32 v[4:5], s[2:3]
	s_and_not1_b32 vcc_lo, exec_lo, s6
	s_cbranch_vccnz .LBB146_4
; %bb.3:
	s_wait_xcnt 0x0
	v_mov_b32_e32 v1, 0
	flat_load_b64 v[4:5], v1, s[2:3]
.LBB146_4:
	s_wait_loadcnt_dscnt 0x0
	v_cmp_neq_f64_e32 vcc_lo, 0, v[2:3]
	s_delay_alu instid0(VALU_DEP_2) | instskip(SKIP_1) | instid1(SALU_CYCLE_1)
	v_cmp_neq_f64_e64 s2, 1.0, v[4:5]
	s_or_b32 s2, vcc_lo, s2
	s_and_saveexec_b32 s3, s2
	s_cbranch_execz .LBB146_23
; %bb.5:
	s_load_b64 s[2:3], s[0:1], 0x0
	s_bfe_u32 s4, ttmp6, 0x4000c
	s_and_b32 s5, ttmp6, 15
	s_add_co_i32 s4, s4, 1
	s_getreg_b32 s6, hwreg(HW_REG_IB_STS2, 6, 4)
	s_mul_i32 s4, ttmp9, s4
	v_lshrrev_b32_e32 v1, 2, v0
	s_add_co_i32 s5, s5, s4
	s_cmp_eq_u32 s6, 0
	s_cselect_b32 s4, ttmp9, s5
	s_delay_alu instid0(VALU_DEP_1) | instid1(SALU_CYCLE_1)
	v_lshl_or_b32 v6, s4, 5, v1
	s_wait_kmcnt 0x0
	s_delay_alu instid0(VALU_DEP_1)
	v_cmp_gt_i32_e32 vcc_lo, s2, v6
	s_and_b32 exec_lo, exec_lo, vcc_lo
	s_cbranch_execz .LBB146_23
; %bb.6:
	s_load_b256 s[4:11], s[0:1], 0x10
	v_ashrrev_i32_e32 v7, 31, v6
	s_cmp_lg_u32 s3, 0
	s_wait_kmcnt 0x0
	s_delay_alu instid0(VALU_DEP_1)
	v_lshl_add_u64 v[8:9], v[6:7], 2, s[4:5]
	v_and_b32_e32 v7, 3, v0
	global_load_b64 v[8:9], v[8:9], off
	s_wait_loadcnt 0x0
	v_subrev_nc_u32_e32 v0, s12, v8
	v_subrev_nc_u32_e32 v12, s12, v9
	s_delay_alu instid0(VALU_DEP_2) | instskip(NEXT) | instid1(VALU_DEP_1)
	v_add_nc_u32_e32 v13, v0, v7
	v_cmp_lt_i32_e64 s2, v13, v12
	s_cbranch_scc0 .LBB146_12
; %bb.7:
	v_mov_b64_e32 v[0:1], 0
	v_mov_b64_e32 v[8:9], 0
	s_and_saveexec_b32 s3, s2
	s_cbranch_execz .LBB146_11
; %bb.8:
	v_mov_b64_e32 v[0:1], 0
	v_mov_b64_e32 v[8:9], 0
	v_dual_mov_b32 v11, 0 :: v_dual_lshlrev_b32 v10, 5, v13
	v_mov_b32_e32 v14, v13
	s_mov_b32 s4, 0
.LBB146_9:                              ; =>This Inner Loop Header: Depth=1
	global_load_b32 v15, v14, s[6:7] scale_offset
	v_lshl_add_u64 v[84:85], v[10:11], 3, s[8:9]
	s_wait_xcnt 0x0
	v_add_nc_u32_e32 v14, 4, v14
	v_add_nc_u32_e32 v10, 0x80, v10
	s_delay_alu instid0(VALU_DEP_2) | instskip(SKIP_3) | instid1(VALU_DEP_1)
	v_cmp_ge_i32_e32 vcc_lo, v14, v12
	s_or_b32 s4, vcc_lo, s4
	s_wait_loadcnt 0x0
	v_subrev_nc_u32_e32 v15, s12, v15
	v_dual_mov_b32 v17, v11 :: v_dual_lshlrev_b32 v16, 4, v15
	s_delay_alu instid0(VALU_DEP_1)
	v_lshl_add_u64 v[86:87], v[16:17], 3, s[10:11]
	global_load_b128 v[16:19], v[84:85], off
	global_load_b128 v[20:23], v[86:87], off
	s_clause 0x1
	global_load_b128 v[24:27], v[84:85], off offset:16
	global_load_b128 v[28:31], v[84:85], off offset:32
	global_load_b128 v[32:35], v[86:87], off offset:16
	s_clause 0x1
	global_load_b128 v[36:39], v[84:85], off offset:48
	global_load_b128 v[40:43], v[84:85], off offset:64
	global_load_b128 v[44:47], v[86:87], off offset:32
	;; [unrolled: 4-line block ×5, first 2 shown]
	s_wait_loadcnt 0xf
	v_fmac_f64_e32 v[0:1], v[16:17], v[20:21]
	v_fmac_f64_e32 v[8:9], v[18:19], v[20:21]
	global_load_b128 v[16:19], v[84:85], off offset:176
	s_wait_loadcnt 0xf
	v_fmac_f64_e32 v[0:1], v[24:25], v[22:23]
	v_fmac_f64_e32 v[8:9], v[26:27], v[22:23]
	global_load_b128 v[20:23], v[84:85], off offset:192
	global_load_b128 v[24:27], v[86:87], off offset:96
	s_wait_loadcnt 0xf
	v_fmac_f64_e32 v[0:1], v[28:29], v[32:33]
	v_fmac_f64_e32 v[8:9], v[30:31], v[32:33]
	global_load_b128 v[28:31], v[84:85], off offset:208
	s_wait_loadcnt 0xf
	v_fmac_f64_e32 v[0:1], v[36:37], v[34:35]
	v_fmac_f64_e32 v[8:9], v[38:39], v[34:35]
	global_load_b128 v[32:35], v[84:85], off offset:224
	global_load_b128 v[36:39], v[86:87], off offset:112
	s_wait_loadcnt 0xf
	v_fmac_f64_e32 v[0:1], v[40:41], v[44:45]
	v_fmac_f64_e32 v[8:9], v[42:43], v[44:45]
	global_load_b128 v[40:43], v[84:85], off offset:240
	s_wait_loadcnt 0xf
	v_fmac_f64_e32 v[0:1], v[48:49], v[46:47]
	v_fmac_f64_e32 v[8:9], v[50:51], v[46:47]
	s_wait_loadcnt 0xd
	s_delay_alu instid0(VALU_DEP_2) | instskip(NEXT) | instid1(VALU_DEP_2)
	v_fmac_f64_e32 v[0:1], v[52:53], v[56:57]
	v_fmac_f64_e32 v[8:9], v[54:55], v[56:57]
	s_wait_loadcnt 0xc
	s_delay_alu instid0(VALU_DEP_2) | instskip(NEXT) | instid1(VALU_DEP_2)
	;; [unrolled: 4-line block ×10, first 2 shown]
	v_fmac_f64_e32 v[0:1], v[40:41], v[38:39]
	v_fmac_f64_e32 v[8:9], v[42:43], v[38:39]
	s_and_not1_b32 exec_lo, exec_lo, s4
	s_cbranch_execnz .LBB146_9
; %bb.10:
	s_or_b32 exec_lo, exec_lo, s4
.LBB146_11:
	s_delay_alu instid0(SALU_CYCLE_1)
	s_or_b32 exec_lo, exec_lo, s3
	s_cbranch_execz .LBB146_13
	s_branch .LBB146_18
.LBB146_12:
                                        ; implicit-def: $vgpr0_vgpr1
                                        ; implicit-def: $vgpr8_vgpr9
.LBB146_13:
	v_mov_b64_e32 v[0:1], 0
	v_mov_b64_e32 v[8:9], 0
	s_and_saveexec_b32 s3, s2
	s_cbranch_execz .LBB146_17
; %bb.14:
	v_mov_b64_e32 v[0:1], 0
	v_mov_b64_e32 v[8:9], 0
	v_dual_mov_b32 v11, 0 :: v_dual_lshlrev_b32 v10, 5, v13
	s_mov_b32 s2, 0
.LBB146_15:                             ; =>This Inner Loop Header: Depth=1
	global_load_b32 v46, v13, s[6:7] scale_offset
	v_lshl_add_u64 v[78:79], v[10:11], 3, s[8:9]
	s_wait_xcnt 0x0
	v_add_nc_u32_e32 v13, 4, v13
	v_add_nc_u32_e32 v10, 0x80, v10
	s_clause 0x7
	global_load_b128 v[14:17], v[78:79], off offset:48
	global_load_b128 v[18:21], v[78:79], off offset:32
	;; [unrolled: 1-line block ×3, first 2 shown]
	global_load_b128 v[26:29], v[78:79], off
	global_load_b128 v[30:33], v[78:79], off offset:176
	global_load_b128 v[34:37], v[78:79], off offset:160
	;; [unrolled: 1-line block ×4, first 2 shown]
	v_cmp_ge_i32_e32 vcc_lo, v13, v12
	s_or_b32 s2, vcc_lo, s2
	s_wait_loadcnt 0x8
	v_subrev_nc_u32_e32 v46, s12, v46
	s_delay_alu instid0(VALU_DEP_1) | instskip(NEXT) | instid1(VALU_DEP_1)
	v_dual_mov_b32 v47, v11 :: v_dual_lshlrev_b32 v46, 4, v46
	v_lshl_add_u64 v[82:83], v[46:47], 3, s[10:11]
	s_clause 0x3
	global_load_b128 v[46:49], v[82:83], off
	global_load_b128 v[50:53], v[82:83], off offset:16
	global_load_b128 v[54:57], v[82:83], off offset:32
	;; [unrolled: 1-line block ×3, first 2 shown]
	s_clause 0x3
	global_load_b128 v[62:65], v[78:79], off offset:80
	global_load_b128 v[66:69], v[78:79], off offset:64
	;; [unrolled: 1-line block ×4, first 2 shown]
	s_wait_loadcnt 0x7
	v_fmac_f64_e32 v[0:1], v[26:27], v[46:47]
	v_fmac_f64_e32 v[8:9], v[42:43], v[46:47]
	s_delay_alu instid0(VALU_DEP_2)
	v_fmac_f64_e32 v[0:1], v[28:29], v[48:49]
	global_load_b128 v[26:29], v[82:83], off offset:64
	v_fmac_f64_e32 v[8:9], v[44:45], v[48:49]
	global_load_b128 v[42:45], v[82:83], off offset:80
	global_load_b128 v[46:49], v[78:79], off offset:112
	s_wait_loadcnt 0x9
	v_fmac_f64_e32 v[0:1], v[22:23], v[50:51]
	v_fmac_f64_e32 v[8:9], v[38:39], v[50:51]
	s_delay_alu instid0(VALU_DEP_2)
	v_fmac_f64_e32 v[0:1], v[24:25], v[52:53]
	global_load_b128 v[22:25], v[78:79], off offset:96
	v_fmac_f64_e32 v[8:9], v[40:41], v[52:53]
	s_clause 0x1
	global_load_b128 v[38:41], v[78:79], off offset:240
	global_load_b128 v[50:53], v[78:79], off offset:224
	s_wait_loadcnt 0xb
	v_fmac_f64_e32 v[0:1], v[18:19], v[54:55]
	v_fmac_f64_e32 v[8:9], v[34:35], v[54:55]
	s_delay_alu instid0(VALU_DEP_2)
	v_fmac_f64_e32 v[0:1], v[20:21], v[56:57]
	s_clause 0x1
	global_load_b128 v[18:21], v[82:83], off offset:96
	global_load_b128 v[78:81], v[82:83], off offset:112
	v_fmac_f64_e32 v[8:9], v[36:37], v[56:57]
	s_wait_loadcnt 0xc
	v_fmac_f64_e32 v[0:1], v[14:15], v[58:59]
	s_delay_alu instid0(VALU_DEP_2) | instskip(NEXT) | instid1(VALU_DEP_2)
	v_fmac_f64_e32 v[8:9], v[30:31], v[58:59]
	v_fmac_f64_e32 v[0:1], v[16:17], v[60:61]
	s_delay_alu instid0(VALU_DEP_2) | instskip(SKIP_1) | instid1(VALU_DEP_2)
	v_fmac_f64_e32 v[8:9], v[32:33], v[60:61]
	s_wait_loadcnt 0x7
	v_fmac_f64_e32 v[0:1], v[66:67], v[26:27]
	s_delay_alu instid0(VALU_DEP_2) | instskip(NEXT) | instid1(VALU_DEP_2)
	v_fmac_f64_e32 v[8:9], v[74:75], v[26:27]
	v_fmac_f64_e32 v[0:1], v[68:69], v[28:29]
	s_delay_alu instid0(VALU_DEP_2) | instskip(SKIP_1) | instid1(VALU_DEP_2)
	;; [unrolled: 7-line block ×4, first 2 shown]
	v_fmac_f64_e32 v[8:9], v[52:53], v[20:21]
	s_wait_loadcnt 0x0
	v_fmac_f64_e32 v[0:1], v[46:47], v[78:79]
	s_delay_alu instid0(VALU_DEP_2) | instskip(NEXT) | instid1(VALU_DEP_2)
	v_fmac_f64_e32 v[8:9], v[38:39], v[78:79]
	v_fmac_f64_e32 v[0:1], v[48:49], v[80:81]
	s_delay_alu instid0(VALU_DEP_2)
	v_fmac_f64_e32 v[8:9], v[40:41], v[80:81]
	s_and_not1_b32 exec_lo, exec_lo, s2
	s_cbranch_execnz .LBB146_15
; %bb.16:
	s_or_b32 exec_lo, exec_lo, s2
.LBB146_17:
	s_delay_alu instid0(SALU_CYCLE_1)
	s_or_b32 exec_lo, exec_lo, s3
.LBB146_18:
	v_mbcnt_lo_u32_b32 v14, -1, 0
	s_delay_alu instid0(VALU_DEP_1) | instskip(NEXT) | instid1(VALU_DEP_1)
	v_xor_b32_e32 v10, 2, v14
	v_cmp_gt_i32_e32 vcc_lo, 32, v10
	v_cndmask_b32_e32 v10, v14, v10, vcc_lo
	s_delay_alu instid0(VALU_DEP_1)
	v_lshlrev_b32_e32 v13, 2, v10
	ds_bpermute_b32 v10, v13, v0
	ds_bpermute_b32 v11, v13, v1
	;; [unrolled: 1-line block ×4, first 2 shown]
	s_wait_dscnt 0x2
	v_add_f64_e32 v[0:1], v[0:1], v[10:11]
	s_wait_dscnt 0x0
	v_dual_add_f64 v[10:11], v[8:9], v[12:13] :: v_dual_bitop2_b32 v8, 1, v14 bitop3:0x14
	s_delay_alu instid0(VALU_DEP_1) | instskip(SKIP_2) | instid1(VALU_DEP_2)
	v_cmp_gt_i32_e32 vcc_lo, 32, v8
	v_cndmask_b32_e32 v8, v14, v8, vcc_lo
	v_cmp_eq_u32_e32 vcc_lo, 3, v7
	v_lshlrev_b32_e32 v13, 2, v8
	ds_bpermute_b32 v8, v13, v0
	ds_bpermute_b32 v9, v13, v1
	;; [unrolled: 1-line block ×4, first 2 shown]
	s_and_b32 exec_lo, exec_lo, vcc_lo
	s_cbranch_execz .LBB146_23
; %bb.19:
	s_wait_dscnt 0x2
	v_add_f64_e32 v[8:9], v[0:1], v[8:9]
	s_wait_dscnt 0x0
	v_add_f64_e32 v[0:1], v[10:11], v[12:13]
	s_load_b64 s[0:1], s[0:1], 0x38
	s_mov_b32 s2, exec_lo
	v_cmpx_eq_f64_e32 0, v[4:5]
	s_xor_b32 s2, exec_lo, s2
	s_cbranch_execz .LBB146_21
; %bb.20:
	s_delay_alu instid0(VALU_DEP_3) | instskip(NEXT) | instid1(VALU_DEP_3)
	v_mul_f64_e32 v[8:9], v[2:3], v[8:9]
	v_dual_mul_f64 v[10:11], v[2:3], v[0:1] :: v_dual_lshlrev_b32 v0, 1, v6
                                        ; implicit-def: $vgpr6
                                        ; implicit-def: $vgpr2_vgpr3
                                        ; implicit-def: $vgpr4_vgpr5
	s_delay_alu instid0(VALU_DEP_1) | instskip(SKIP_1) | instid1(VALU_DEP_1)
	v_ashrrev_i32_e32 v1, 31, v0
	s_wait_kmcnt 0x0
	v_lshl_add_u64 v[0:1], v[0:1], 3, s[0:1]
	global_store_b128 v[0:1], v[8:11], off
                                        ; implicit-def: $vgpr8_vgpr9
                                        ; implicit-def: $vgpr0_vgpr1
.LBB146_21:
	s_wait_xcnt 0x0
	s_and_not1_saveexec_b32 s2, s2
	s_cbranch_execz .LBB146_23
; %bb.22:
	v_lshlrev_b32_e32 v6, 1, v6
	s_delay_alu instid0(VALU_DEP_1) | instskip(SKIP_1) | instid1(VALU_DEP_1)
	v_ashrrev_i32_e32 v7, 31, v6
	s_wait_kmcnt 0x0
	v_lshl_add_u64 v[14:15], v[6:7], 3, s[0:1]
	v_mul_f64_e32 v[6:7], v[2:3], v[8:9]
	v_mul_f64_e32 v[8:9], v[2:3], v[0:1]
	global_load_b128 v[10:13], v[14:15], off
	s_wait_loadcnt 0x0
	v_fmac_f64_e32 v[6:7], v[4:5], v[10:11]
	v_fmac_f64_e32 v[8:9], v[4:5], v[12:13]
	global_store_b128 v[14:15], v[6:9], off
.LBB146_23:
	s_sendmsg sendmsg(MSG_DEALLOC_VGPRS)
	s_endpgm
	.section	.rodata,"a",@progbits
	.p2align	6, 0x0
	.amdhsa_kernel _ZN9rocsparseL19gebsrmvn_2xn_kernelILj128ELj16ELj4EdEEvi20rocsparse_direction_NS_24const_host_device_scalarIT2_EEPKiS6_PKS3_S8_S4_PS3_21rocsparse_index_base_b
		.amdhsa_group_segment_fixed_size 0
		.amdhsa_private_segment_fixed_size 0
		.amdhsa_kernarg_size 72
		.amdhsa_user_sgpr_count 2
		.amdhsa_user_sgpr_dispatch_ptr 0
		.amdhsa_user_sgpr_queue_ptr 0
		.amdhsa_user_sgpr_kernarg_segment_ptr 1
		.amdhsa_user_sgpr_dispatch_id 0
		.amdhsa_user_sgpr_kernarg_preload_length 0
		.amdhsa_user_sgpr_kernarg_preload_offset 0
		.amdhsa_user_sgpr_private_segment_size 0
		.amdhsa_wavefront_size32 1
		.amdhsa_uses_dynamic_stack 0
		.amdhsa_enable_private_segment 0
		.amdhsa_system_sgpr_workgroup_id_x 1
		.amdhsa_system_sgpr_workgroup_id_y 0
		.amdhsa_system_sgpr_workgroup_id_z 0
		.amdhsa_system_sgpr_workgroup_info 0
		.amdhsa_system_vgpr_workitem_id 0
		.amdhsa_next_free_vgpr 88
		.amdhsa_next_free_sgpr 14
		.amdhsa_named_barrier_count 0
		.amdhsa_reserve_vcc 1
		.amdhsa_float_round_mode_32 0
		.amdhsa_float_round_mode_16_64 0
		.amdhsa_float_denorm_mode_32 3
		.amdhsa_float_denorm_mode_16_64 3
		.amdhsa_fp16_overflow 0
		.amdhsa_memory_ordered 1
		.amdhsa_forward_progress 1
		.amdhsa_inst_pref_size 16
		.amdhsa_round_robin_scheduling 0
		.amdhsa_exception_fp_ieee_invalid_op 0
		.amdhsa_exception_fp_denorm_src 0
		.amdhsa_exception_fp_ieee_div_zero 0
		.amdhsa_exception_fp_ieee_overflow 0
		.amdhsa_exception_fp_ieee_underflow 0
		.amdhsa_exception_fp_ieee_inexact 0
		.amdhsa_exception_int_div_zero 0
	.end_amdhsa_kernel
	.section	.text._ZN9rocsparseL19gebsrmvn_2xn_kernelILj128ELj16ELj4EdEEvi20rocsparse_direction_NS_24const_host_device_scalarIT2_EEPKiS6_PKS3_S8_S4_PS3_21rocsparse_index_base_b,"axG",@progbits,_ZN9rocsparseL19gebsrmvn_2xn_kernelILj128ELj16ELj4EdEEvi20rocsparse_direction_NS_24const_host_device_scalarIT2_EEPKiS6_PKS3_S8_S4_PS3_21rocsparse_index_base_b,comdat
.Lfunc_end146:
	.size	_ZN9rocsparseL19gebsrmvn_2xn_kernelILj128ELj16ELj4EdEEvi20rocsparse_direction_NS_24const_host_device_scalarIT2_EEPKiS6_PKS3_S8_S4_PS3_21rocsparse_index_base_b, .Lfunc_end146-_ZN9rocsparseL19gebsrmvn_2xn_kernelILj128ELj16ELj4EdEEvi20rocsparse_direction_NS_24const_host_device_scalarIT2_EEPKiS6_PKS3_S8_S4_PS3_21rocsparse_index_base_b
                                        ; -- End function
	.set _ZN9rocsparseL19gebsrmvn_2xn_kernelILj128ELj16ELj4EdEEvi20rocsparse_direction_NS_24const_host_device_scalarIT2_EEPKiS6_PKS3_S8_S4_PS3_21rocsparse_index_base_b.num_vgpr, 88
	.set _ZN9rocsparseL19gebsrmvn_2xn_kernelILj128ELj16ELj4EdEEvi20rocsparse_direction_NS_24const_host_device_scalarIT2_EEPKiS6_PKS3_S8_S4_PS3_21rocsparse_index_base_b.num_agpr, 0
	.set _ZN9rocsparseL19gebsrmvn_2xn_kernelILj128ELj16ELj4EdEEvi20rocsparse_direction_NS_24const_host_device_scalarIT2_EEPKiS6_PKS3_S8_S4_PS3_21rocsparse_index_base_b.numbered_sgpr, 14
	.set _ZN9rocsparseL19gebsrmvn_2xn_kernelILj128ELj16ELj4EdEEvi20rocsparse_direction_NS_24const_host_device_scalarIT2_EEPKiS6_PKS3_S8_S4_PS3_21rocsparse_index_base_b.num_named_barrier, 0
	.set _ZN9rocsparseL19gebsrmvn_2xn_kernelILj128ELj16ELj4EdEEvi20rocsparse_direction_NS_24const_host_device_scalarIT2_EEPKiS6_PKS3_S8_S4_PS3_21rocsparse_index_base_b.private_seg_size, 0
	.set _ZN9rocsparseL19gebsrmvn_2xn_kernelILj128ELj16ELj4EdEEvi20rocsparse_direction_NS_24const_host_device_scalarIT2_EEPKiS6_PKS3_S8_S4_PS3_21rocsparse_index_base_b.uses_vcc, 1
	.set _ZN9rocsparseL19gebsrmvn_2xn_kernelILj128ELj16ELj4EdEEvi20rocsparse_direction_NS_24const_host_device_scalarIT2_EEPKiS6_PKS3_S8_S4_PS3_21rocsparse_index_base_b.uses_flat_scratch, 0
	.set _ZN9rocsparseL19gebsrmvn_2xn_kernelILj128ELj16ELj4EdEEvi20rocsparse_direction_NS_24const_host_device_scalarIT2_EEPKiS6_PKS3_S8_S4_PS3_21rocsparse_index_base_b.has_dyn_sized_stack, 0
	.set _ZN9rocsparseL19gebsrmvn_2xn_kernelILj128ELj16ELj4EdEEvi20rocsparse_direction_NS_24const_host_device_scalarIT2_EEPKiS6_PKS3_S8_S4_PS3_21rocsparse_index_base_b.has_recursion, 0
	.set _ZN9rocsparseL19gebsrmvn_2xn_kernelILj128ELj16ELj4EdEEvi20rocsparse_direction_NS_24const_host_device_scalarIT2_EEPKiS6_PKS3_S8_S4_PS3_21rocsparse_index_base_b.has_indirect_call, 0
	.section	.AMDGPU.csdata,"",@progbits
; Kernel info:
; codeLenInByte = 1960
; TotalNumSgprs: 16
; NumVgprs: 88
; ScratchSize: 0
; MemoryBound: 1
; FloatMode: 240
; IeeeMode: 1
; LDSByteSize: 0 bytes/workgroup (compile time only)
; SGPRBlocks: 0
; VGPRBlocks: 5
; NumSGPRsForWavesPerEU: 16
; NumVGPRsForWavesPerEU: 88
; NamedBarCnt: 0
; Occupancy: 10
; WaveLimiterHint : 1
; COMPUTE_PGM_RSRC2:SCRATCH_EN: 0
; COMPUTE_PGM_RSRC2:USER_SGPR: 2
; COMPUTE_PGM_RSRC2:TRAP_HANDLER: 0
; COMPUTE_PGM_RSRC2:TGID_X_EN: 1
; COMPUTE_PGM_RSRC2:TGID_Y_EN: 0
; COMPUTE_PGM_RSRC2:TGID_Z_EN: 0
; COMPUTE_PGM_RSRC2:TIDIG_COMP_CNT: 0
	.section	.text._ZN9rocsparseL19gebsrmvn_2xn_kernelILj128ELj16ELj8EdEEvi20rocsparse_direction_NS_24const_host_device_scalarIT2_EEPKiS6_PKS3_S8_S4_PS3_21rocsparse_index_base_b,"axG",@progbits,_ZN9rocsparseL19gebsrmvn_2xn_kernelILj128ELj16ELj8EdEEvi20rocsparse_direction_NS_24const_host_device_scalarIT2_EEPKiS6_PKS3_S8_S4_PS3_21rocsparse_index_base_b,comdat
	.globl	_ZN9rocsparseL19gebsrmvn_2xn_kernelILj128ELj16ELj8EdEEvi20rocsparse_direction_NS_24const_host_device_scalarIT2_EEPKiS6_PKS3_S8_S4_PS3_21rocsparse_index_base_b ; -- Begin function _ZN9rocsparseL19gebsrmvn_2xn_kernelILj128ELj16ELj8EdEEvi20rocsparse_direction_NS_24const_host_device_scalarIT2_EEPKiS6_PKS3_S8_S4_PS3_21rocsparse_index_base_b
	.p2align	8
	.type	_ZN9rocsparseL19gebsrmvn_2xn_kernelILj128ELj16ELj8EdEEvi20rocsparse_direction_NS_24const_host_device_scalarIT2_EEPKiS6_PKS3_S8_S4_PS3_21rocsparse_index_base_b,@function
_ZN9rocsparseL19gebsrmvn_2xn_kernelILj128ELj16ELj8EdEEvi20rocsparse_direction_NS_24const_host_device_scalarIT2_EEPKiS6_PKS3_S8_S4_PS3_21rocsparse_index_base_b: ; @_ZN9rocsparseL19gebsrmvn_2xn_kernelILj128ELj16ELj8EdEEvi20rocsparse_direction_NS_24const_host_device_scalarIT2_EEPKiS6_PKS3_S8_S4_PS3_21rocsparse_index_base_b
; %bb.0:
	s_clause 0x2
	s_load_b64 s[12:13], s[0:1], 0x40
	s_load_b64 s[4:5], s[0:1], 0x8
	;; [unrolled: 1-line block ×3, first 2 shown]
	s_wait_kmcnt 0x0
	s_bitcmp1_b32 s13, 0
	v_mov_b64_e32 v[2:3], s[4:5]
	s_cselect_b32 s6, -1, 0
	s_delay_alu instid0(SALU_CYCLE_1)
	s_and_b32 vcc_lo, exec_lo, s6
	s_xor_b32 s6, s6, -1
	s_cbranch_vccnz .LBB147_2
; %bb.1:
	v_mov_b32_e32 v1, 0
	flat_load_b64 v[2:3], v1, s[4:5]
.LBB147_2:
	v_mov_b64_e32 v[4:5], s[2:3]
	s_and_not1_b32 vcc_lo, exec_lo, s6
	s_cbranch_vccnz .LBB147_4
; %bb.3:
	s_wait_xcnt 0x0
	v_mov_b32_e32 v1, 0
	flat_load_b64 v[4:5], v1, s[2:3]
.LBB147_4:
	s_wait_loadcnt_dscnt 0x0
	v_cmp_neq_f64_e32 vcc_lo, 0, v[2:3]
	s_delay_alu instid0(VALU_DEP_2) | instskip(SKIP_1) | instid1(SALU_CYCLE_1)
	v_cmp_neq_f64_e64 s2, 1.0, v[4:5]
	s_or_b32 s2, vcc_lo, s2
	s_and_saveexec_b32 s3, s2
	s_cbranch_execz .LBB147_23
; %bb.5:
	s_load_b64 s[2:3], s[0:1], 0x0
	s_bfe_u32 s4, ttmp6, 0x4000c
	s_and_b32 s5, ttmp6, 15
	s_add_co_i32 s4, s4, 1
	s_getreg_b32 s6, hwreg(HW_REG_IB_STS2, 6, 4)
	s_mul_i32 s4, ttmp9, s4
	v_lshrrev_b32_e32 v1, 3, v0
	s_add_co_i32 s5, s5, s4
	s_cmp_eq_u32 s6, 0
	s_cselect_b32 s4, ttmp9, s5
	s_delay_alu instid0(VALU_DEP_1) | instid1(SALU_CYCLE_1)
	v_lshl_or_b32 v6, s4, 4, v1
	s_wait_kmcnt 0x0
	s_delay_alu instid0(VALU_DEP_1)
	v_cmp_gt_i32_e32 vcc_lo, s2, v6
	s_and_b32 exec_lo, exec_lo, vcc_lo
	s_cbranch_execz .LBB147_23
; %bb.6:
	s_load_b256 s[4:11], s[0:1], 0x10
	v_ashrrev_i32_e32 v7, 31, v6
	s_cmp_lg_u32 s3, 0
	s_wait_kmcnt 0x0
	s_delay_alu instid0(VALU_DEP_1)
	v_lshl_add_u64 v[8:9], v[6:7], 2, s[4:5]
	v_and_b32_e32 v7, 7, v0
	global_load_b64 v[8:9], v[8:9], off
	s_wait_loadcnt 0x0
	v_subrev_nc_u32_e32 v0, s12, v8
	v_subrev_nc_u32_e32 v12, s12, v9
	s_delay_alu instid0(VALU_DEP_2) | instskip(NEXT) | instid1(VALU_DEP_1)
	v_add_nc_u32_e32 v13, v0, v7
	v_cmp_lt_i32_e64 s2, v13, v12
	s_cbranch_scc0 .LBB147_12
; %bb.7:
	v_mov_b64_e32 v[0:1], 0
	v_mov_b64_e32 v[8:9], 0
	s_and_saveexec_b32 s3, s2
	s_cbranch_execz .LBB147_11
; %bb.8:
	v_mov_b64_e32 v[0:1], 0
	v_mov_b64_e32 v[8:9], 0
	v_dual_mov_b32 v11, 0 :: v_dual_lshlrev_b32 v10, 5, v13
	v_mov_b32_e32 v14, v13
	s_mov_b32 s4, 0
.LBB147_9:                              ; =>This Inner Loop Header: Depth=1
	global_load_b32 v15, v14, s[6:7] scale_offset
	v_lshl_add_u64 v[84:85], v[10:11], 3, s[8:9]
	s_wait_xcnt 0x0
	v_add_nc_u32_e32 v14, 8, v14
	v_add_nc_u32_e32 v10, 0x100, v10
	s_delay_alu instid0(VALU_DEP_2) | instskip(SKIP_3) | instid1(VALU_DEP_1)
	v_cmp_ge_i32_e32 vcc_lo, v14, v12
	s_or_b32 s4, vcc_lo, s4
	s_wait_loadcnt 0x0
	v_subrev_nc_u32_e32 v15, s12, v15
	v_dual_mov_b32 v17, v11 :: v_dual_lshlrev_b32 v16, 4, v15
	s_delay_alu instid0(VALU_DEP_1)
	v_lshl_add_u64 v[86:87], v[16:17], 3, s[10:11]
	global_load_b128 v[16:19], v[84:85], off
	global_load_b128 v[20:23], v[86:87], off
	s_clause 0x1
	global_load_b128 v[24:27], v[84:85], off offset:16
	global_load_b128 v[28:31], v[84:85], off offset:32
	global_load_b128 v[32:35], v[86:87], off offset:16
	s_clause 0x1
	global_load_b128 v[36:39], v[84:85], off offset:48
	global_load_b128 v[40:43], v[84:85], off offset:64
	global_load_b128 v[44:47], v[86:87], off offset:32
	;; [unrolled: 4-line block ×5, first 2 shown]
	s_wait_loadcnt 0xf
	v_fmac_f64_e32 v[0:1], v[16:17], v[20:21]
	v_fmac_f64_e32 v[8:9], v[18:19], v[20:21]
	global_load_b128 v[16:19], v[84:85], off offset:176
	s_wait_loadcnt 0xf
	v_fmac_f64_e32 v[0:1], v[24:25], v[22:23]
	v_fmac_f64_e32 v[8:9], v[26:27], v[22:23]
	global_load_b128 v[20:23], v[84:85], off offset:192
	global_load_b128 v[24:27], v[86:87], off offset:96
	s_wait_loadcnt 0xf
	v_fmac_f64_e32 v[0:1], v[28:29], v[32:33]
	v_fmac_f64_e32 v[8:9], v[30:31], v[32:33]
	global_load_b128 v[28:31], v[84:85], off offset:208
	s_wait_loadcnt 0xf
	v_fmac_f64_e32 v[0:1], v[36:37], v[34:35]
	v_fmac_f64_e32 v[8:9], v[38:39], v[34:35]
	global_load_b128 v[32:35], v[84:85], off offset:224
	global_load_b128 v[36:39], v[86:87], off offset:112
	s_wait_loadcnt 0xf
	v_fmac_f64_e32 v[0:1], v[40:41], v[44:45]
	v_fmac_f64_e32 v[8:9], v[42:43], v[44:45]
	global_load_b128 v[40:43], v[84:85], off offset:240
	s_wait_loadcnt 0xf
	v_fmac_f64_e32 v[0:1], v[48:49], v[46:47]
	v_fmac_f64_e32 v[8:9], v[50:51], v[46:47]
	s_wait_loadcnt 0xd
	s_delay_alu instid0(VALU_DEP_2) | instskip(NEXT) | instid1(VALU_DEP_2)
	v_fmac_f64_e32 v[0:1], v[52:53], v[56:57]
	v_fmac_f64_e32 v[8:9], v[54:55], v[56:57]
	s_wait_loadcnt 0xc
	s_delay_alu instid0(VALU_DEP_2) | instskip(NEXT) | instid1(VALU_DEP_2)
	;; [unrolled: 4-line block ×10, first 2 shown]
	v_fmac_f64_e32 v[0:1], v[40:41], v[38:39]
	v_fmac_f64_e32 v[8:9], v[42:43], v[38:39]
	s_and_not1_b32 exec_lo, exec_lo, s4
	s_cbranch_execnz .LBB147_9
; %bb.10:
	s_or_b32 exec_lo, exec_lo, s4
.LBB147_11:
	s_delay_alu instid0(SALU_CYCLE_1)
	s_or_b32 exec_lo, exec_lo, s3
	s_cbranch_execz .LBB147_13
	s_branch .LBB147_18
.LBB147_12:
                                        ; implicit-def: $vgpr0_vgpr1
                                        ; implicit-def: $vgpr8_vgpr9
.LBB147_13:
	v_mov_b64_e32 v[0:1], 0
	v_mov_b64_e32 v[8:9], 0
	s_and_saveexec_b32 s3, s2
	s_cbranch_execz .LBB147_17
; %bb.14:
	v_mov_b64_e32 v[0:1], 0
	v_mov_b64_e32 v[8:9], 0
	v_dual_mov_b32 v11, 0 :: v_dual_lshlrev_b32 v10, 5, v13
	s_mov_b32 s2, 0
.LBB147_15:                             ; =>This Inner Loop Header: Depth=1
	global_load_b32 v46, v13, s[6:7] scale_offset
	v_lshl_add_u64 v[78:79], v[10:11], 3, s[8:9]
	s_wait_xcnt 0x0
	v_add_nc_u32_e32 v13, 8, v13
	v_add_nc_u32_e32 v10, 0x100, v10
	s_clause 0x7
	global_load_b128 v[14:17], v[78:79], off offset:48
	global_load_b128 v[18:21], v[78:79], off offset:32
	;; [unrolled: 1-line block ×3, first 2 shown]
	global_load_b128 v[26:29], v[78:79], off
	global_load_b128 v[30:33], v[78:79], off offset:176
	global_load_b128 v[34:37], v[78:79], off offset:160
	;; [unrolled: 1-line block ×4, first 2 shown]
	v_cmp_ge_i32_e32 vcc_lo, v13, v12
	s_or_b32 s2, vcc_lo, s2
	s_wait_loadcnt 0x8
	v_subrev_nc_u32_e32 v46, s12, v46
	s_delay_alu instid0(VALU_DEP_1) | instskip(NEXT) | instid1(VALU_DEP_1)
	v_dual_mov_b32 v47, v11 :: v_dual_lshlrev_b32 v46, 4, v46
	v_lshl_add_u64 v[82:83], v[46:47], 3, s[10:11]
	s_clause 0x3
	global_load_b128 v[46:49], v[82:83], off
	global_load_b128 v[50:53], v[82:83], off offset:16
	global_load_b128 v[54:57], v[82:83], off offset:32
	;; [unrolled: 1-line block ×3, first 2 shown]
	s_clause 0x3
	global_load_b128 v[62:65], v[78:79], off offset:80
	global_load_b128 v[66:69], v[78:79], off offset:64
	;; [unrolled: 1-line block ×4, first 2 shown]
	s_wait_loadcnt 0x7
	v_fmac_f64_e32 v[0:1], v[26:27], v[46:47]
	v_fmac_f64_e32 v[8:9], v[42:43], v[46:47]
	s_delay_alu instid0(VALU_DEP_2)
	v_fmac_f64_e32 v[0:1], v[28:29], v[48:49]
	global_load_b128 v[26:29], v[82:83], off offset:64
	v_fmac_f64_e32 v[8:9], v[44:45], v[48:49]
	global_load_b128 v[42:45], v[82:83], off offset:80
	global_load_b128 v[46:49], v[78:79], off offset:112
	s_wait_loadcnt 0x9
	v_fmac_f64_e32 v[0:1], v[22:23], v[50:51]
	v_fmac_f64_e32 v[8:9], v[38:39], v[50:51]
	s_delay_alu instid0(VALU_DEP_2)
	v_fmac_f64_e32 v[0:1], v[24:25], v[52:53]
	global_load_b128 v[22:25], v[78:79], off offset:96
	v_fmac_f64_e32 v[8:9], v[40:41], v[52:53]
	s_clause 0x1
	global_load_b128 v[38:41], v[78:79], off offset:240
	global_load_b128 v[50:53], v[78:79], off offset:224
	s_wait_loadcnt 0xb
	v_fmac_f64_e32 v[0:1], v[18:19], v[54:55]
	v_fmac_f64_e32 v[8:9], v[34:35], v[54:55]
	s_delay_alu instid0(VALU_DEP_2)
	v_fmac_f64_e32 v[0:1], v[20:21], v[56:57]
	s_clause 0x1
	global_load_b128 v[18:21], v[82:83], off offset:96
	global_load_b128 v[78:81], v[82:83], off offset:112
	v_fmac_f64_e32 v[8:9], v[36:37], v[56:57]
	s_wait_loadcnt 0xc
	v_fmac_f64_e32 v[0:1], v[14:15], v[58:59]
	s_delay_alu instid0(VALU_DEP_2) | instskip(NEXT) | instid1(VALU_DEP_2)
	v_fmac_f64_e32 v[8:9], v[30:31], v[58:59]
	v_fmac_f64_e32 v[0:1], v[16:17], v[60:61]
	s_delay_alu instid0(VALU_DEP_2) | instskip(SKIP_1) | instid1(VALU_DEP_2)
	v_fmac_f64_e32 v[8:9], v[32:33], v[60:61]
	s_wait_loadcnt 0x7
	v_fmac_f64_e32 v[0:1], v[66:67], v[26:27]
	s_delay_alu instid0(VALU_DEP_2) | instskip(NEXT) | instid1(VALU_DEP_2)
	v_fmac_f64_e32 v[8:9], v[74:75], v[26:27]
	v_fmac_f64_e32 v[0:1], v[68:69], v[28:29]
	s_delay_alu instid0(VALU_DEP_2) | instskip(SKIP_1) | instid1(VALU_DEP_2)
	;; [unrolled: 7-line block ×4, first 2 shown]
	v_fmac_f64_e32 v[8:9], v[52:53], v[20:21]
	s_wait_loadcnt 0x0
	v_fmac_f64_e32 v[0:1], v[46:47], v[78:79]
	s_delay_alu instid0(VALU_DEP_2) | instskip(NEXT) | instid1(VALU_DEP_2)
	v_fmac_f64_e32 v[8:9], v[38:39], v[78:79]
	v_fmac_f64_e32 v[0:1], v[48:49], v[80:81]
	s_delay_alu instid0(VALU_DEP_2)
	v_fmac_f64_e32 v[8:9], v[40:41], v[80:81]
	s_and_not1_b32 exec_lo, exec_lo, s2
	s_cbranch_execnz .LBB147_15
; %bb.16:
	s_or_b32 exec_lo, exec_lo, s2
.LBB147_17:
	s_delay_alu instid0(SALU_CYCLE_1)
	s_or_b32 exec_lo, exec_lo, s3
.LBB147_18:
	v_mbcnt_lo_u32_b32 v14, -1, 0
	s_delay_alu instid0(VALU_DEP_1) | instskip(NEXT) | instid1(VALU_DEP_1)
	v_xor_b32_e32 v10, 4, v14
	v_cmp_gt_i32_e32 vcc_lo, 32, v10
	v_cndmask_b32_e32 v10, v14, v10, vcc_lo
	s_delay_alu instid0(VALU_DEP_1)
	v_lshlrev_b32_e32 v13, 2, v10
	ds_bpermute_b32 v10, v13, v0
	ds_bpermute_b32 v11, v13, v1
	s_wait_dscnt 0x0
	v_add_f64_e32 v[0:1], v[0:1], v[10:11]
	v_xor_b32_e32 v10, 2, v14
	s_delay_alu instid0(VALU_DEP_1)
	v_cmp_gt_i32_e32 vcc_lo, 32, v10
	v_cndmask_b32_e32 v10, v14, v10, vcc_lo
	ds_bpermute_b32 v12, v13, v8
	ds_bpermute_b32 v13, v13, v9
	s_wait_dscnt 0x0
	v_dual_add_f64 v[8:9], v[8:9], v[12:13] :: v_dual_lshlrev_b32 v13, 2, v10
	ds_bpermute_b32 v10, v13, v0
	ds_bpermute_b32 v11, v13, v1
	s_wait_dscnt 0x0
	v_add_f64_e32 v[0:1], v[0:1], v[10:11]
	ds_bpermute_b32 v12, v13, v8
	ds_bpermute_b32 v13, v13, v9
	s_wait_dscnt 0x0
	v_dual_add_f64 v[10:11], v[8:9], v[12:13] :: v_dual_bitop2_b32 v8, 1, v14 bitop3:0x14
	s_delay_alu instid0(VALU_DEP_1) | instskip(SKIP_2) | instid1(VALU_DEP_2)
	v_cmp_gt_i32_e32 vcc_lo, 32, v8
	v_cndmask_b32_e32 v8, v14, v8, vcc_lo
	v_cmp_eq_u32_e32 vcc_lo, 7, v7
	v_lshlrev_b32_e32 v13, 2, v8
	ds_bpermute_b32 v8, v13, v0
	ds_bpermute_b32 v9, v13, v1
	;; [unrolled: 1-line block ×4, first 2 shown]
	s_and_b32 exec_lo, exec_lo, vcc_lo
	s_cbranch_execz .LBB147_23
; %bb.19:
	s_wait_dscnt 0x2
	v_add_f64_e32 v[8:9], v[0:1], v[8:9]
	s_wait_dscnt 0x0
	v_add_f64_e32 v[0:1], v[10:11], v[12:13]
	s_load_b64 s[0:1], s[0:1], 0x38
	s_mov_b32 s2, exec_lo
	v_cmpx_eq_f64_e32 0, v[4:5]
	s_xor_b32 s2, exec_lo, s2
	s_cbranch_execz .LBB147_21
; %bb.20:
	s_delay_alu instid0(VALU_DEP_3) | instskip(NEXT) | instid1(VALU_DEP_3)
	v_mul_f64_e32 v[8:9], v[2:3], v[8:9]
	v_dual_mul_f64 v[10:11], v[2:3], v[0:1] :: v_dual_lshlrev_b32 v0, 1, v6
                                        ; implicit-def: $vgpr6
                                        ; implicit-def: $vgpr2_vgpr3
                                        ; implicit-def: $vgpr4_vgpr5
	s_delay_alu instid0(VALU_DEP_1) | instskip(SKIP_1) | instid1(VALU_DEP_1)
	v_ashrrev_i32_e32 v1, 31, v0
	s_wait_kmcnt 0x0
	v_lshl_add_u64 v[0:1], v[0:1], 3, s[0:1]
	global_store_b128 v[0:1], v[8:11], off
                                        ; implicit-def: $vgpr8_vgpr9
                                        ; implicit-def: $vgpr0_vgpr1
.LBB147_21:
	s_wait_xcnt 0x0
	s_and_not1_saveexec_b32 s2, s2
	s_cbranch_execz .LBB147_23
; %bb.22:
	v_lshlrev_b32_e32 v6, 1, v6
	s_delay_alu instid0(VALU_DEP_1) | instskip(SKIP_1) | instid1(VALU_DEP_1)
	v_ashrrev_i32_e32 v7, 31, v6
	s_wait_kmcnt 0x0
	v_lshl_add_u64 v[14:15], v[6:7], 3, s[0:1]
	v_mul_f64_e32 v[6:7], v[2:3], v[8:9]
	v_mul_f64_e32 v[8:9], v[2:3], v[0:1]
	global_load_b128 v[10:13], v[14:15], off
	s_wait_loadcnt 0x0
	v_fmac_f64_e32 v[6:7], v[4:5], v[10:11]
	v_fmac_f64_e32 v[8:9], v[4:5], v[12:13]
	global_store_b128 v[14:15], v[6:9], off
.LBB147_23:
	s_sendmsg sendmsg(MSG_DEALLOC_VGPRS)
	s_endpgm
	.section	.rodata,"a",@progbits
	.p2align	6, 0x0
	.amdhsa_kernel _ZN9rocsparseL19gebsrmvn_2xn_kernelILj128ELj16ELj8EdEEvi20rocsparse_direction_NS_24const_host_device_scalarIT2_EEPKiS6_PKS3_S8_S4_PS3_21rocsparse_index_base_b
		.amdhsa_group_segment_fixed_size 0
		.amdhsa_private_segment_fixed_size 0
		.amdhsa_kernarg_size 72
		.amdhsa_user_sgpr_count 2
		.amdhsa_user_sgpr_dispatch_ptr 0
		.amdhsa_user_sgpr_queue_ptr 0
		.amdhsa_user_sgpr_kernarg_segment_ptr 1
		.amdhsa_user_sgpr_dispatch_id 0
		.amdhsa_user_sgpr_kernarg_preload_length 0
		.amdhsa_user_sgpr_kernarg_preload_offset 0
		.amdhsa_user_sgpr_private_segment_size 0
		.amdhsa_wavefront_size32 1
		.amdhsa_uses_dynamic_stack 0
		.amdhsa_enable_private_segment 0
		.amdhsa_system_sgpr_workgroup_id_x 1
		.amdhsa_system_sgpr_workgroup_id_y 0
		.amdhsa_system_sgpr_workgroup_id_z 0
		.amdhsa_system_sgpr_workgroup_info 0
		.amdhsa_system_vgpr_workitem_id 0
		.amdhsa_next_free_vgpr 88
		.amdhsa_next_free_sgpr 14
		.amdhsa_named_barrier_count 0
		.amdhsa_reserve_vcc 1
		.amdhsa_float_round_mode_32 0
		.amdhsa_float_round_mode_16_64 0
		.amdhsa_float_denorm_mode_32 3
		.amdhsa_float_denorm_mode_16_64 3
		.amdhsa_fp16_overflow 0
		.amdhsa_memory_ordered 1
		.amdhsa_forward_progress 1
		.amdhsa_inst_pref_size 16
		.amdhsa_round_robin_scheduling 0
		.amdhsa_exception_fp_ieee_invalid_op 0
		.amdhsa_exception_fp_denorm_src 0
		.amdhsa_exception_fp_ieee_div_zero 0
		.amdhsa_exception_fp_ieee_overflow 0
		.amdhsa_exception_fp_ieee_underflow 0
		.amdhsa_exception_fp_ieee_inexact 0
		.amdhsa_exception_int_div_zero 0
	.end_amdhsa_kernel
	.section	.text._ZN9rocsparseL19gebsrmvn_2xn_kernelILj128ELj16ELj8EdEEvi20rocsparse_direction_NS_24const_host_device_scalarIT2_EEPKiS6_PKS3_S8_S4_PS3_21rocsparse_index_base_b,"axG",@progbits,_ZN9rocsparseL19gebsrmvn_2xn_kernelILj128ELj16ELj8EdEEvi20rocsparse_direction_NS_24const_host_device_scalarIT2_EEPKiS6_PKS3_S8_S4_PS3_21rocsparse_index_base_b,comdat
.Lfunc_end147:
	.size	_ZN9rocsparseL19gebsrmvn_2xn_kernelILj128ELj16ELj8EdEEvi20rocsparse_direction_NS_24const_host_device_scalarIT2_EEPKiS6_PKS3_S8_S4_PS3_21rocsparse_index_base_b, .Lfunc_end147-_ZN9rocsparseL19gebsrmvn_2xn_kernelILj128ELj16ELj8EdEEvi20rocsparse_direction_NS_24const_host_device_scalarIT2_EEPKiS6_PKS3_S8_S4_PS3_21rocsparse_index_base_b
                                        ; -- End function
	.set _ZN9rocsparseL19gebsrmvn_2xn_kernelILj128ELj16ELj8EdEEvi20rocsparse_direction_NS_24const_host_device_scalarIT2_EEPKiS6_PKS3_S8_S4_PS3_21rocsparse_index_base_b.num_vgpr, 88
	.set _ZN9rocsparseL19gebsrmvn_2xn_kernelILj128ELj16ELj8EdEEvi20rocsparse_direction_NS_24const_host_device_scalarIT2_EEPKiS6_PKS3_S8_S4_PS3_21rocsparse_index_base_b.num_agpr, 0
	.set _ZN9rocsparseL19gebsrmvn_2xn_kernelILj128ELj16ELj8EdEEvi20rocsparse_direction_NS_24const_host_device_scalarIT2_EEPKiS6_PKS3_S8_S4_PS3_21rocsparse_index_base_b.numbered_sgpr, 14
	.set _ZN9rocsparseL19gebsrmvn_2xn_kernelILj128ELj16ELj8EdEEvi20rocsparse_direction_NS_24const_host_device_scalarIT2_EEPKiS6_PKS3_S8_S4_PS3_21rocsparse_index_base_b.num_named_barrier, 0
	.set _ZN9rocsparseL19gebsrmvn_2xn_kernelILj128ELj16ELj8EdEEvi20rocsparse_direction_NS_24const_host_device_scalarIT2_EEPKiS6_PKS3_S8_S4_PS3_21rocsparse_index_base_b.private_seg_size, 0
	.set _ZN9rocsparseL19gebsrmvn_2xn_kernelILj128ELj16ELj8EdEEvi20rocsparse_direction_NS_24const_host_device_scalarIT2_EEPKiS6_PKS3_S8_S4_PS3_21rocsparse_index_base_b.uses_vcc, 1
	.set _ZN9rocsparseL19gebsrmvn_2xn_kernelILj128ELj16ELj8EdEEvi20rocsparse_direction_NS_24const_host_device_scalarIT2_EEPKiS6_PKS3_S8_S4_PS3_21rocsparse_index_base_b.uses_flat_scratch, 0
	.set _ZN9rocsparseL19gebsrmvn_2xn_kernelILj128ELj16ELj8EdEEvi20rocsparse_direction_NS_24const_host_device_scalarIT2_EEPKiS6_PKS3_S8_S4_PS3_21rocsparse_index_base_b.has_dyn_sized_stack, 0
	.set _ZN9rocsparseL19gebsrmvn_2xn_kernelILj128ELj16ELj8EdEEvi20rocsparse_direction_NS_24const_host_device_scalarIT2_EEPKiS6_PKS3_S8_S4_PS3_21rocsparse_index_base_b.has_recursion, 0
	.set _ZN9rocsparseL19gebsrmvn_2xn_kernelILj128ELj16ELj8EdEEvi20rocsparse_direction_NS_24const_host_device_scalarIT2_EEPKiS6_PKS3_S8_S4_PS3_21rocsparse_index_base_b.has_indirect_call, 0
	.section	.AMDGPU.csdata,"",@progbits
; Kernel info:
; codeLenInByte = 2032
; TotalNumSgprs: 16
; NumVgprs: 88
; ScratchSize: 0
; MemoryBound: 1
; FloatMode: 240
; IeeeMode: 1
; LDSByteSize: 0 bytes/workgroup (compile time only)
; SGPRBlocks: 0
; VGPRBlocks: 5
; NumSGPRsForWavesPerEU: 16
; NumVGPRsForWavesPerEU: 88
; NamedBarCnt: 0
; Occupancy: 10
; WaveLimiterHint : 1
; COMPUTE_PGM_RSRC2:SCRATCH_EN: 0
; COMPUTE_PGM_RSRC2:USER_SGPR: 2
; COMPUTE_PGM_RSRC2:TRAP_HANDLER: 0
; COMPUTE_PGM_RSRC2:TGID_X_EN: 1
; COMPUTE_PGM_RSRC2:TGID_Y_EN: 0
; COMPUTE_PGM_RSRC2:TGID_Z_EN: 0
; COMPUTE_PGM_RSRC2:TIDIG_COMP_CNT: 0
	.section	.text._ZN9rocsparseL19gebsrmvn_2xn_kernelILj128ELj16ELj16EdEEvi20rocsparse_direction_NS_24const_host_device_scalarIT2_EEPKiS6_PKS3_S8_S4_PS3_21rocsparse_index_base_b,"axG",@progbits,_ZN9rocsparseL19gebsrmvn_2xn_kernelILj128ELj16ELj16EdEEvi20rocsparse_direction_NS_24const_host_device_scalarIT2_EEPKiS6_PKS3_S8_S4_PS3_21rocsparse_index_base_b,comdat
	.globl	_ZN9rocsparseL19gebsrmvn_2xn_kernelILj128ELj16ELj16EdEEvi20rocsparse_direction_NS_24const_host_device_scalarIT2_EEPKiS6_PKS3_S8_S4_PS3_21rocsparse_index_base_b ; -- Begin function _ZN9rocsparseL19gebsrmvn_2xn_kernelILj128ELj16ELj16EdEEvi20rocsparse_direction_NS_24const_host_device_scalarIT2_EEPKiS6_PKS3_S8_S4_PS3_21rocsparse_index_base_b
	.p2align	8
	.type	_ZN9rocsparseL19gebsrmvn_2xn_kernelILj128ELj16ELj16EdEEvi20rocsparse_direction_NS_24const_host_device_scalarIT2_EEPKiS6_PKS3_S8_S4_PS3_21rocsparse_index_base_b,@function
_ZN9rocsparseL19gebsrmvn_2xn_kernelILj128ELj16ELj16EdEEvi20rocsparse_direction_NS_24const_host_device_scalarIT2_EEPKiS6_PKS3_S8_S4_PS3_21rocsparse_index_base_b: ; @_ZN9rocsparseL19gebsrmvn_2xn_kernelILj128ELj16ELj16EdEEvi20rocsparse_direction_NS_24const_host_device_scalarIT2_EEPKiS6_PKS3_S8_S4_PS3_21rocsparse_index_base_b
; %bb.0:
	s_clause 0x2
	s_load_b64 s[12:13], s[0:1], 0x40
	s_load_b64 s[4:5], s[0:1], 0x8
	;; [unrolled: 1-line block ×3, first 2 shown]
	s_wait_kmcnt 0x0
	s_bitcmp1_b32 s13, 0
	v_mov_b64_e32 v[2:3], s[4:5]
	s_cselect_b32 s6, -1, 0
	s_delay_alu instid0(SALU_CYCLE_1)
	s_and_b32 vcc_lo, exec_lo, s6
	s_xor_b32 s6, s6, -1
	s_cbranch_vccnz .LBB148_2
; %bb.1:
	v_mov_b32_e32 v1, 0
	flat_load_b64 v[2:3], v1, s[4:5]
.LBB148_2:
	v_mov_b64_e32 v[4:5], s[2:3]
	s_and_not1_b32 vcc_lo, exec_lo, s6
	s_cbranch_vccnz .LBB148_4
; %bb.3:
	s_wait_xcnt 0x0
	v_mov_b32_e32 v1, 0
	flat_load_b64 v[4:5], v1, s[2:3]
.LBB148_4:
	s_wait_loadcnt_dscnt 0x0
	v_cmp_neq_f64_e32 vcc_lo, 0, v[2:3]
	s_delay_alu instid0(VALU_DEP_2) | instskip(SKIP_1) | instid1(SALU_CYCLE_1)
	v_cmp_neq_f64_e64 s2, 1.0, v[4:5]
	s_or_b32 s2, vcc_lo, s2
	s_and_saveexec_b32 s3, s2
	s_cbranch_execz .LBB148_23
; %bb.5:
	s_load_b64 s[2:3], s[0:1], 0x0
	s_bfe_u32 s4, ttmp6, 0x4000c
	s_and_b32 s5, ttmp6, 15
	s_add_co_i32 s4, s4, 1
	s_getreg_b32 s6, hwreg(HW_REG_IB_STS2, 6, 4)
	s_mul_i32 s4, ttmp9, s4
	v_lshrrev_b32_e32 v1, 4, v0
	s_add_co_i32 s5, s5, s4
	s_cmp_eq_u32 s6, 0
	s_cselect_b32 s4, ttmp9, s5
	s_delay_alu instid0(VALU_DEP_1) | instid1(SALU_CYCLE_1)
	v_lshl_or_b32 v6, s4, 3, v1
	s_wait_kmcnt 0x0
	s_delay_alu instid0(VALU_DEP_1)
	v_cmp_gt_i32_e32 vcc_lo, s2, v6
	s_and_b32 exec_lo, exec_lo, vcc_lo
	s_cbranch_execz .LBB148_23
; %bb.6:
	s_load_b256 s[4:11], s[0:1], 0x10
	v_ashrrev_i32_e32 v7, 31, v6
	s_cmp_lg_u32 s3, 0
	s_wait_kmcnt 0x0
	s_delay_alu instid0(VALU_DEP_1)
	v_lshl_add_u64 v[8:9], v[6:7], 2, s[4:5]
	v_and_b32_e32 v7, 15, v0
	global_load_b64 v[8:9], v[8:9], off
	s_wait_loadcnt 0x0
	v_subrev_nc_u32_e32 v0, s12, v8
	v_subrev_nc_u32_e32 v12, s12, v9
	s_delay_alu instid0(VALU_DEP_2) | instskip(NEXT) | instid1(VALU_DEP_1)
	v_add_nc_u32_e32 v13, v0, v7
	v_cmp_lt_i32_e64 s2, v13, v12
	s_cbranch_scc0 .LBB148_12
; %bb.7:
	v_mov_b64_e32 v[0:1], 0
	v_mov_b64_e32 v[8:9], 0
	s_and_saveexec_b32 s3, s2
	s_cbranch_execz .LBB148_11
; %bb.8:
	v_mov_b64_e32 v[0:1], 0
	v_mov_b64_e32 v[8:9], 0
	v_dual_mov_b32 v11, 0 :: v_dual_lshlrev_b32 v10, 5, v13
	v_mov_b32_e32 v14, v13
	s_mov_b32 s4, 0
.LBB148_9:                              ; =>This Inner Loop Header: Depth=1
	global_load_b32 v15, v14, s[6:7] scale_offset
	v_lshl_add_u64 v[84:85], v[10:11], 3, s[8:9]
	s_wait_xcnt 0x0
	v_add_nc_u32_e32 v14, 16, v14
	v_add_nc_u32_e32 v10, 0x200, v10
	s_delay_alu instid0(VALU_DEP_2) | instskip(SKIP_3) | instid1(VALU_DEP_1)
	v_cmp_ge_i32_e32 vcc_lo, v14, v12
	s_or_b32 s4, vcc_lo, s4
	s_wait_loadcnt 0x0
	v_subrev_nc_u32_e32 v15, s12, v15
	v_dual_mov_b32 v17, v11 :: v_dual_lshlrev_b32 v16, 4, v15
	s_delay_alu instid0(VALU_DEP_1)
	v_lshl_add_u64 v[86:87], v[16:17], 3, s[10:11]
	global_load_b128 v[16:19], v[84:85], off
	global_load_b128 v[20:23], v[86:87], off
	s_clause 0x1
	global_load_b128 v[24:27], v[84:85], off offset:16
	global_load_b128 v[28:31], v[84:85], off offset:32
	global_load_b128 v[32:35], v[86:87], off offset:16
	s_clause 0x1
	global_load_b128 v[36:39], v[84:85], off offset:48
	global_load_b128 v[40:43], v[84:85], off offset:64
	global_load_b128 v[44:47], v[86:87], off offset:32
	;; [unrolled: 4-line block ×5, first 2 shown]
	s_wait_loadcnt 0xf
	v_fmac_f64_e32 v[0:1], v[16:17], v[20:21]
	v_fmac_f64_e32 v[8:9], v[18:19], v[20:21]
	global_load_b128 v[16:19], v[84:85], off offset:176
	s_wait_loadcnt 0xf
	v_fmac_f64_e32 v[0:1], v[24:25], v[22:23]
	v_fmac_f64_e32 v[8:9], v[26:27], v[22:23]
	global_load_b128 v[20:23], v[84:85], off offset:192
	global_load_b128 v[24:27], v[86:87], off offset:96
	s_wait_loadcnt 0xf
	v_fmac_f64_e32 v[0:1], v[28:29], v[32:33]
	v_fmac_f64_e32 v[8:9], v[30:31], v[32:33]
	global_load_b128 v[28:31], v[84:85], off offset:208
	s_wait_loadcnt 0xf
	v_fmac_f64_e32 v[0:1], v[36:37], v[34:35]
	v_fmac_f64_e32 v[8:9], v[38:39], v[34:35]
	global_load_b128 v[32:35], v[84:85], off offset:224
	global_load_b128 v[36:39], v[86:87], off offset:112
	s_wait_loadcnt 0xf
	v_fmac_f64_e32 v[0:1], v[40:41], v[44:45]
	v_fmac_f64_e32 v[8:9], v[42:43], v[44:45]
	global_load_b128 v[40:43], v[84:85], off offset:240
	s_wait_loadcnt 0xf
	v_fmac_f64_e32 v[0:1], v[48:49], v[46:47]
	v_fmac_f64_e32 v[8:9], v[50:51], v[46:47]
	s_wait_loadcnt 0xd
	s_delay_alu instid0(VALU_DEP_2) | instskip(NEXT) | instid1(VALU_DEP_2)
	v_fmac_f64_e32 v[0:1], v[52:53], v[56:57]
	v_fmac_f64_e32 v[8:9], v[54:55], v[56:57]
	s_wait_loadcnt 0xc
	s_delay_alu instid0(VALU_DEP_2) | instskip(NEXT) | instid1(VALU_DEP_2)
	;; [unrolled: 4-line block ×10, first 2 shown]
	v_fmac_f64_e32 v[0:1], v[40:41], v[38:39]
	v_fmac_f64_e32 v[8:9], v[42:43], v[38:39]
	s_and_not1_b32 exec_lo, exec_lo, s4
	s_cbranch_execnz .LBB148_9
; %bb.10:
	s_or_b32 exec_lo, exec_lo, s4
.LBB148_11:
	s_delay_alu instid0(SALU_CYCLE_1)
	s_or_b32 exec_lo, exec_lo, s3
	s_cbranch_execz .LBB148_13
	s_branch .LBB148_18
.LBB148_12:
                                        ; implicit-def: $vgpr0_vgpr1
                                        ; implicit-def: $vgpr8_vgpr9
.LBB148_13:
	v_mov_b64_e32 v[0:1], 0
	v_mov_b64_e32 v[8:9], 0
	s_and_saveexec_b32 s3, s2
	s_cbranch_execz .LBB148_17
; %bb.14:
	v_mov_b64_e32 v[0:1], 0
	v_mov_b64_e32 v[8:9], 0
	v_dual_mov_b32 v11, 0 :: v_dual_lshlrev_b32 v10, 5, v13
	s_mov_b32 s2, 0
.LBB148_15:                             ; =>This Inner Loop Header: Depth=1
	global_load_b32 v46, v13, s[6:7] scale_offset
	v_lshl_add_u64 v[78:79], v[10:11], 3, s[8:9]
	s_wait_xcnt 0x0
	v_add_nc_u32_e32 v13, 16, v13
	v_add_nc_u32_e32 v10, 0x200, v10
	s_clause 0x7
	global_load_b128 v[14:17], v[78:79], off offset:48
	global_load_b128 v[18:21], v[78:79], off offset:32
	;; [unrolled: 1-line block ×3, first 2 shown]
	global_load_b128 v[26:29], v[78:79], off
	global_load_b128 v[30:33], v[78:79], off offset:176
	global_load_b128 v[34:37], v[78:79], off offset:160
	;; [unrolled: 1-line block ×4, first 2 shown]
	v_cmp_ge_i32_e32 vcc_lo, v13, v12
	s_or_b32 s2, vcc_lo, s2
	s_wait_loadcnt 0x8
	v_subrev_nc_u32_e32 v46, s12, v46
	s_delay_alu instid0(VALU_DEP_1) | instskip(NEXT) | instid1(VALU_DEP_1)
	v_dual_mov_b32 v47, v11 :: v_dual_lshlrev_b32 v46, 4, v46
	v_lshl_add_u64 v[82:83], v[46:47], 3, s[10:11]
	s_clause 0x3
	global_load_b128 v[46:49], v[82:83], off
	global_load_b128 v[50:53], v[82:83], off offset:16
	global_load_b128 v[54:57], v[82:83], off offset:32
	;; [unrolled: 1-line block ×3, first 2 shown]
	s_clause 0x3
	global_load_b128 v[62:65], v[78:79], off offset:80
	global_load_b128 v[66:69], v[78:79], off offset:64
	;; [unrolled: 1-line block ×4, first 2 shown]
	s_wait_loadcnt 0x7
	v_fmac_f64_e32 v[0:1], v[26:27], v[46:47]
	v_fmac_f64_e32 v[8:9], v[42:43], v[46:47]
	s_delay_alu instid0(VALU_DEP_2)
	v_fmac_f64_e32 v[0:1], v[28:29], v[48:49]
	global_load_b128 v[26:29], v[82:83], off offset:64
	v_fmac_f64_e32 v[8:9], v[44:45], v[48:49]
	global_load_b128 v[42:45], v[82:83], off offset:80
	global_load_b128 v[46:49], v[78:79], off offset:112
	s_wait_loadcnt 0x9
	v_fmac_f64_e32 v[0:1], v[22:23], v[50:51]
	v_fmac_f64_e32 v[8:9], v[38:39], v[50:51]
	s_delay_alu instid0(VALU_DEP_2)
	v_fmac_f64_e32 v[0:1], v[24:25], v[52:53]
	global_load_b128 v[22:25], v[78:79], off offset:96
	v_fmac_f64_e32 v[8:9], v[40:41], v[52:53]
	s_clause 0x1
	global_load_b128 v[38:41], v[78:79], off offset:240
	global_load_b128 v[50:53], v[78:79], off offset:224
	s_wait_loadcnt 0xb
	v_fmac_f64_e32 v[0:1], v[18:19], v[54:55]
	v_fmac_f64_e32 v[8:9], v[34:35], v[54:55]
	s_delay_alu instid0(VALU_DEP_2)
	v_fmac_f64_e32 v[0:1], v[20:21], v[56:57]
	s_clause 0x1
	global_load_b128 v[18:21], v[82:83], off offset:96
	global_load_b128 v[78:81], v[82:83], off offset:112
	v_fmac_f64_e32 v[8:9], v[36:37], v[56:57]
	s_wait_loadcnt 0xc
	v_fmac_f64_e32 v[0:1], v[14:15], v[58:59]
	s_delay_alu instid0(VALU_DEP_2) | instskip(NEXT) | instid1(VALU_DEP_2)
	v_fmac_f64_e32 v[8:9], v[30:31], v[58:59]
	v_fmac_f64_e32 v[0:1], v[16:17], v[60:61]
	s_delay_alu instid0(VALU_DEP_2) | instskip(SKIP_1) | instid1(VALU_DEP_2)
	v_fmac_f64_e32 v[8:9], v[32:33], v[60:61]
	s_wait_loadcnt 0x7
	v_fmac_f64_e32 v[0:1], v[66:67], v[26:27]
	s_delay_alu instid0(VALU_DEP_2) | instskip(NEXT) | instid1(VALU_DEP_2)
	v_fmac_f64_e32 v[8:9], v[74:75], v[26:27]
	v_fmac_f64_e32 v[0:1], v[68:69], v[28:29]
	s_delay_alu instid0(VALU_DEP_2) | instskip(SKIP_1) | instid1(VALU_DEP_2)
	v_fmac_f64_e32 v[8:9], v[76:77], v[28:29]
	s_wait_loadcnt 0x6
	v_fmac_f64_e32 v[0:1], v[62:63], v[42:43]
	s_delay_alu instid0(VALU_DEP_2) | instskip(NEXT) | instid1(VALU_DEP_2)
	v_fmac_f64_e32 v[8:9], v[70:71], v[42:43]
	v_fmac_f64_e32 v[0:1], v[64:65], v[44:45]
	s_delay_alu instid0(VALU_DEP_2) | instskip(SKIP_1) | instid1(VALU_DEP_2)
	v_fmac_f64_e32 v[8:9], v[72:73], v[44:45]
	s_wait_loadcnt 0x1
	v_fmac_f64_e32 v[0:1], v[22:23], v[18:19]
	s_delay_alu instid0(VALU_DEP_2) | instskip(NEXT) | instid1(VALU_DEP_2)
	v_fmac_f64_e32 v[8:9], v[50:51], v[18:19]
	v_fmac_f64_e32 v[0:1], v[24:25], v[20:21]
	s_delay_alu instid0(VALU_DEP_2) | instskip(SKIP_1) | instid1(VALU_DEP_2)
	v_fmac_f64_e32 v[8:9], v[52:53], v[20:21]
	s_wait_loadcnt 0x0
	v_fmac_f64_e32 v[0:1], v[46:47], v[78:79]
	s_delay_alu instid0(VALU_DEP_2) | instskip(NEXT) | instid1(VALU_DEP_2)
	v_fmac_f64_e32 v[8:9], v[38:39], v[78:79]
	v_fmac_f64_e32 v[0:1], v[48:49], v[80:81]
	s_delay_alu instid0(VALU_DEP_2)
	v_fmac_f64_e32 v[8:9], v[40:41], v[80:81]
	s_and_not1_b32 exec_lo, exec_lo, s2
	s_cbranch_execnz .LBB148_15
; %bb.16:
	s_or_b32 exec_lo, exec_lo, s2
.LBB148_17:
	s_delay_alu instid0(SALU_CYCLE_1)
	s_or_b32 exec_lo, exec_lo, s3
.LBB148_18:
	v_mbcnt_lo_u32_b32 v14, -1, 0
	s_delay_alu instid0(VALU_DEP_1) | instskip(NEXT) | instid1(VALU_DEP_1)
	v_xor_b32_e32 v10, 8, v14
	v_cmp_gt_i32_e32 vcc_lo, 32, v10
	v_cndmask_b32_e32 v10, v14, v10, vcc_lo
	s_delay_alu instid0(VALU_DEP_1)
	v_lshlrev_b32_e32 v13, 2, v10
	ds_bpermute_b32 v10, v13, v0
	ds_bpermute_b32 v11, v13, v1
	s_wait_dscnt 0x0
	v_add_f64_e32 v[0:1], v[0:1], v[10:11]
	v_xor_b32_e32 v10, 4, v14
	s_delay_alu instid0(VALU_DEP_1)
	v_cmp_gt_i32_e32 vcc_lo, 32, v10
	v_cndmask_b32_e32 v10, v14, v10, vcc_lo
	ds_bpermute_b32 v12, v13, v8
	ds_bpermute_b32 v13, v13, v9
	s_wait_dscnt 0x0
	v_dual_add_f64 v[8:9], v[8:9], v[12:13] :: v_dual_lshlrev_b32 v13, 2, v10
	ds_bpermute_b32 v10, v13, v0
	ds_bpermute_b32 v11, v13, v1
	s_wait_dscnt 0x0
	v_add_f64_e32 v[0:1], v[0:1], v[10:11]
	v_xor_b32_e32 v10, 2, v14
	s_delay_alu instid0(VALU_DEP_1)
	v_cmp_gt_i32_e32 vcc_lo, 32, v10
	v_cndmask_b32_e32 v10, v14, v10, vcc_lo
	ds_bpermute_b32 v12, v13, v8
	ds_bpermute_b32 v13, v13, v9
	s_wait_dscnt 0x0
	v_dual_add_f64 v[8:9], v[8:9], v[12:13] :: v_dual_lshlrev_b32 v13, 2, v10
	ds_bpermute_b32 v10, v13, v0
	ds_bpermute_b32 v11, v13, v1
	s_wait_dscnt 0x0
	v_add_f64_e32 v[0:1], v[0:1], v[10:11]
	ds_bpermute_b32 v12, v13, v8
	ds_bpermute_b32 v13, v13, v9
	s_wait_dscnt 0x0
	v_dual_add_f64 v[10:11], v[8:9], v[12:13] :: v_dual_bitop2_b32 v8, 1, v14 bitop3:0x14
	s_delay_alu instid0(VALU_DEP_1) | instskip(SKIP_2) | instid1(VALU_DEP_2)
	v_cmp_gt_i32_e32 vcc_lo, 32, v8
	v_cndmask_b32_e32 v8, v14, v8, vcc_lo
	v_cmp_eq_u32_e32 vcc_lo, 15, v7
	v_lshlrev_b32_e32 v13, 2, v8
	ds_bpermute_b32 v8, v13, v0
	ds_bpermute_b32 v9, v13, v1
	;; [unrolled: 1-line block ×4, first 2 shown]
	s_and_b32 exec_lo, exec_lo, vcc_lo
	s_cbranch_execz .LBB148_23
; %bb.19:
	s_wait_dscnt 0x2
	v_add_f64_e32 v[8:9], v[0:1], v[8:9]
	s_wait_dscnt 0x0
	v_add_f64_e32 v[0:1], v[10:11], v[12:13]
	s_load_b64 s[0:1], s[0:1], 0x38
	s_mov_b32 s2, exec_lo
	v_cmpx_eq_f64_e32 0, v[4:5]
	s_xor_b32 s2, exec_lo, s2
	s_cbranch_execz .LBB148_21
; %bb.20:
	s_delay_alu instid0(VALU_DEP_3) | instskip(NEXT) | instid1(VALU_DEP_3)
	v_mul_f64_e32 v[8:9], v[2:3], v[8:9]
	v_dual_mul_f64 v[10:11], v[2:3], v[0:1] :: v_dual_lshlrev_b32 v0, 1, v6
                                        ; implicit-def: $vgpr6
                                        ; implicit-def: $vgpr2_vgpr3
                                        ; implicit-def: $vgpr4_vgpr5
	s_delay_alu instid0(VALU_DEP_1) | instskip(SKIP_1) | instid1(VALU_DEP_1)
	v_ashrrev_i32_e32 v1, 31, v0
	s_wait_kmcnt 0x0
	v_lshl_add_u64 v[0:1], v[0:1], 3, s[0:1]
	global_store_b128 v[0:1], v[8:11], off
                                        ; implicit-def: $vgpr8_vgpr9
                                        ; implicit-def: $vgpr0_vgpr1
.LBB148_21:
	s_wait_xcnt 0x0
	s_and_not1_saveexec_b32 s2, s2
	s_cbranch_execz .LBB148_23
; %bb.22:
	v_lshlrev_b32_e32 v6, 1, v6
	s_delay_alu instid0(VALU_DEP_1) | instskip(SKIP_1) | instid1(VALU_DEP_1)
	v_ashrrev_i32_e32 v7, 31, v6
	s_wait_kmcnt 0x0
	v_lshl_add_u64 v[14:15], v[6:7], 3, s[0:1]
	v_mul_f64_e32 v[6:7], v[2:3], v[8:9]
	v_mul_f64_e32 v[8:9], v[2:3], v[0:1]
	global_load_b128 v[10:13], v[14:15], off
	s_wait_loadcnt 0x0
	v_fmac_f64_e32 v[6:7], v[4:5], v[10:11]
	v_fmac_f64_e32 v[8:9], v[4:5], v[12:13]
	global_store_b128 v[14:15], v[6:9], off
.LBB148_23:
	s_sendmsg sendmsg(MSG_DEALLOC_VGPRS)
	s_endpgm
	.section	.rodata,"a",@progbits
	.p2align	6, 0x0
	.amdhsa_kernel _ZN9rocsparseL19gebsrmvn_2xn_kernelILj128ELj16ELj16EdEEvi20rocsparse_direction_NS_24const_host_device_scalarIT2_EEPKiS6_PKS3_S8_S4_PS3_21rocsparse_index_base_b
		.amdhsa_group_segment_fixed_size 0
		.amdhsa_private_segment_fixed_size 0
		.amdhsa_kernarg_size 72
		.amdhsa_user_sgpr_count 2
		.amdhsa_user_sgpr_dispatch_ptr 0
		.amdhsa_user_sgpr_queue_ptr 0
		.amdhsa_user_sgpr_kernarg_segment_ptr 1
		.amdhsa_user_sgpr_dispatch_id 0
		.amdhsa_user_sgpr_kernarg_preload_length 0
		.amdhsa_user_sgpr_kernarg_preload_offset 0
		.amdhsa_user_sgpr_private_segment_size 0
		.amdhsa_wavefront_size32 1
		.amdhsa_uses_dynamic_stack 0
		.amdhsa_enable_private_segment 0
		.amdhsa_system_sgpr_workgroup_id_x 1
		.amdhsa_system_sgpr_workgroup_id_y 0
		.amdhsa_system_sgpr_workgroup_id_z 0
		.amdhsa_system_sgpr_workgroup_info 0
		.amdhsa_system_vgpr_workitem_id 0
		.amdhsa_next_free_vgpr 88
		.amdhsa_next_free_sgpr 14
		.amdhsa_named_barrier_count 0
		.amdhsa_reserve_vcc 1
		.amdhsa_float_round_mode_32 0
		.amdhsa_float_round_mode_16_64 0
		.amdhsa_float_denorm_mode_32 3
		.amdhsa_float_denorm_mode_16_64 3
		.amdhsa_fp16_overflow 0
		.amdhsa_memory_ordered 1
		.amdhsa_forward_progress 1
		.amdhsa_inst_pref_size 17
		.amdhsa_round_robin_scheduling 0
		.amdhsa_exception_fp_ieee_invalid_op 0
		.amdhsa_exception_fp_denorm_src 0
		.amdhsa_exception_fp_ieee_div_zero 0
		.amdhsa_exception_fp_ieee_overflow 0
		.amdhsa_exception_fp_ieee_underflow 0
		.amdhsa_exception_fp_ieee_inexact 0
		.amdhsa_exception_int_div_zero 0
	.end_amdhsa_kernel
	.section	.text._ZN9rocsparseL19gebsrmvn_2xn_kernelILj128ELj16ELj16EdEEvi20rocsparse_direction_NS_24const_host_device_scalarIT2_EEPKiS6_PKS3_S8_S4_PS3_21rocsparse_index_base_b,"axG",@progbits,_ZN9rocsparseL19gebsrmvn_2xn_kernelILj128ELj16ELj16EdEEvi20rocsparse_direction_NS_24const_host_device_scalarIT2_EEPKiS6_PKS3_S8_S4_PS3_21rocsparse_index_base_b,comdat
.Lfunc_end148:
	.size	_ZN9rocsparseL19gebsrmvn_2xn_kernelILj128ELj16ELj16EdEEvi20rocsparse_direction_NS_24const_host_device_scalarIT2_EEPKiS6_PKS3_S8_S4_PS3_21rocsparse_index_base_b, .Lfunc_end148-_ZN9rocsparseL19gebsrmvn_2xn_kernelILj128ELj16ELj16EdEEvi20rocsparse_direction_NS_24const_host_device_scalarIT2_EEPKiS6_PKS3_S8_S4_PS3_21rocsparse_index_base_b
                                        ; -- End function
	.set _ZN9rocsparseL19gebsrmvn_2xn_kernelILj128ELj16ELj16EdEEvi20rocsparse_direction_NS_24const_host_device_scalarIT2_EEPKiS6_PKS3_S8_S4_PS3_21rocsparse_index_base_b.num_vgpr, 88
	.set _ZN9rocsparseL19gebsrmvn_2xn_kernelILj128ELj16ELj16EdEEvi20rocsparse_direction_NS_24const_host_device_scalarIT2_EEPKiS6_PKS3_S8_S4_PS3_21rocsparse_index_base_b.num_agpr, 0
	.set _ZN9rocsparseL19gebsrmvn_2xn_kernelILj128ELj16ELj16EdEEvi20rocsparse_direction_NS_24const_host_device_scalarIT2_EEPKiS6_PKS3_S8_S4_PS3_21rocsparse_index_base_b.numbered_sgpr, 14
	.set _ZN9rocsparseL19gebsrmvn_2xn_kernelILj128ELj16ELj16EdEEvi20rocsparse_direction_NS_24const_host_device_scalarIT2_EEPKiS6_PKS3_S8_S4_PS3_21rocsparse_index_base_b.num_named_barrier, 0
	.set _ZN9rocsparseL19gebsrmvn_2xn_kernelILj128ELj16ELj16EdEEvi20rocsparse_direction_NS_24const_host_device_scalarIT2_EEPKiS6_PKS3_S8_S4_PS3_21rocsparse_index_base_b.private_seg_size, 0
	.set _ZN9rocsparseL19gebsrmvn_2xn_kernelILj128ELj16ELj16EdEEvi20rocsparse_direction_NS_24const_host_device_scalarIT2_EEPKiS6_PKS3_S8_S4_PS3_21rocsparse_index_base_b.uses_vcc, 1
	.set _ZN9rocsparseL19gebsrmvn_2xn_kernelILj128ELj16ELj16EdEEvi20rocsparse_direction_NS_24const_host_device_scalarIT2_EEPKiS6_PKS3_S8_S4_PS3_21rocsparse_index_base_b.uses_flat_scratch, 0
	.set _ZN9rocsparseL19gebsrmvn_2xn_kernelILj128ELj16ELj16EdEEvi20rocsparse_direction_NS_24const_host_device_scalarIT2_EEPKiS6_PKS3_S8_S4_PS3_21rocsparse_index_base_b.has_dyn_sized_stack, 0
	.set _ZN9rocsparseL19gebsrmvn_2xn_kernelILj128ELj16ELj16EdEEvi20rocsparse_direction_NS_24const_host_device_scalarIT2_EEPKiS6_PKS3_S8_S4_PS3_21rocsparse_index_base_b.has_recursion, 0
	.set _ZN9rocsparseL19gebsrmvn_2xn_kernelILj128ELj16ELj16EdEEvi20rocsparse_direction_NS_24const_host_device_scalarIT2_EEPKiS6_PKS3_S8_S4_PS3_21rocsparse_index_base_b.has_indirect_call, 0
	.section	.AMDGPU.csdata,"",@progbits
; Kernel info:
; codeLenInByte = 2104
; TotalNumSgprs: 16
; NumVgprs: 88
; ScratchSize: 0
; MemoryBound: 1
; FloatMode: 240
; IeeeMode: 1
; LDSByteSize: 0 bytes/workgroup (compile time only)
; SGPRBlocks: 0
; VGPRBlocks: 5
; NumSGPRsForWavesPerEU: 16
; NumVGPRsForWavesPerEU: 88
; NamedBarCnt: 0
; Occupancy: 10
; WaveLimiterHint : 1
; COMPUTE_PGM_RSRC2:SCRATCH_EN: 0
; COMPUTE_PGM_RSRC2:USER_SGPR: 2
; COMPUTE_PGM_RSRC2:TRAP_HANDLER: 0
; COMPUTE_PGM_RSRC2:TGID_X_EN: 1
; COMPUTE_PGM_RSRC2:TGID_Y_EN: 0
; COMPUTE_PGM_RSRC2:TGID_Z_EN: 0
; COMPUTE_PGM_RSRC2:TIDIG_COMP_CNT: 0
	.section	.text._ZN9rocsparseL19gebsrmvn_2xn_kernelILj128ELj16ELj32EdEEvi20rocsparse_direction_NS_24const_host_device_scalarIT2_EEPKiS6_PKS3_S8_S4_PS3_21rocsparse_index_base_b,"axG",@progbits,_ZN9rocsparseL19gebsrmvn_2xn_kernelILj128ELj16ELj32EdEEvi20rocsparse_direction_NS_24const_host_device_scalarIT2_EEPKiS6_PKS3_S8_S4_PS3_21rocsparse_index_base_b,comdat
	.globl	_ZN9rocsparseL19gebsrmvn_2xn_kernelILj128ELj16ELj32EdEEvi20rocsparse_direction_NS_24const_host_device_scalarIT2_EEPKiS6_PKS3_S8_S4_PS3_21rocsparse_index_base_b ; -- Begin function _ZN9rocsparseL19gebsrmvn_2xn_kernelILj128ELj16ELj32EdEEvi20rocsparse_direction_NS_24const_host_device_scalarIT2_EEPKiS6_PKS3_S8_S4_PS3_21rocsparse_index_base_b
	.p2align	8
	.type	_ZN9rocsparseL19gebsrmvn_2xn_kernelILj128ELj16ELj32EdEEvi20rocsparse_direction_NS_24const_host_device_scalarIT2_EEPKiS6_PKS3_S8_S4_PS3_21rocsparse_index_base_b,@function
_ZN9rocsparseL19gebsrmvn_2xn_kernelILj128ELj16ELj32EdEEvi20rocsparse_direction_NS_24const_host_device_scalarIT2_EEPKiS6_PKS3_S8_S4_PS3_21rocsparse_index_base_b: ; @_ZN9rocsparseL19gebsrmvn_2xn_kernelILj128ELj16ELj32EdEEvi20rocsparse_direction_NS_24const_host_device_scalarIT2_EEPKiS6_PKS3_S8_S4_PS3_21rocsparse_index_base_b
; %bb.0:
	s_clause 0x2
	s_load_b64 s[12:13], s[0:1], 0x40
	s_load_b64 s[4:5], s[0:1], 0x8
	;; [unrolled: 1-line block ×3, first 2 shown]
	s_wait_kmcnt 0x0
	s_bitcmp1_b32 s13, 0
	v_mov_b64_e32 v[2:3], s[4:5]
	s_cselect_b32 s6, -1, 0
	s_delay_alu instid0(SALU_CYCLE_1)
	s_and_b32 vcc_lo, exec_lo, s6
	s_xor_b32 s6, s6, -1
	s_cbranch_vccnz .LBB149_2
; %bb.1:
	v_mov_b32_e32 v1, 0
	flat_load_b64 v[2:3], v1, s[4:5]
.LBB149_2:
	v_mov_b64_e32 v[4:5], s[2:3]
	s_and_not1_b32 vcc_lo, exec_lo, s6
	s_cbranch_vccnz .LBB149_4
; %bb.3:
	s_wait_xcnt 0x0
	v_mov_b32_e32 v1, 0
	flat_load_b64 v[4:5], v1, s[2:3]
.LBB149_4:
	s_wait_loadcnt_dscnt 0x0
	v_cmp_neq_f64_e32 vcc_lo, 0, v[2:3]
	s_delay_alu instid0(VALU_DEP_2) | instskip(SKIP_1) | instid1(SALU_CYCLE_1)
	v_cmp_neq_f64_e64 s2, 1.0, v[4:5]
	s_or_b32 s2, vcc_lo, s2
	s_and_saveexec_b32 s3, s2
	s_cbranch_execz .LBB149_23
; %bb.5:
	s_load_b64 s[2:3], s[0:1], 0x0
	s_bfe_u32 s4, ttmp6, 0x4000c
	s_and_b32 s5, ttmp6, 15
	s_add_co_i32 s4, s4, 1
	s_getreg_b32 s6, hwreg(HW_REG_IB_STS2, 6, 4)
	s_mul_i32 s4, ttmp9, s4
	v_lshrrev_b32_e32 v1, 5, v0
	s_add_co_i32 s5, s5, s4
	s_cmp_eq_u32 s6, 0
	s_cselect_b32 s4, ttmp9, s5
	s_delay_alu instid0(VALU_DEP_1) | instid1(SALU_CYCLE_1)
	v_lshl_or_b32 v6, s4, 2, v1
	s_wait_kmcnt 0x0
	s_delay_alu instid0(VALU_DEP_1)
	v_cmp_gt_i32_e32 vcc_lo, s2, v6
	s_and_b32 exec_lo, exec_lo, vcc_lo
	s_cbranch_execz .LBB149_23
; %bb.6:
	s_load_b256 s[4:11], s[0:1], 0x10
	v_ashrrev_i32_e32 v7, 31, v6
	s_cmp_lg_u32 s3, 0
	s_wait_kmcnt 0x0
	s_delay_alu instid0(VALU_DEP_1)
	v_lshl_add_u64 v[8:9], v[6:7], 2, s[4:5]
	v_and_b32_e32 v7, 31, v0
	global_load_b64 v[8:9], v[8:9], off
	s_wait_loadcnt 0x0
	v_subrev_nc_u32_e32 v0, s12, v8
	v_subrev_nc_u32_e32 v12, s12, v9
	s_delay_alu instid0(VALU_DEP_2) | instskip(NEXT) | instid1(VALU_DEP_1)
	v_add_nc_u32_e32 v13, v0, v7
	v_cmp_lt_i32_e64 s2, v13, v12
	s_cbranch_scc0 .LBB149_12
; %bb.7:
	v_mov_b64_e32 v[0:1], 0
	v_mov_b64_e32 v[8:9], 0
	s_and_saveexec_b32 s3, s2
	s_cbranch_execz .LBB149_11
; %bb.8:
	v_mov_b64_e32 v[0:1], 0
	v_mov_b64_e32 v[8:9], 0
	v_dual_mov_b32 v11, 0 :: v_dual_lshlrev_b32 v10, 5, v13
	v_mov_b32_e32 v14, v13
	s_mov_b32 s4, 0
.LBB149_9:                              ; =>This Inner Loop Header: Depth=1
	global_load_b32 v15, v14, s[6:7] scale_offset
	v_lshl_add_u64 v[84:85], v[10:11], 3, s[8:9]
	s_wait_xcnt 0x0
	v_add_nc_u32_e32 v14, 32, v14
	v_add_nc_u32_e32 v10, 0x400, v10
	s_delay_alu instid0(VALU_DEP_2) | instskip(SKIP_3) | instid1(VALU_DEP_1)
	v_cmp_ge_i32_e32 vcc_lo, v14, v12
	s_or_b32 s4, vcc_lo, s4
	s_wait_loadcnt 0x0
	v_subrev_nc_u32_e32 v15, s12, v15
	v_dual_mov_b32 v17, v11 :: v_dual_lshlrev_b32 v16, 4, v15
	s_delay_alu instid0(VALU_DEP_1)
	v_lshl_add_u64 v[86:87], v[16:17], 3, s[10:11]
	global_load_b128 v[16:19], v[84:85], off
	global_load_b128 v[20:23], v[86:87], off
	s_clause 0x1
	global_load_b128 v[24:27], v[84:85], off offset:16
	global_load_b128 v[28:31], v[84:85], off offset:32
	global_load_b128 v[32:35], v[86:87], off offset:16
	s_clause 0x1
	global_load_b128 v[36:39], v[84:85], off offset:48
	global_load_b128 v[40:43], v[84:85], off offset:64
	global_load_b128 v[44:47], v[86:87], off offset:32
	s_clause 0x1
	global_load_b128 v[48:51], v[84:85], off offset:80
	global_load_b128 v[52:55], v[84:85], off offset:96
	global_load_b128 v[56:59], v[86:87], off offset:48
	s_clause 0x1
	global_load_b128 v[60:63], v[84:85], off offset:112
	global_load_b128 v[64:67], v[84:85], off offset:128
	global_load_b128 v[68:71], v[86:87], off offset:64
	s_clause 0x1
	global_load_b128 v[72:75], v[84:85], off offset:144
	global_load_b128 v[76:79], v[84:85], off offset:160
	global_load_b128 v[80:83], v[86:87], off offset:80
	s_wait_loadcnt 0xf
	v_fmac_f64_e32 v[0:1], v[16:17], v[20:21]
	v_fmac_f64_e32 v[8:9], v[18:19], v[20:21]
	global_load_b128 v[16:19], v[84:85], off offset:176
	s_wait_loadcnt 0xf
	v_fmac_f64_e32 v[0:1], v[24:25], v[22:23]
	v_fmac_f64_e32 v[8:9], v[26:27], v[22:23]
	global_load_b128 v[20:23], v[84:85], off offset:192
	global_load_b128 v[24:27], v[86:87], off offset:96
	s_wait_loadcnt 0xf
	v_fmac_f64_e32 v[0:1], v[28:29], v[32:33]
	v_fmac_f64_e32 v[8:9], v[30:31], v[32:33]
	global_load_b128 v[28:31], v[84:85], off offset:208
	s_wait_loadcnt 0xf
	v_fmac_f64_e32 v[0:1], v[36:37], v[34:35]
	v_fmac_f64_e32 v[8:9], v[38:39], v[34:35]
	global_load_b128 v[32:35], v[84:85], off offset:224
	global_load_b128 v[36:39], v[86:87], off offset:112
	s_wait_loadcnt 0xf
	v_fmac_f64_e32 v[0:1], v[40:41], v[44:45]
	v_fmac_f64_e32 v[8:9], v[42:43], v[44:45]
	global_load_b128 v[40:43], v[84:85], off offset:240
	s_wait_loadcnt 0xf
	v_fmac_f64_e32 v[0:1], v[48:49], v[46:47]
	v_fmac_f64_e32 v[8:9], v[50:51], v[46:47]
	s_wait_loadcnt 0xd
	s_delay_alu instid0(VALU_DEP_2) | instskip(NEXT) | instid1(VALU_DEP_2)
	v_fmac_f64_e32 v[0:1], v[52:53], v[56:57]
	v_fmac_f64_e32 v[8:9], v[54:55], v[56:57]
	s_wait_loadcnt 0xc
	s_delay_alu instid0(VALU_DEP_2) | instskip(NEXT) | instid1(VALU_DEP_2)
	;; [unrolled: 4-line block ×10, first 2 shown]
	v_fmac_f64_e32 v[0:1], v[40:41], v[38:39]
	v_fmac_f64_e32 v[8:9], v[42:43], v[38:39]
	s_and_not1_b32 exec_lo, exec_lo, s4
	s_cbranch_execnz .LBB149_9
; %bb.10:
	s_or_b32 exec_lo, exec_lo, s4
.LBB149_11:
	s_delay_alu instid0(SALU_CYCLE_1)
	s_or_b32 exec_lo, exec_lo, s3
	s_cbranch_execz .LBB149_13
	s_branch .LBB149_18
.LBB149_12:
                                        ; implicit-def: $vgpr0_vgpr1
                                        ; implicit-def: $vgpr8_vgpr9
.LBB149_13:
	v_mov_b64_e32 v[0:1], 0
	v_mov_b64_e32 v[8:9], 0
	s_and_saveexec_b32 s3, s2
	s_cbranch_execz .LBB149_17
; %bb.14:
	v_mov_b64_e32 v[0:1], 0
	v_mov_b64_e32 v[8:9], 0
	v_dual_mov_b32 v11, 0 :: v_dual_lshlrev_b32 v10, 5, v13
	s_mov_b32 s2, 0
.LBB149_15:                             ; =>This Inner Loop Header: Depth=1
	global_load_b32 v46, v13, s[6:7] scale_offset
	v_lshl_add_u64 v[78:79], v[10:11], 3, s[8:9]
	s_wait_xcnt 0x0
	v_add_nc_u32_e32 v13, 32, v13
	v_add_nc_u32_e32 v10, 0x400, v10
	s_clause 0x7
	global_load_b128 v[14:17], v[78:79], off offset:48
	global_load_b128 v[18:21], v[78:79], off offset:32
	;; [unrolled: 1-line block ×3, first 2 shown]
	global_load_b128 v[26:29], v[78:79], off
	global_load_b128 v[30:33], v[78:79], off offset:176
	global_load_b128 v[34:37], v[78:79], off offset:160
	global_load_b128 v[38:41], v[78:79], off offset:144
	global_load_b128 v[42:45], v[78:79], off offset:128
	v_cmp_ge_i32_e32 vcc_lo, v13, v12
	s_or_b32 s2, vcc_lo, s2
	s_wait_loadcnt 0x8
	v_subrev_nc_u32_e32 v46, s12, v46
	s_delay_alu instid0(VALU_DEP_1) | instskip(NEXT) | instid1(VALU_DEP_1)
	v_dual_mov_b32 v47, v11 :: v_dual_lshlrev_b32 v46, 4, v46
	v_lshl_add_u64 v[82:83], v[46:47], 3, s[10:11]
	s_clause 0x3
	global_load_b128 v[46:49], v[82:83], off
	global_load_b128 v[50:53], v[82:83], off offset:16
	global_load_b128 v[54:57], v[82:83], off offset:32
	;; [unrolled: 1-line block ×3, first 2 shown]
	s_clause 0x3
	global_load_b128 v[62:65], v[78:79], off offset:80
	global_load_b128 v[66:69], v[78:79], off offset:64
	;; [unrolled: 1-line block ×4, first 2 shown]
	s_wait_loadcnt 0x7
	v_fmac_f64_e32 v[0:1], v[26:27], v[46:47]
	v_fmac_f64_e32 v[8:9], v[42:43], v[46:47]
	s_delay_alu instid0(VALU_DEP_2)
	v_fmac_f64_e32 v[0:1], v[28:29], v[48:49]
	global_load_b128 v[26:29], v[82:83], off offset:64
	v_fmac_f64_e32 v[8:9], v[44:45], v[48:49]
	global_load_b128 v[42:45], v[82:83], off offset:80
	global_load_b128 v[46:49], v[78:79], off offset:112
	s_wait_loadcnt 0x9
	v_fmac_f64_e32 v[0:1], v[22:23], v[50:51]
	v_fmac_f64_e32 v[8:9], v[38:39], v[50:51]
	s_delay_alu instid0(VALU_DEP_2)
	v_fmac_f64_e32 v[0:1], v[24:25], v[52:53]
	global_load_b128 v[22:25], v[78:79], off offset:96
	v_fmac_f64_e32 v[8:9], v[40:41], v[52:53]
	s_clause 0x1
	global_load_b128 v[38:41], v[78:79], off offset:240
	global_load_b128 v[50:53], v[78:79], off offset:224
	s_wait_loadcnt 0xb
	v_fmac_f64_e32 v[0:1], v[18:19], v[54:55]
	v_fmac_f64_e32 v[8:9], v[34:35], v[54:55]
	s_delay_alu instid0(VALU_DEP_2)
	v_fmac_f64_e32 v[0:1], v[20:21], v[56:57]
	s_clause 0x1
	global_load_b128 v[18:21], v[82:83], off offset:96
	global_load_b128 v[78:81], v[82:83], off offset:112
	v_fmac_f64_e32 v[8:9], v[36:37], v[56:57]
	s_wait_loadcnt 0xc
	v_fmac_f64_e32 v[0:1], v[14:15], v[58:59]
	s_delay_alu instid0(VALU_DEP_2) | instskip(NEXT) | instid1(VALU_DEP_2)
	v_fmac_f64_e32 v[8:9], v[30:31], v[58:59]
	v_fmac_f64_e32 v[0:1], v[16:17], v[60:61]
	s_delay_alu instid0(VALU_DEP_2) | instskip(SKIP_1) | instid1(VALU_DEP_2)
	v_fmac_f64_e32 v[8:9], v[32:33], v[60:61]
	s_wait_loadcnt 0x7
	v_fmac_f64_e32 v[0:1], v[66:67], v[26:27]
	s_delay_alu instid0(VALU_DEP_2) | instskip(NEXT) | instid1(VALU_DEP_2)
	v_fmac_f64_e32 v[8:9], v[74:75], v[26:27]
	v_fmac_f64_e32 v[0:1], v[68:69], v[28:29]
	s_delay_alu instid0(VALU_DEP_2) | instskip(SKIP_1) | instid1(VALU_DEP_2)
	;; [unrolled: 7-line block ×4, first 2 shown]
	v_fmac_f64_e32 v[8:9], v[52:53], v[20:21]
	s_wait_loadcnt 0x0
	v_fmac_f64_e32 v[0:1], v[46:47], v[78:79]
	s_delay_alu instid0(VALU_DEP_2) | instskip(NEXT) | instid1(VALU_DEP_2)
	v_fmac_f64_e32 v[8:9], v[38:39], v[78:79]
	v_fmac_f64_e32 v[0:1], v[48:49], v[80:81]
	s_delay_alu instid0(VALU_DEP_2)
	v_fmac_f64_e32 v[8:9], v[40:41], v[80:81]
	s_and_not1_b32 exec_lo, exec_lo, s2
	s_cbranch_execnz .LBB149_15
; %bb.16:
	s_or_b32 exec_lo, exec_lo, s2
.LBB149_17:
	s_delay_alu instid0(SALU_CYCLE_1)
	s_or_b32 exec_lo, exec_lo, s3
.LBB149_18:
	v_mbcnt_lo_u32_b32 v14, -1, 0
	s_delay_alu instid0(VALU_DEP_1) | instskip(NEXT) | instid1(VALU_DEP_1)
	v_xor_b32_e32 v10, 16, v14
	v_cmp_gt_i32_e32 vcc_lo, 32, v10
	v_cndmask_b32_e32 v10, v14, v10, vcc_lo
	s_delay_alu instid0(VALU_DEP_1)
	v_lshlrev_b32_e32 v13, 2, v10
	ds_bpermute_b32 v10, v13, v0
	ds_bpermute_b32 v11, v13, v1
	s_wait_dscnt 0x0
	v_add_f64_e32 v[0:1], v[0:1], v[10:11]
	v_xor_b32_e32 v10, 8, v14
	s_delay_alu instid0(VALU_DEP_1)
	v_cmp_gt_i32_e32 vcc_lo, 32, v10
	v_cndmask_b32_e32 v10, v14, v10, vcc_lo
	ds_bpermute_b32 v12, v13, v8
	ds_bpermute_b32 v13, v13, v9
	s_wait_dscnt 0x0
	v_dual_add_f64 v[8:9], v[8:9], v[12:13] :: v_dual_lshlrev_b32 v13, 2, v10
	ds_bpermute_b32 v10, v13, v0
	ds_bpermute_b32 v11, v13, v1
	s_wait_dscnt 0x0
	v_add_f64_e32 v[0:1], v[0:1], v[10:11]
	v_xor_b32_e32 v10, 4, v14
	s_delay_alu instid0(VALU_DEP_1)
	v_cmp_gt_i32_e32 vcc_lo, 32, v10
	v_cndmask_b32_e32 v10, v14, v10, vcc_lo
	ds_bpermute_b32 v12, v13, v8
	ds_bpermute_b32 v13, v13, v9
	s_wait_dscnt 0x0
	v_dual_add_f64 v[8:9], v[8:9], v[12:13] :: v_dual_lshlrev_b32 v13, 2, v10
	;; [unrolled: 12-line block ×3, first 2 shown]
	ds_bpermute_b32 v10, v13, v0
	ds_bpermute_b32 v11, v13, v1
	s_wait_dscnt 0x0
	v_add_f64_e32 v[0:1], v[0:1], v[10:11]
	ds_bpermute_b32 v12, v13, v8
	ds_bpermute_b32 v13, v13, v9
	s_wait_dscnt 0x0
	v_dual_add_f64 v[10:11], v[8:9], v[12:13] :: v_dual_bitop2_b32 v8, 1, v14 bitop3:0x14
	s_delay_alu instid0(VALU_DEP_1) | instskip(SKIP_2) | instid1(VALU_DEP_2)
	v_cmp_gt_i32_e32 vcc_lo, 32, v8
	v_cndmask_b32_e32 v8, v14, v8, vcc_lo
	v_cmp_eq_u32_e32 vcc_lo, 31, v7
	v_lshlrev_b32_e32 v13, 2, v8
	ds_bpermute_b32 v8, v13, v0
	ds_bpermute_b32 v9, v13, v1
	;; [unrolled: 1-line block ×4, first 2 shown]
	s_and_b32 exec_lo, exec_lo, vcc_lo
	s_cbranch_execz .LBB149_23
; %bb.19:
	s_wait_dscnt 0x2
	v_add_f64_e32 v[8:9], v[0:1], v[8:9]
	s_wait_dscnt 0x0
	v_add_f64_e32 v[0:1], v[10:11], v[12:13]
	s_load_b64 s[0:1], s[0:1], 0x38
	s_mov_b32 s2, exec_lo
	v_cmpx_eq_f64_e32 0, v[4:5]
	s_xor_b32 s2, exec_lo, s2
	s_cbranch_execz .LBB149_21
; %bb.20:
	s_delay_alu instid0(VALU_DEP_3) | instskip(NEXT) | instid1(VALU_DEP_3)
	v_mul_f64_e32 v[8:9], v[2:3], v[8:9]
	v_dual_mul_f64 v[10:11], v[2:3], v[0:1] :: v_dual_lshlrev_b32 v0, 1, v6
                                        ; implicit-def: $vgpr6
                                        ; implicit-def: $vgpr2_vgpr3
                                        ; implicit-def: $vgpr4_vgpr5
	s_delay_alu instid0(VALU_DEP_1) | instskip(SKIP_1) | instid1(VALU_DEP_1)
	v_ashrrev_i32_e32 v1, 31, v0
	s_wait_kmcnt 0x0
	v_lshl_add_u64 v[0:1], v[0:1], 3, s[0:1]
	global_store_b128 v[0:1], v[8:11], off
                                        ; implicit-def: $vgpr8_vgpr9
                                        ; implicit-def: $vgpr0_vgpr1
.LBB149_21:
	s_wait_xcnt 0x0
	s_and_not1_saveexec_b32 s2, s2
	s_cbranch_execz .LBB149_23
; %bb.22:
	v_lshlrev_b32_e32 v6, 1, v6
	s_delay_alu instid0(VALU_DEP_1) | instskip(SKIP_1) | instid1(VALU_DEP_1)
	v_ashrrev_i32_e32 v7, 31, v6
	s_wait_kmcnt 0x0
	v_lshl_add_u64 v[14:15], v[6:7], 3, s[0:1]
	v_mul_f64_e32 v[6:7], v[2:3], v[8:9]
	v_mul_f64_e32 v[8:9], v[2:3], v[0:1]
	global_load_b128 v[10:13], v[14:15], off
	s_wait_loadcnt 0x0
	v_fmac_f64_e32 v[6:7], v[4:5], v[10:11]
	v_fmac_f64_e32 v[8:9], v[4:5], v[12:13]
	global_store_b128 v[14:15], v[6:9], off
.LBB149_23:
	s_sendmsg sendmsg(MSG_DEALLOC_VGPRS)
	s_endpgm
	.section	.rodata,"a",@progbits
	.p2align	6, 0x0
	.amdhsa_kernel _ZN9rocsparseL19gebsrmvn_2xn_kernelILj128ELj16ELj32EdEEvi20rocsparse_direction_NS_24const_host_device_scalarIT2_EEPKiS6_PKS3_S8_S4_PS3_21rocsparse_index_base_b
		.amdhsa_group_segment_fixed_size 0
		.amdhsa_private_segment_fixed_size 0
		.amdhsa_kernarg_size 72
		.amdhsa_user_sgpr_count 2
		.amdhsa_user_sgpr_dispatch_ptr 0
		.amdhsa_user_sgpr_queue_ptr 0
		.amdhsa_user_sgpr_kernarg_segment_ptr 1
		.amdhsa_user_sgpr_dispatch_id 0
		.amdhsa_user_sgpr_kernarg_preload_length 0
		.amdhsa_user_sgpr_kernarg_preload_offset 0
		.amdhsa_user_sgpr_private_segment_size 0
		.amdhsa_wavefront_size32 1
		.amdhsa_uses_dynamic_stack 0
		.amdhsa_enable_private_segment 0
		.amdhsa_system_sgpr_workgroup_id_x 1
		.amdhsa_system_sgpr_workgroup_id_y 0
		.amdhsa_system_sgpr_workgroup_id_z 0
		.amdhsa_system_sgpr_workgroup_info 0
		.amdhsa_system_vgpr_workitem_id 0
		.amdhsa_next_free_vgpr 88
		.amdhsa_next_free_sgpr 14
		.amdhsa_named_barrier_count 0
		.amdhsa_reserve_vcc 1
		.amdhsa_float_round_mode_32 0
		.amdhsa_float_round_mode_16_64 0
		.amdhsa_float_denorm_mode_32 3
		.amdhsa_float_denorm_mode_16_64 3
		.amdhsa_fp16_overflow 0
		.amdhsa_memory_ordered 1
		.amdhsa_forward_progress 1
		.amdhsa_inst_pref_size 17
		.amdhsa_round_robin_scheduling 0
		.amdhsa_exception_fp_ieee_invalid_op 0
		.amdhsa_exception_fp_denorm_src 0
		.amdhsa_exception_fp_ieee_div_zero 0
		.amdhsa_exception_fp_ieee_overflow 0
		.amdhsa_exception_fp_ieee_underflow 0
		.amdhsa_exception_fp_ieee_inexact 0
		.amdhsa_exception_int_div_zero 0
	.end_amdhsa_kernel
	.section	.text._ZN9rocsparseL19gebsrmvn_2xn_kernelILj128ELj16ELj32EdEEvi20rocsparse_direction_NS_24const_host_device_scalarIT2_EEPKiS6_PKS3_S8_S4_PS3_21rocsparse_index_base_b,"axG",@progbits,_ZN9rocsparseL19gebsrmvn_2xn_kernelILj128ELj16ELj32EdEEvi20rocsparse_direction_NS_24const_host_device_scalarIT2_EEPKiS6_PKS3_S8_S4_PS3_21rocsparse_index_base_b,comdat
.Lfunc_end149:
	.size	_ZN9rocsparseL19gebsrmvn_2xn_kernelILj128ELj16ELj32EdEEvi20rocsparse_direction_NS_24const_host_device_scalarIT2_EEPKiS6_PKS3_S8_S4_PS3_21rocsparse_index_base_b, .Lfunc_end149-_ZN9rocsparseL19gebsrmvn_2xn_kernelILj128ELj16ELj32EdEEvi20rocsparse_direction_NS_24const_host_device_scalarIT2_EEPKiS6_PKS3_S8_S4_PS3_21rocsparse_index_base_b
                                        ; -- End function
	.set _ZN9rocsparseL19gebsrmvn_2xn_kernelILj128ELj16ELj32EdEEvi20rocsparse_direction_NS_24const_host_device_scalarIT2_EEPKiS6_PKS3_S8_S4_PS3_21rocsparse_index_base_b.num_vgpr, 88
	.set _ZN9rocsparseL19gebsrmvn_2xn_kernelILj128ELj16ELj32EdEEvi20rocsparse_direction_NS_24const_host_device_scalarIT2_EEPKiS6_PKS3_S8_S4_PS3_21rocsparse_index_base_b.num_agpr, 0
	.set _ZN9rocsparseL19gebsrmvn_2xn_kernelILj128ELj16ELj32EdEEvi20rocsparse_direction_NS_24const_host_device_scalarIT2_EEPKiS6_PKS3_S8_S4_PS3_21rocsparse_index_base_b.numbered_sgpr, 14
	.set _ZN9rocsparseL19gebsrmvn_2xn_kernelILj128ELj16ELj32EdEEvi20rocsparse_direction_NS_24const_host_device_scalarIT2_EEPKiS6_PKS3_S8_S4_PS3_21rocsparse_index_base_b.num_named_barrier, 0
	.set _ZN9rocsparseL19gebsrmvn_2xn_kernelILj128ELj16ELj32EdEEvi20rocsparse_direction_NS_24const_host_device_scalarIT2_EEPKiS6_PKS3_S8_S4_PS3_21rocsparse_index_base_b.private_seg_size, 0
	.set _ZN9rocsparseL19gebsrmvn_2xn_kernelILj128ELj16ELj32EdEEvi20rocsparse_direction_NS_24const_host_device_scalarIT2_EEPKiS6_PKS3_S8_S4_PS3_21rocsparse_index_base_b.uses_vcc, 1
	.set _ZN9rocsparseL19gebsrmvn_2xn_kernelILj128ELj16ELj32EdEEvi20rocsparse_direction_NS_24const_host_device_scalarIT2_EEPKiS6_PKS3_S8_S4_PS3_21rocsparse_index_base_b.uses_flat_scratch, 0
	.set _ZN9rocsparseL19gebsrmvn_2xn_kernelILj128ELj16ELj32EdEEvi20rocsparse_direction_NS_24const_host_device_scalarIT2_EEPKiS6_PKS3_S8_S4_PS3_21rocsparse_index_base_b.has_dyn_sized_stack, 0
	.set _ZN9rocsparseL19gebsrmvn_2xn_kernelILj128ELj16ELj32EdEEvi20rocsparse_direction_NS_24const_host_device_scalarIT2_EEPKiS6_PKS3_S8_S4_PS3_21rocsparse_index_base_b.has_recursion, 0
	.set _ZN9rocsparseL19gebsrmvn_2xn_kernelILj128ELj16ELj32EdEEvi20rocsparse_direction_NS_24const_host_device_scalarIT2_EEPKiS6_PKS3_S8_S4_PS3_21rocsparse_index_base_b.has_indirect_call, 0
	.section	.AMDGPU.csdata,"",@progbits
; Kernel info:
; codeLenInByte = 2176
; TotalNumSgprs: 16
; NumVgprs: 88
; ScratchSize: 0
; MemoryBound: 1
; FloatMode: 240
; IeeeMode: 1
; LDSByteSize: 0 bytes/workgroup (compile time only)
; SGPRBlocks: 0
; VGPRBlocks: 5
; NumSGPRsForWavesPerEU: 16
; NumVGPRsForWavesPerEU: 88
; NamedBarCnt: 0
; Occupancy: 10
; WaveLimiterHint : 1
; COMPUTE_PGM_RSRC2:SCRATCH_EN: 0
; COMPUTE_PGM_RSRC2:USER_SGPR: 2
; COMPUTE_PGM_RSRC2:TRAP_HANDLER: 0
; COMPUTE_PGM_RSRC2:TGID_X_EN: 1
; COMPUTE_PGM_RSRC2:TGID_Y_EN: 0
; COMPUTE_PGM_RSRC2:TGID_Z_EN: 0
; COMPUTE_PGM_RSRC2:TIDIG_COMP_CNT: 0
	.section	.text._ZN9rocsparseL19gebsrmvn_2xn_kernelILj128ELj16ELj64EdEEvi20rocsparse_direction_NS_24const_host_device_scalarIT2_EEPKiS6_PKS3_S8_S4_PS3_21rocsparse_index_base_b,"axG",@progbits,_ZN9rocsparseL19gebsrmvn_2xn_kernelILj128ELj16ELj64EdEEvi20rocsparse_direction_NS_24const_host_device_scalarIT2_EEPKiS6_PKS3_S8_S4_PS3_21rocsparse_index_base_b,comdat
	.globl	_ZN9rocsparseL19gebsrmvn_2xn_kernelILj128ELj16ELj64EdEEvi20rocsparse_direction_NS_24const_host_device_scalarIT2_EEPKiS6_PKS3_S8_S4_PS3_21rocsparse_index_base_b ; -- Begin function _ZN9rocsparseL19gebsrmvn_2xn_kernelILj128ELj16ELj64EdEEvi20rocsparse_direction_NS_24const_host_device_scalarIT2_EEPKiS6_PKS3_S8_S4_PS3_21rocsparse_index_base_b
	.p2align	8
	.type	_ZN9rocsparseL19gebsrmvn_2xn_kernelILj128ELj16ELj64EdEEvi20rocsparse_direction_NS_24const_host_device_scalarIT2_EEPKiS6_PKS3_S8_S4_PS3_21rocsparse_index_base_b,@function
_ZN9rocsparseL19gebsrmvn_2xn_kernelILj128ELj16ELj64EdEEvi20rocsparse_direction_NS_24const_host_device_scalarIT2_EEPKiS6_PKS3_S8_S4_PS3_21rocsparse_index_base_b: ; @_ZN9rocsparseL19gebsrmvn_2xn_kernelILj128ELj16ELj64EdEEvi20rocsparse_direction_NS_24const_host_device_scalarIT2_EEPKiS6_PKS3_S8_S4_PS3_21rocsparse_index_base_b
; %bb.0:
	s_clause 0x2
	s_load_b64 s[12:13], s[0:1], 0x40
	s_load_b64 s[4:5], s[0:1], 0x8
	;; [unrolled: 1-line block ×3, first 2 shown]
	s_wait_kmcnt 0x0
	s_bitcmp1_b32 s13, 0
	v_mov_b64_e32 v[2:3], s[4:5]
	s_cselect_b32 s6, -1, 0
	s_delay_alu instid0(SALU_CYCLE_1)
	s_and_b32 vcc_lo, exec_lo, s6
	s_xor_b32 s6, s6, -1
	s_cbranch_vccnz .LBB150_2
; %bb.1:
	v_mov_b32_e32 v1, 0
	flat_load_b64 v[2:3], v1, s[4:5]
.LBB150_2:
	v_mov_b64_e32 v[4:5], s[2:3]
	s_and_not1_b32 vcc_lo, exec_lo, s6
	s_cbranch_vccnz .LBB150_4
; %bb.3:
	s_wait_xcnt 0x0
	v_mov_b32_e32 v1, 0
	flat_load_b64 v[4:5], v1, s[2:3]
.LBB150_4:
	s_wait_loadcnt_dscnt 0x0
	v_cmp_neq_f64_e32 vcc_lo, 0, v[2:3]
	s_delay_alu instid0(VALU_DEP_2) | instskip(SKIP_1) | instid1(SALU_CYCLE_1)
	v_cmp_neq_f64_e64 s2, 1.0, v[4:5]
	s_or_b32 s2, vcc_lo, s2
	s_and_saveexec_b32 s3, s2
	s_cbranch_execz .LBB150_23
; %bb.5:
	s_load_b64 s[2:3], s[0:1], 0x0
	s_bfe_u32 s4, ttmp6, 0x4000c
	s_and_b32 s5, ttmp6, 15
	s_add_co_i32 s4, s4, 1
	s_getreg_b32 s6, hwreg(HW_REG_IB_STS2, 6, 4)
	s_mul_i32 s4, ttmp9, s4
	v_lshrrev_b32_e32 v1, 6, v0
	s_add_co_i32 s5, s5, s4
	s_cmp_eq_u32 s6, 0
	s_cselect_b32 s4, ttmp9, s5
	s_delay_alu instid0(VALU_DEP_1) | instid1(SALU_CYCLE_1)
	v_lshl_or_b32 v6, s4, 1, v1
	s_wait_kmcnt 0x0
	s_delay_alu instid0(VALU_DEP_1)
	v_cmp_gt_i32_e32 vcc_lo, s2, v6
	s_and_b32 exec_lo, exec_lo, vcc_lo
	s_cbranch_execz .LBB150_23
; %bb.6:
	s_load_b256 s[4:11], s[0:1], 0x10
	v_ashrrev_i32_e32 v7, 31, v6
	s_cmp_lg_u32 s3, 0
	s_wait_kmcnt 0x0
	s_delay_alu instid0(VALU_DEP_1)
	v_lshl_add_u64 v[8:9], v[6:7], 2, s[4:5]
	v_and_b32_e32 v7, 63, v0
	global_load_b64 v[8:9], v[8:9], off
	s_wait_loadcnt 0x0
	v_subrev_nc_u32_e32 v0, s12, v8
	v_subrev_nc_u32_e32 v12, s12, v9
	s_delay_alu instid0(VALU_DEP_2) | instskip(NEXT) | instid1(VALU_DEP_1)
	v_add_nc_u32_e32 v13, v0, v7
	v_cmp_lt_i32_e64 s2, v13, v12
	s_cbranch_scc0 .LBB150_12
; %bb.7:
	v_mov_b64_e32 v[0:1], 0
	v_mov_b64_e32 v[8:9], 0
	s_and_saveexec_b32 s3, s2
	s_cbranch_execz .LBB150_11
; %bb.8:
	v_mov_b64_e32 v[0:1], 0
	v_mov_b64_e32 v[8:9], 0
	v_dual_mov_b32 v11, 0 :: v_dual_lshlrev_b32 v10, 5, v13
	v_mov_b32_e32 v14, v13
	s_mov_b32 s4, 0
.LBB150_9:                              ; =>This Inner Loop Header: Depth=1
	global_load_b32 v15, v14, s[6:7] scale_offset
	v_lshl_add_u64 v[84:85], v[10:11], 3, s[8:9]
	s_wait_xcnt 0x0
	v_add_nc_u32_e32 v14, 64, v14
	v_add_nc_u32_e32 v10, 0x800, v10
	s_delay_alu instid0(VALU_DEP_2) | instskip(SKIP_3) | instid1(VALU_DEP_1)
	v_cmp_ge_i32_e32 vcc_lo, v14, v12
	s_or_b32 s4, vcc_lo, s4
	s_wait_loadcnt 0x0
	v_subrev_nc_u32_e32 v15, s12, v15
	v_dual_mov_b32 v17, v11 :: v_dual_lshlrev_b32 v16, 4, v15
	s_delay_alu instid0(VALU_DEP_1)
	v_lshl_add_u64 v[86:87], v[16:17], 3, s[10:11]
	global_load_b128 v[16:19], v[84:85], off
	global_load_b128 v[20:23], v[86:87], off
	s_clause 0x1
	global_load_b128 v[24:27], v[84:85], off offset:16
	global_load_b128 v[28:31], v[84:85], off offset:32
	global_load_b128 v[32:35], v[86:87], off offset:16
	s_clause 0x1
	global_load_b128 v[36:39], v[84:85], off offset:48
	global_load_b128 v[40:43], v[84:85], off offset:64
	global_load_b128 v[44:47], v[86:87], off offset:32
	;; [unrolled: 4-line block ×5, first 2 shown]
	s_wait_loadcnt 0xf
	v_fmac_f64_e32 v[0:1], v[16:17], v[20:21]
	v_fmac_f64_e32 v[8:9], v[18:19], v[20:21]
	global_load_b128 v[16:19], v[84:85], off offset:176
	s_wait_loadcnt 0xf
	v_fmac_f64_e32 v[0:1], v[24:25], v[22:23]
	v_fmac_f64_e32 v[8:9], v[26:27], v[22:23]
	global_load_b128 v[20:23], v[84:85], off offset:192
	global_load_b128 v[24:27], v[86:87], off offset:96
	s_wait_loadcnt 0xf
	v_fmac_f64_e32 v[0:1], v[28:29], v[32:33]
	v_fmac_f64_e32 v[8:9], v[30:31], v[32:33]
	global_load_b128 v[28:31], v[84:85], off offset:208
	s_wait_loadcnt 0xf
	v_fmac_f64_e32 v[0:1], v[36:37], v[34:35]
	v_fmac_f64_e32 v[8:9], v[38:39], v[34:35]
	global_load_b128 v[32:35], v[84:85], off offset:224
	global_load_b128 v[36:39], v[86:87], off offset:112
	s_wait_loadcnt 0xf
	v_fmac_f64_e32 v[0:1], v[40:41], v[44:45]
	v_fmac_f64_e32 v[8:9], v[42:43], v[44:45]
	global_load_b128 v[40:43], v[84:85], off offset:240
	s_wait_loadcnt 0xf
	v_fmac_f64_e32 v[0:1], v[48:49], v[46:47]
	v_fmac_f64_e32 v[8:9], v[50:51], v[46:47]
	s_wait_loadcnt 0xd
	s_delay_alu instid0(VALU_DEP_2) | instskip(NEXT) | instid1(VALU_DEP_2)
	v_fmac_f64_e32 v[0:1], v[52:53], v[56:57]
	v_fmac_f64_e32 v[8:9], v[54:55], v[56:57]
	s_wait_loadcnt 0xc
	s_delay_alu instid0(VALU_DEP_2) | instskip(NEXT) | instid1(VALU_DEP_2)
	;; [unrolled: 4-line block ×10, first 2 shown]
	v_fmac_f64_e32 v[0:1], v[40:41], v[38:39]
	v_fmac_f64_e32 v[8:9], v[42:43], v[38:39]
	s_and_not1_b32 exec_lo, exec_lo, s4
	s_cbranch_execnz .LBB150_9
; %bb.10:
	s_or_b32 exec_lo, exec_lo, s4
.LBB150_11:
	s_delay_alu instid0(SALU_CYCLE_1)
	s_or_b32 exec_lo, exec_lo, s3
	s_cbranch_execz .LBB150_13
	s_branch .LBB150_18
.LBB150_12:
                                        ; implicit-def: $vgpr0_vgpr1
                                        ; implicit-def: $vgpr8_vgpr9
.LBB150_13:
	v_mov_b64_e32 v[0:1], 0
	v_mov_b64_e32 v[8:9], 0
	s_and_saveexec_b32 s3, s2
	s_cbranch_execz .LBB150_17
; %bb.14:
	v_mov_b64_e32 v[0:1], 0
	v_mov_b64_e32 v[8:9], 0
	v_dual_mov_b32 v11, 0 :: v_dual_lshlrev_b32 v10, 5, v13
	s_mov_b32 s2, 0
.LBB150_15:                             ; =>This Inner Loop Header: Depth=1
	global_load_b32 v46, v13, s[6:7] scale_offset
	v_lshl_add_u64 v[78:79], v[10:11], 3, s[8:9]
	s_wait_xcnt 0x0
	v_add_nc_u32_e32 v13, 64, v13
	v_add_nc_u32_e32 v10, 0x800, v10
	s_clause 0x7
	global_load_b128 v[14:17], v[78:79], off offset:48
	global_load_b128 v[18:21], v[78:79], off offset:32
	;; [unrolled: 1-line block ×3, first 2 shown]
	global_load_b128 v[26:29], v[78:79], off
	global_load_b128 v[30:33], v[78:79], off offset:176
	global_load_b128 v[34:37], v[78:79], off offset:160
	;; [unrolled: 1-line block ×4, first 2 shown]
	v_cmp_ge_i32_e32 vcc_lo, v13, v12
	s_or_b32 s2, vcc_lo, s2
	s_wait_loadcnt 0x8
	v_subrev_nc_u32_e32 v46, s12, v46
	s_delay_alu instid0(VALU_DEP_1) | instskip(NEXT) | instid1(VALU_DEP_1)
	v_dual_mov_b32 v47, v11 :: v_dual_lshlrev_b32 v46, 4, v46
	v_lshl_add_u64 v[82:83], v[46:47], 3, s[10:11]
	s_clause 0x3
	global_load_b128 v[46:49], v[82:83], off
	global_load_b128 v[50:53], v[82:83], off offset:16
	global_load_b128 v[54:57], v[82:83], off offset:32
	;; [unrolled: 1-line block ×3, first 2 shown]
	s_clause 0x3
	global_load_b128 v[62:65], v[78:79], off offset:80
	global_load_b128 v[66:69], v[78:79], off offset:64
	;; [unrolled: 1-line block ×4, first 2 shown]
	s_wait_loadcnt 0x7
	v_fmac_f64_e32 v[0:1], v[26:27], v[46:47]
	v_fmac_f64_e32 v[8:9], v[42:43], v[46:47]
	s_delay_alu instid0(VALU_DEP_2)
	v_fmac_f64_e32 v[0:1], v[28:29], v[48:49]
	global_load_b128 v[26:29], v[82:83], off offset:64
	v_fmac_f64_e32 v[8:9], v[44:45], v[48:49]
	global_load_b128 v[42:45], v[82:83], off offset:80
	global_load_b128 v[46:49], v[78:79], off offset:112
	s_wait_loadcnt 0x9
	v_fmac_f64_e32 v[0:1], v[22:23], v[50:51]
	v_fmac_f64_e32 v[8:9], v[38:39], v[50:51]
	s_delay_alu instid0(VALU_DEP_2)
	v_fmac_f64_e32 v[0:1], v[24:25], v[52:53]
	global_load_b128 v[22:25], v[78:79], off offset:96
	v_fmac_f64_e32 v[8:9], v[40:41], v[52:53]
	s_clause 0x1
	global_load_b128 v[38:41], v[78:79], off offset:240
	global_load_b128 v[50:53], v[78:79], off offset:224
	s_wait_loadcnt 0xb
	v_fmac_f64_e32 v[0:1], v[18:19], v[54:55]
	v_fmac_f64_e32 v[8:9], v[34:35], v[54:55]
	s_delay_alu instid0(VALU_DEP_2)
	v_fmac_f64_e32 v[0:1], v[20:21], v[56:57]
	s_clause 0x1
	global_load_b128 v[18:21], v[82:83], off offset:96
	global_load_b128 v[78:81], v[82:83], off offset:112
	v_fmac_f64_e32 v[8:9], v[36:37], v[56:57]
	s_wait_loadcnt 0xc
	v_fmac_f64_e32 v[0:1], v[14:15], v[58:59]
	s_delay_alu instid0(VALU_DEP_2) | instskip(NEXT) | instid1(VALU_DEP_2)
	v_fmac_f64_e32 v[8:9], v[30:31], v[58:59]
	v_fmac_f64_e32 v[0:1], v[16:17], v[60:61]
	s_delay_alu instid0(VALU_DEP_2) | instskip(SKIP_1) | instid1(VALU_DEP_2)
	v_fmac_f64_e32 v[8:9], v[32:33], v[60:61]
	s_wait_loadcnt 0x7
	v_fmac_f64_e32 v[0:1], v[66:67], v[26:27]
	s_delay_alu instid0(VALU_DEP_2) | instskip(NEXT) | instid1(VALU_DEP_2)
	v_fmac_f64_e32 v[8:9], v[74:75], v[26:27]
	v_fmac_f64_e32 v[0:1], v[68:69], v[28:29]
	s_delay_alu instid0(VALU_DEP_2) | instskip(SKIP_1) | instid1(VALU_DEP_2)
	v_fmac_f64_e32 v[8:9], v[76:77], v[28:29]
	s_wait_loadcnt 0x6
	v_fmac_f64_e32 v[0:1], v[62:63], v[42:43]
	s_delay_alu instid0(VALU_DEP_2) | instskip(NEXT) | instid1(VALU_DEP_2)
	v_fmac_f64_e32 v[8:9], v[70:71], v[42:43]
	v_fmac_f64_e32 v[0:1], v[64:65], v[44:45]
	s_delay_alu instid0(VALU_DEP_2) | instskip(SKIP_1) | instid1(VALU_DEP_2)
	v_fmac_f64_e32 v[8:9], v[72:73], v[44:45]
	s_wait_loadcnt 0x1
	v_fmac_f64_e32 v[0:1], v[22:23], v[18:19]
	s_delay_alu instid0(VALU_DEP_2) | instskip(NEXT) | instid1(VALU_DEP_2)
	v_fmac_f64_e32 v[8:9], v[50:51], v[18:19]
	v_fmac_f64_e32 v[0:1], v[24:25], v[20:21]
	s_delay_alu instid0(VALU_DEP_2) | instskip(SKIP_1) | instid1(VALU_DEP_2)
	v_fmac_f64_e32 v[8:9], v[52:53], v[20:21]
	s_wait_loadcnt 0x0
	v_fmac_f64_e32 v[0:1], v[46:47], v[78:79]
	s_delay_alu instid0(VALU_DEP_2) | instskip(NEXT) | instid1(VALU_DEP_2)
	v_fmac_f64_e32 v[8:9], v[38:39], v[78:79]
	v_fmac_f64_e32 v[0:1], v[48:49], v[80:81]
	s_delay_alu instid0(VALU_DEP_2)
	v_fmac_f64_e32 v[8:9], v[40:41], v[80:81]
	s_and_not1_b32 exec_lo, exec_lo, s2
	s_cbranch_execnz .LBB150_15
; %bb.16:
	s_or_b32 exec_lo, exec_lo, s2
.LBB150_17:
	s_delay_alu instid0(SALU_CYCLE_1)
	s_or_b32 exec_lo, exec_lo, s3
.LBB150_18:
	v_mbcnt_lo_u32_b32 v14, -1, 0
	s_delay_alu instid0(VALU_DEP_1) | instskip(NEXT) | instid1(VALU_DEP_1)
	v_or_b32_e32 v10, 32, v14
	v_cmp_gt_i32_e32 vcc_lo, 32, v10
	v_cndmask_b32_e32 v10, v14, v10, vcc_lo
	s_delay_alu instid0(VALU_DEP_1)
	v_lshlrev_b32_e32 v13, 2, v10
	ds_bpermute_b32 v10, v13, v0
	ds_bpermute_b32 v11, v13, v1
	s_wait_dscnt 0x0
	v_add_f64_e32 v[0:1], v[0:1], v[10:11]
	v_xor_b32_e32 v10, 16, v14
	s_delay_alu instid0(VALU_DEP_1)
	v_cmp_gt_i32_e32 vcc_lo, 32, v10
	v_cndmask_b32_e32 v10, v14, v10, vcc_lo
	ds_bpermute_b32 v12, v13, v8
	ds_bpermute_b32 v13, v13, v9
	s_wait_dscnt 0x0
	v_dual_add_f64 v[8:9], v[8:9], v[12:13] :: v_dual_lshlrev_b32 v13, 2, v10
	ds_bpermute_b32 v10, v13, v0
	ds_bpermute_b32 v11, v13, v1
	s_wait_dscnt 0x0
	v_add_f64_e32 v[0:1], v[0:1], v[10:11]
	v_xor_b32_e32 v10, 8, v14
	s_delay_alu instid0(VALU_DEP_1)
	v_cmp_gt_i32_e32 vcc_lo, 32, v10
	v_cndmask_b32_e32 v10, v14, v10, vcc_lo
	ds_bpermute_b32 v12, v13, v8
	ds_bpermute_b32 v13, v13, v9
	s_wait_dscnt 0x0
	v_dual_add_f64 v[8:9], v[8:9], v[12:13] :: v_dual_lshlrev_b32 v13, 2, v10
	ds_bpermute_b32 v10, v13, v0
	ds_bpermute_b32 v11, v13, v1
	s_wait_dscnt 0x0
	v_add_f64_e32 v[0:1], v[0:1], v[10:11]
	v_xor_b32_e32 v10, 4, v14
	s_delay_alu instid0(VALU_DEP_1)
	v_cmp_gt_i32_e32 vcc_lo, 32, v10
	v_cndmask_b32_e32 v10, v14, v10, vcc_lo
	ds_bpermute_b32 v12, v13, v8
	ds_bpermute_b32 v13, v13, v9
	s_wait_dscnt 0x0
	v_dual_add_f64 v[8:9], v[8:9], v[12:13] :: v_dual_lshlrev_b32 v13, 2, v10
	ds_bpermute_b32 v10, v13, v0
	ds_bpermute_b32 v11, v13, v1
	s_wait_dscnt 0x0
	v_add_f64_e32 v[0:1], v[0:1], v[10:11]
	v_xor_b32_e32 v10, 2, v14
	s_delay_alu instid0(VALU_DEP_1)
	v_cmp_gt_i32_e32 vcc_lo, 32, v10
	v_cndmask_b32_e32 v10, v14, v10, vcc_lo
	ds_bpermute_b32 v12, v13, v8
	ds_bpermute_b32 v13, v13, v9
	s_wait_dscnt 0x0
	v_dual_add_f64 v[8:9], v[8:9], v[12:13] :: v_dual_lshlrev_b32 v13, 2, v10
	ds_bpermute_b32 v10, v13, v0
	ds_bpermute_b32 v11, v13, v1
	s_wait_dscnt 0x0
	v_add_f64_e32 v[0:1], v[0:1], v[10:11]
	ds_bpermute_b32 v12, v13, v8
	ds_bpermute_b32 v13, v13, v9
	s_wait_dscnt 0x0
	v_dual_add_f64 v[10:11], v[8:9], v[12:13] :: v_dual_bitop2_b32 v8, 1, v14 bitop3:0x14
	s_delay_alu instid0(VALU_DEP_1) | instskip(SKIP_2) | instid1(VALU_DEP_2)
	v_cmp_gt_i32_e32 vcc_lo, 32, v8
	v_cndmask_b32_e32 v8, v14, v8, vcc_lo
	v_cmp_eq_u32_e32 vcc_lo, 63, v7
	v_lshlrev_b32_e32 v13, 2, v8
	ds_bpermute_b32 v8, v13, v0
	ds_bpermute_b32 v9, v13, v1
	;; [unrolled: 1-line block ×4, first 2 shown]
	s_and_b32 exec_lo, exec_lo, vcc_lo
	s_cbranch_execz .LBB150_23
; %bb.19:
	s_wait_dscnt 0x2
	v_add_f64_e32 v[8:9], v[0:1], v[8:9]
	s_wait_dscnt 0x0
	v_add_f64_e32 v[0:1], v[10:11], v[12:13]
	s_load_b64 s[0:1], s[0:1], 0x38
	s_mov_b32 s2, exec_lo
	v_cmpx_eq_f64_e32 0, v[4:5]
	s_xor_b32 s2, exec_lo, s2
	s_cbranch_execz .LBB150_21
; %bb.20:
	s_delay_alu instid0(VALU_DEP_3) | instskip(NEXT) | instid1(VALU_DEP_3)
	v_mul_f64_e32 v[8:9], v[2:3], v[8:9]
	v_dual_mul_f64 v[10:11], v[2:3], v[0:1] :: v_dual_lshlrev_b32 v0, 1, v6
                                        ; implicit-def: $vgpr6
                                        ; implicit-def: $vgpr2_vgpr3
                                        ; implicit-def: $vgpr4_vgpr5
	s_delay_alu instid0(VALU_DEP_1) | instskip(SKIP_1) | instid1(VALU_DEP_1)
	v_ashrrev_i32_e32 v1, 31, v0
	s_wait_kmcnt 0x0
	v_lshl_add_u64 v[0:1], v[0:1], 3, s[0:1]
	global_store_b128 v[0:1], v[8:11], off
                                        ; implicit-def: $vgpr8_vgpr9
                                        ; implicit-def: $vgpr0_vgpr1
.LBB150_21:
	s_wait_xcnt 0x0
	s_and_not1_saveexec_b32 s2, s2
	s_cbranch_execz .LBB150_23
; %bb.22:
	v_lshlrev_b32_e32 v6, 1, v6
	s_delay_alu instid0(VALU_DEP_1) | instskip(SKIP_1) | instid1(VALU_DEP_1)
	v_ashrrev_i32_e32 v7, 31, v6
	s_wait_kmcnt 0x0
	v_lshl_add_u64 v[14:15], v[6:7], 3, s[0:1]
	v_mul_f64_e32 v[6:7], v[2:3], v[8:9]
	v_mul_f64_e32 v[8:9], v[2:3], v[0:1]
	global_load_b128 v[10:13], v[14:15], off
	s_wait_loadcnt 0x0
	v_fmac_f64_e32 v[6:7], v[4:5], v[10:11]
	v_fmac_f64_e32 v[8:9], v[4:5], v[12:13]
	global_store_b128 v[14:15], v[6:9], off
.LBB150_23:
	s_sendmsg sendmsg(MSG_DEALLOC_VGPRS)
	s_endpgm
	.section	.rodata,"a",@progbits
	.p2align	6, 0x0
	.amdhsa_kernel _ZN9rocsparseL19gebsrmvn_2xn_kernelILj128ELj16ELj64EdEEvi20rocsparse_direction_NS_24const_host_device_scalarIT2_EEPKiS6_PKS3_S8_S4_PS3_21rocsparse_index_base_b
		.amdhsa_group_segment_fixed_size 0
		.amdhsa_private_segment_fixed_size 0
		.amdhsa_kernarg_size 72
		.amdhsa_user_sgpr_count 2
		.amdhsa_user_sgpr_dispatch_ptr 0
		.amdhsa_user_sgpr_queue_ptr 0
		.amdhsa_user_sgpr_kernarg_segment_ptr 1
		.amdhsa_user_sgpr_dispatch_id 0
		.amdhsa_user_sgpr_kernarg_preload_length 0
		.amdhsa_user_sgpr_kernarg_preload_offset 0
		.amdhsa_user_sgpr_private_segment_size 0
		.amdhsa_wavefront_size32 1
		.amdhsa_uses_dynamic_stack 0
		.amdhsa_enable_private_segment 0
		.amdhsa_system_sgpr_workgroup_id_x 1
		.amdhsa_system_sgpr_workgroup_id_y 0
		.amdhsa_system_sgpr_workgroup_id_z 0
		.amdhsa_system_sgpr_workgroup_info 0
		.amdhsa_system_vgpr_workitem_id 0
		.amdhsa_next_free_vgpr 88
		.amdhsa_next_free_sgpr 14
		.amdhsa_named_barrier_count 0
		.amdhsa_reserve_vcc 1
		.amdhsa_float_round_mode_32 0
		.amdhsa_float_round_mode_16_64 0
		.amdhsa_float_denorm_mode_32 3
		.amdhsa_float_denorm_mode_16_64 3
		.amdhsa_fp16_overflow 0
		.amdhsa_memory_ordered 1
		.amdhsa_forward_progress 1
		.amdhsa_inst_pref_size 18
		.amdhsa_round_robin_scheduling 0
		.amdhsa_exception_fp_ieee_invalid_op 0
		.amdhsa_exception_fp_denorm_src 0
		.amdhsa_exception_fp_ieee_div_zero 0
		.amdhsa_exception_fp_ieee_overflow 0
		.amdhsa_exception_fp_ieee_underflow 0
		.amdhsa_exception_fp_ieee_inexact 0
		.amdhsa_exception_int_div_zero 0
	.end_amdhsa_kernel
	.section	.text._ZN9rocsparseL19gebsrmvn_2xn_kernelILj128ELj16ELj64EdEEvi20rocsparse_direction_NS_24const_host_device_scalarIT2_EEPKiS6_PKS3_S8_S4_PS3_21rocsparse_index_base_b,"axG",@progbits,_ZN9rocsparseL19gebsrmvn_2xn_kernelILj128ELj16ELj64EdEEvi20rocsparse_direction_NS_24const_host_device_scalarIT2_EEPKiS6_PKS3_S8_S4_PS3_21rocsparse_index_base_b,comdat
.Lfunc_end150:
	.size	_ZN9rocsparseL19gebsrmvn_2xn_kernelILj128ELj16ELj64EdEEvi20rocsparse_direction_NS_24const_host_device_scalarIT2_EEPKiS6_PKS3_S8_S4_PS3_21rocsparse_index_base_b, .Lfunc_end150-_ZN9rocsparseL19gebsrmvn_2xn_kernelILj128ELj16ELj64EdEEvi20rocsparse_direction_NS_24const_host_device_scalarIT2_EEPKiS6_PKS3_S8_S4_PS3_21rocsparse_index_base_b
                                        ; -- End function
	.set _ZN9rocsparseL19gebsrmvn_2xn_kernelILj128ELj16ELj64EdEEvi20rocsparse_direction_NS_24const_host_device_scalarIT2_EEPKiS6_PKS3_S8_S4_PS3_21rocsparse_index_base_b.num_vgpr, 88
	.set _ZN9rocsparseL19gebsrmvn_2xn_kernelILj128ELj16ELj64EdEEvi20rocsparse_direction_NS_24const_host_device_scalarIT2_EEPKiS6_PKS3_S8_S4_PS3_21rocsparse_index_base_b.num_agpr, 0
	.set _ZN9rocsparseL19gebsrmvn_2xn_kernelILj128ELj16ELj64EdEEvi20rocsparse_direction_NS_24const_host_device_scalarIT2_EEPKiS6_PKS3_S8_S4_PS3_21rocsparse_index_base_b.numbered_sgpr, 14
	.set _ZN9rocsparseL19gebsrmvn_2xn_kernelILj128ELj16ELj64EdEEvi20rocsparse_direction_NS_24const_host_device_scalarIT2_EEPKiS6_PKS3_S8_S4_PS3_21rocsparse_index_base_b.num_named_barrier, 0
	.set _ZN9rocsparseL19gebsrmvn_2xn_kernelILj128ELj16ELj64EdEEvi20rocsparse_direction_NS_24const_host_device_scalarIT2_EEPKiS6_PKS3_S8_S4_PS3_21rocsparse_index_base_b.private_seg_size, 0
	.set _ZN9rocsparseL19gebsrmvn_2xn_kernelILj128ELj16ELj64EdEEvi20rocsparse_direction_NS_24const_host_device_scalarIT2_EEPKiS6_PKS3_S8_S4_PS3_21rocsparse_index_base_b.uses_vcc, 1
	.set _ZN9rocsparseL19gebsrmvn_2xn_kernelILj128ELj16ELj64EdEEvi20rocsparse_direction_NS_24const_host_device_scalarIT2_EEPKiS6_PKS3_S8_S4_PS3_21rocsparse_index_base_b.uses_flat_scratch, 0
	.set _ZN9rocsparseL19gebsrmvn_2xn_kernelILj128ELj16ELj64EdEEvi20rocsparse_direction_NS_24const_host_device_scalarIT2_EEPKiS6_PKS3_S8_S4_PS3_21rocsparse_index_base_b.has_dyn_sized_stack, 0
	.set _ZN9rocsparseL19gebsrmvn_2xn_kernelILj128ELj16ELj64EdEEvi20rocsparse_direction_NS_24const_host_device_scalarIT2_EEPKiS6_PKS3_S8_S4_PS3_21rocsparse_index_base_b.has_recursion, 0
	.set _ZN9rocsparseL19gebsrmvn_2xn_kernelILj128ELj16ELj64EdEEvi20rocsparse_direction_NS_24const_host_device_scalarIT2_EEPKiS6_PKS3_S8_S4_PS3_21rocsparse_index_base_b.has_indirect_call, 0
	.section	.AMDGPU.csdata,"",@progbits
; Kernel info:
; codeLenInByte = 2248
; TotalNumSgprs: 16
; NumVgprs: 88
; ScratchSize: 0
; MemoryBound: 1
; FloatMode: 240
; IeeeMode: 1
; LDSByteSize: 0 bytes/workgroup (compile time only)
; SGPRBlocks: 0
; VGPRBlocks: 5
; NumSGPRsForWavesPerEU: 16
; NumVGPRsForWavesPerEU: 88
; NamedBarCnt: 0
; Occupancy: 10
; WaveLimiterHint : 1
; COMPUTE_PGM_RSRC2:SCRATCH_EN: 0
; COMPUTE_PGM_RSRC2:USER_SGPR: 2
; COMPUTE_PGM_RSRC2:TRAP_HANDLER: 0
; COMPUTE_PGM_RSRC2:TGID_X_EN: 1
; COMPUTE_PGM_RSRC2:TGID_Y_EN: 0
; COMPUTE_PGM_RSRC2:TGID_Z_EN: 0
; COMPUTE_PGM_RSRC2:TIDIG_COMP_CNT: 0
	.section	.text._ZN9rocsparseL23gebsrmvn_general_kernelILj32ELj32EdEEvi20rocsparse_direction_NS_24const_host_device_scalarIT1_EEPKiS6_PKS3_iiS8_S4_PS3_21rocsparse_index_base_b,"axG",@progbits,_ZN9rocsparseL23gebsrmvn_general_kernelILj32ELj32EdEEvi20rocsparse_direction_NS_24const_host_device_scalarIT1_EEPKiS6_PKS3_iiS8_S4_PS3_21rocsparse_index_base_b,comdat
	.globl	_ZN9rocsparseL23gebsrmvn_general_kernelILj32ELj32EdEEvi20rocsparse_direction_NS_24const_host_device_scalarIT1_EEPKiS6_PKS3_iiS8_S4_PS3_21rocsparse_index_base_b ; -- Begin function _ZN9rocsparseL23gebsrmvn_general_kernelILj32ELj32EdEEvi20rocsparse_direction_NS_24const_host_device_scalarIT1_EEPKiS6_PKS3_iiS8_S4_PS3_21rocsparse_index_base_b
	.p2align	8
	.type	_ZN9rocsparseL23gebsrmvn_general_kernelILj32ELj32EdEEvi20rocsparse_direction_NS_24const_host_device_scalarIT1_EEPKiS6_PKS3_iiS8_S4_PS3_21rocsparse_index_base_b,@function
_ZN9rocsparseL23gebsrmvn_general_kernelILj32ELj32EdEEvi20rocsparse_direction_NS_24const_host_device_scalarIT1_EEPKiS6_PKS3_iiS8_S4_PS3_21rocsparse_index_base_b: ; @_ZN9rocsparseL23gebsrmvn_general_kernelILj32ELj32EdEEvi20rocsparse_direction_NS_24const_host_device_scalarIT1_EEPKiS6_PKS3_iiS8_S4_PS3_21rocsparse_index_base_b
; %bb.0:
	s_clause 0x2
	s_load_b64 s[8:9], s[0:1], 0x48
	s_load_b64 s[4:5], s[0:1], 0x8
	;; [unrolled: 1-line block ×3, first 2 shown]
	s_wait_kmcnt 0x0
	s_bitcmp1_b32 s9, 0
	v_mov_b64_e32 v[2:3], s[4:5]
	s_cselect_b32 s6, -1, 0
	s_delay_alu instid0(SALU_CYCLE_1)
	s_and_b32 vcc_lo, exec_lo, s6
	s_xor_b32 s6, s6, -1
	s_cbranch_vccnz .LBB151_2
; %bb.1:
	v_mov_b32_e32 v1, 0
	flat_load_b64 v[2:3], v1, s[4:5]
.LBB151_2:
	v_mov_b64_e32 v[4:5], s[2:3]
	s_and_not1_b32 vcc_lo, exec_lo, s6
	s_cbranch_vccnz .LBB151_4
; %bb.3:
	s_wait_xcnt 0x0
	v_mov_b32_e32 v1, 0
	flat_load_b64 v[4:5], v1, s[2:3]
.LBB151_4:
	s_wait_loadcnt_dscnt 0x0
	v_cmp_neq_f64_e32 vcc_lo, 0, v[2:3]
	s_delay_alu instid0(VALU_DEP_2) | instskip(SKIP_1) | instid1(SALU_CYCLE_1)
	v_cmp_neq_f64_e64 s2, 1.0, v[4:5]
	s_or_b32 s2, vcc_lo, s2
	s_and_saveexec_b32 s3, s2
	s_cbranch_execz .LBB151_24
; %bb.5:
	s_load_b64 s[10:11], s[0:1], 0x28
	s_mov_b32 s3, 0
	s_wait_kmcnt 0x0
	s_cmp_gt_i32 s10, 0
	s_cselect_b32 s2, -1, 0
	s_delay_alu instid0(SALU_CYCLE_1)
	s_and_b32 exec_lo, exec_lo, s2
	s_cbranch_execz .LBB151_24
; %bb.6:
	s_load_b128 s[4:7], s[0:1], 0x10
	s_bfe_u32 s2, ttmp6, 0x4000c
	v_mbcnt_lo_u32_b32 v6, -1, 0
	s_add_co_i32 s2, s2, 1
	s_and_b32 s9, ttmp6, 15
	s_mul_i32 s2, ttmp9, s2
	s_getreg_b32 s18, hwreg(HW_REG_IB_STS2, 6, 4)
	s_add_co_i32 s9, s9, s2
	s_cmp_eq_u32 s18, 0
	v_dual_mov_b32 v1, 0 :: v_dual_bitop2_b32 v7, 16, v6 bitop3:0x14
	s_cselect_b32 s22, ttmp9, s9
	s_load_b32 s2, s[0:1], 0x4
	s_ashr_i32 s23, s22, 31
	s_clause 0x2
	s_load_b64 s[12:13], s[0:1], 0x20
	s_load_b64 s[14:15], s[0:1], 0x30
	;; [unrolled: 1-line block ×3, first 2 shown]
	s_lshl_b64 s[18:19], s[22:23], 2
	v_cmp_gt_i32_e32 vcc_lo, 32, v7
	v_xor_b32_e32 v8, 8, v6
	s_wait_xcnt 0x0
	v_cmp_eq_f64_e64 s1, 0, v[4:5]
	v_cmp_gt_i32_e64 s0, s11, v0
	s_wait_kmcnt 0x0
	s_add_nc_u64 s[4:5], s[4:5], s[18:19]
	v_cndmask_b32_e32 v7, v6, v7, vcc_lo
	s_load_b64 s[20:21], s[4:5], 0x0
	v_cmp_gt_i32_e32 vcc_lo, 32, v8
	v_xor_b32_e32 v9, 4, v6
	v_dual_cndmask_b32 v8, v6, v8, vcc_lo :: v_dual_bitop2_b32 v11, 1, v6 bitop3:0x14
	s_delay_alu instid0(VALU_DEP_2) | instskip(SKIP_1) | instid1(VALU_DEP_1)
	v_cmp_gt_i32_e32 vcc_lo, 32, v9
	v_dual_cndmask_b32 v9, v6, v9, vcc_lo :: v_dual_bitop2_b32 v10, 2, v6 bitop3:0x14
	v_cmp_gt_i32_e32 vcc_lo, 32, v10
	s_delay_alu instid0(VALU_DEP_2)
	v_dual_cndmask_b32 v13, v6, v10 :: v_dual_lshlrev_b32 v12, 2, v9
	v_lshlrev_b32_e32 v10, 2, v7
	v_cmp_gt_i32_e32 vcc_lo, 32, v11
	s_wait_kmcnt 0x0
	s_sub_co_i32 s9, s20, s8
	s_sub_co_i32 s18, s21, s8
	s_mul_i32 s4, s10, s9
	s_cmp_lt_i32 s20, s21
	v_cndmask_b32_e32 v6, v6, v11, vcc_lo
	s_mul_i32 s4, s11, s4
	v_dual_lshlrev_b32 v11, 2, v8 :: v_dual_lshlrev_b32 v13, 2, v13
	s_cselect_b32 s19, -1, 0
	s_cmp_lg_u32 s2, 0
	v_lshlrev_b32_e32 v14, 2, v6
	v_cmp_eq_u32_e64 s2, 31, v0
	v_mov_b32_e32 v15, s4
	s_cselect_b32 s20, -1, 0
	s_mul_i32 s21, s10, s22
	s_mul_i32 s22, s11, s10
	s_branch .LBB151_8
.LBB151_7:                              ;   in Loop: Header=BB151_8 Depth=1
	s_wait_xcnt 0x0
	s_or_b32 exec_lo, exec_lo, s4
	v_dual_add_nc_u32 v1, 1, v1 :: v_dual_add_nc_u32 v15, s11, v15
	s_delay_alu instid0(VALU_DEP_1) | instskip(SKIP_1) | instid1(SALU_CYCLE_1)
	v_cmp_le_i32_e32 vcc_lo, s10, v1
	s_or_b32 s3, vcc_lo, s3
	s_and_not1_b32 exec_lo, exec_lo, s3
	s_cbranch_execz .LBB151_24
.LBB151_8:                              ; =>This Loop Header: Depth=1
                                        ;     Child Loop BB151_12 Depth 2
                                        ;       Child Loop BB151_15 Depth 3
	v_mov_b64_e32 v[6:7], 0
	s_and_not1_b32 vcc_lo, exec_lo, s19
	s_cbranch_vccnz .LBB151_19
; %bb.9:                                ;   in Loop: Header=BB151_8 Depth=1
	v_mov_b64_e32 v[6:7], 0
	s_wait_dscnt 0x1
	v_mov_b32_e32 v8, v15
	s_mov_b32 s4, s9
	s_branch .LBB151_12
.LBB151_10:                             ;   in Loop: Header=BB151_12 Depth=2
	s_or_b32 exec_lo, exec_lo, s24
.LBB151_11:                             ;   in Loop: Header=BB151_12 Depth=2
	s_delay_alu instid0(SALU_CYCLE_1) | instskip(SKIP_2) | instid1(SALU_CYCLE_1)
	s_or_b32 exec_lo, exec_lo, s23
	v_add_nc_u32_e32 v8, s22, v8
	s_add_co_i32 s4, s4, 1
	s_cmp_ge_i32 s4, s18
	s_cbranch_scc1 .LBB151_19
.LBB151_12:                             ;   Parent Loop BB151_8 Depth=1
                                        ; =>  This Loop Header: Depth=2
                                        ;       Child Loop BB151_15 Depth 3
	s_and_saveexec_b32 s23, s0
	s_cbranch_execz .LBB151_11
; %bb.13:                               ;   in Loop: Header=BB151_12 Depth=2
	s_ashr_i32 s5, s4, 31
	s_wait_dscnt 0x0
	v_mov_b32_e32 v9, v0
	s_lshl_b64 s[24:25], s[4:5], 2
	s_delay_alu instid0(SALU_CYCLE_1)
	s_add_nc_u64 s[24:25], s[6:7], s[24:25]
	s_load_b32 s5, s[24:25], 0x0
	s_wait_xcnt 0x0
	s_mov_b32 s24, 0
	s_wait_kmcnt 0x0
	s_sub_co_i32 s25, s5, s8
	s_mul_i32 s5, s4, s11
	s_mul_i32 s25, s25, s11
	s_branch .LBB151_15
.LBB151_14:                             ;   in Loop: Header=BB151_15 Depth=3
	v_dual_add_nc_u32 v17, s25, v9 :: v_dual_add_nc_u32 v9, 32, v9
	global_load_b64 v[18:19], v16, s[12:13] scale_offset
	global_load_b64 v[20:21], v17, s[14:15] scale_offset
	v_cmp_le_i32_e32 vcc_lo, s11, v9
	s_or_b32 s24, vcc_lo, s24
	s_wait_loadcnt 0x0
	v_fmac_f64_e32 v[6:7], v[18:19], v[20:21]
	s_wait_xcnt 0x0
	s_and_not1_b32 exec_lo, exec_lo, s24
	s_cbranch_execz .LBB151_10
.LBB151_15:                             ;   Parent Loop BB151_8 Depth=1
                                        ;     Parent Loop BB151_12 Depth=2
                                        ; =>    This Inner Loop Header: Depth=3
	s_and_b32 vcc_lo, exec_lo, s20
	s_cbranch_vccz .LBB151_17
; %bb.16:                               ;   in Loop: Header=BB151_15 Depth=3
	v_add_nc_u32_e32 v16, s5, v9
	s_delay_alu instid0(VALU_DEP_1)
	v_mad_u32 v16, v16, s10, v1
	s_cbranch_execnz .LBB151_14
	s_branch .LBB151_18
.LBB151_17:                             ;   in Loop: Header=BB151_15 Depth=3
                                        ; implicit-def: $vgpr16
.LBB151_18:                             ;   in Loop: Header=BB151_15 Depth=3
	v_add_nc_u32_e32 v16, v8, v9
	s_branch .LBB151_14
.LBB151_19:                             ;   in Loop: Header=BB151_8 Depth=1
	s_wait_dscnt 0x1
	ds_bpermute_b32 v8, v10, v6
	s_wait_dscnt 0x1
	ds_bpermute_b32 v9, v10, v7
	s_wait_dscnt 0x0
	v_add_f64_e32 v[6:7], v[6:7], v[8:9]
	ds_bpermute_b32 v8, v11, v6
	ds_bpermute_b32 v9, v11, v7
	s_wait_dscnt 0x0
	v_add_f64_e32 v[6:7], v[6:7], v[8:9]
	ds_bpermute_b32 v8, v12, v6
	;; [unrolled: 4-line block ×4, first 2 shown]
	ds_bpermute_b32 v9, v14, v7
	s_and_saveexec_b32 s4, s2
	s_cbranch_execz .LBB151_7
; %bb.20:                               ;   in Loop: Header=BB151_8 Depth=1
	s_wait_dscnt 0x0
	v_add_f64_e32 v[6:7], v[6:7], v[8:9]
	s_delay_alu instid0(VALU_DEP_1) | instskip(SKIP_1) | instid1(SALU_CYCLE_1)
	v_dual_mul_f64 v[6:7], v[2:3], v[6:7] :: v_dual_add_nc_u32 v8, s21, v1
	s_and_saveexec_b32 s5, s1
	s_xor_b32 s5, exec_lo, s5
	s_cbranch_execz .LBB151_22
; %bb.21:                               ;   in Loop: Header=BB151_8 Depth=1
	global_store_b64 v8, v[6:7], s[16:17] scale_offset
                                        ; implicit-def: $vgpr8
                                        ; implicit-def: $vgpr6_vgpr7
.LBB151_22:                             ;   in Loop: Header=BB151_8 Depth=1
	s_wait_xcnt 0x0
	s_and_not1_saveexec_b32 s5, s5
	s_cbranch_execz .LBB151_7
; %bb.23:                               ;   in Loop: Header=BB151_8 Depth=1
	global_load_b64 v[16:17], v8, s[16:17] scale_offset
	s_wait_loadcnt 0x0
	v_fmac_f64_e32 v[6:7], v[4:5], v[16:17]
	global_store_b64 v8, v[6:7], s[16:17] scale_offset
	s_branch .LBB151_7
.LBB151_24:
	s_endpgm
	.section	.rodata,"a",@progbits
	.p2align	6, 0x0
	.amdhsa_kernel _ZN9rocsparseL23gebsrmvn_general_kernelILj32ELj32EdEEvi20rocsparse_direction_NS_24const_host_device_scalarIT1_EEPKiS6_PKS3_iiS8_S4_PS3_21rocsparse_index_base_b
		.amdhsa_group_segment_fixed_size 0
		.amdhsa_private_segment_fixed_size 0
		.amdhsa_kernarg_size 80
		.amdhsa_user_sgpr_count 2
		.amdhsa_user_sgpr_dispatch_ptr 0
		.amdhsa_user_sgpr_queue_ptr 0
		.amdhsa_user_sgpr_kernarg_segment_ptr 1
		.amdhsa_user_sgpr_dispatch_id 0
		.amdhsa_user_sgpr_kernarg_preload_length 0
		.amdhsa_user_sgpr_kernarg_preload_offset 0
		.amdhsa_user_sgpr_private_segment_size 0
		.amdhsa_wavefront_size32 1
		.amdhsa_uses_dynamic_stack 0
		.amdhsa_enable_private_segment 0
		.amdhsa_system_sgpr_workgroup_id_x 1
		.amdhsa_system_sgpr_workgroup_id_y 0
		.amdhsa_system_sgpr_workgroup_id_z 0
		.amdhsa_system_sgpr_workgroup_info 0
		.amdhsa_system_vgpr_workitem_id 0
		.amdhsa_next_free_vgpr 22
		.amdhsa_next_free_sgpr 26
		.amdhsa_named_barrier_count 0
		.amdhsa_reserve_vcc 1
		.amdhsa_float_round_mode_32 0
		.amdhsa_float_round_mode_16_64 0
		.amdhsa_float_denorm_mode_32 3
		.amdhsa_float_denorm_mode_16_64 3
		.amdhsa_fp16_overflow 0
		.amdhsa_memory_ordered 1
		.amdhsa_forward_progress 1
		.amdhsa_inst_pref_size 8
		.amdhsa_round_robin_scheduling 0
		.amdhsa_exception_fp_ieee_invalid_op 0
		.amdhsa_exception_fp_denorm_src 0
		.amdhsa_exception_fp_ieee_div_zero 0
		.amdhsa_exception_fp_ieee_overflow 0
		.amdhsa_exception_fp_ieee_underflow 0
		.amdhsa_exception_fp_ieee_inexact 0
		.amdhsa_exception_int_div_zero 0
	.end_amdhsa_kernel
	.section	.text._ZN9rocsparseL23gebsrmvn_general_kernelILj32ELj32EdEEvi20rocsparse_direction_NS_24const_host_device_scalarIT1_EEPKiS6_PKS3_iiS8_S4_PS3_21rocsparse_index_base_b,"axG",@progbits,_ZN9rocsparseL23gebsrmvn_general_kernelILj32ELj32EdEEvi20rocsparse_direction_NS_24const_host_device_scalarIT1_EEPKiS6_PKS3_iiS8_S4_PS3_21rocsparse_index_base_b,comdat
.Lfunc_end151:
	.size	_ZN9rocsparseL23gebsrmvn_general_kernelILj32ELj32EdEEvi20rocsparse_direction_NS_24const_host_device_scalarIT1_EEPKiS6_PKS3_iiS8_S4_PS3_21rocsparse_index_base_b, .Lfunc_end151-_ZN9rocsparseL23gebsrmvn_general_kernelILj32ELj32EdEEvi20rocsparse_direction_NS_24const_host_device_scalarIT1_EEPKiS6_PKS3_iiS8_S4_PS3_21rocsparse_index_base_b
                                        ; -- End function
	.set _ZN9rocsparseL23gebsrmvn_general_kernelILj32ELj32EdEEvi20rocsparse_direction_NS_24const_host_device_scalarIT1_EEPKiS6_PKS3_iiS8_S4_PS3_21rocsparse_index_base_b.num_vgpr, 22
	.set _ZN9rocsparseL23gebsrmvn_general_kernelILj32ELj32EdEEvi20rocsparse_direction_NS_24const_host_device_scalarIT1_EEPKiS6_PKS3_iiS8_S4_PS3_21rocsparse_index_base_b.num_agpr, 0
	.set _ZN9rocsparseL23gebsrmvn_general_kernelILj32ELj32EdEEvi20rocsparse_direction_NS_24const_host_device_scalarIT1_EEPKiS6_PKS3_iiS8_S4_PS3_21rocsparse_index_base_b.numbered_sgpr, 26
	.set _ZN9rocsparseL23gebsrmvn_general_kernelILj32ELj32EdEEvi20rocsparse_direction_NS_24const_host_device_scalarIT1_EEPKiS6_PKS3_iiS8_S4_PS3_21rocsparse_index_base_b.num_named_barrier, 0
	.set _ZN9rocsparseL23gebsrmvn_general_kernelILj32ELj32EdEEvi20rocsparse_direction_NS_24const_host_device_scalarIT1_EEPKiS6_PKS3_iiS8_S4_PS3_21rocsparse_index_base_b.private_seg_size, 0
	.set _ZN9rocsparseL23gebsrmvn_general_kernelILj32ELj32EdEEvi20rocsparse_direction_NS_24const_host_device_scalarIT1_EEPKiS6_PKS3_iiS8_S4_PS3_21rocsparse_index_base_b.uses_vcc, 1
	.set _ZN9rocsparseL23gebsrmvn_general_kernelILj32ELj32EdEEvi20rocsparse_direction_NS_24const_host_device_scalarIT1_EEPKiS6_PKS3_iiS8_S4_PS3_21rocsparse_index_base_b.uses_flat_scratch, 0
	.set _ZN9rocsparseL23gebsrmvn_general_kernelILj32ELj32EdEEvi20rocsparse_direction_NS_24const_host_device_scalarIT1_EEPKiS6_PKS3_iiS8_S4_PS3_21rocsparse_index_base_b.has_dyn_sized_stack, 0
	.set _ZN9rocsparseL23gebsrmvn_general_kernelILj32ELj32EdEEvi20rocsparse_direction_NS_24const_host_device_scalarIT1_EEPKiS6_PKS3_iiS8_S4_PS3_21rocsparse_index_base_b.has_recursion, 0
	.set _ZN9rocsparseL23gebsrmvn_general_kernelILj32ELj32EdEEvi20rocsparse_direction_NS_24const_host_device_scalarIT1_EEPKiS6_PKS3_iiS8_S4_PS3_21rocsparse_index_base_b.has_indirect_call, 0
	.section	.AMDGPU.csdata,"",@progbits
; Kernel info:
; codeLenInByte = 976
; TotalNumSgprs: 28
; NumVgprs: 22
; ScratchSize: 0
; MemoryBound: 0
; FloatMode: 240
; IeeeMode: 1
; LDSByteSize: 0 bytes/workgroup (compile time only)
; SGPRBlocks: 0
; VGPRBlocks: 1
; NumSGPRsForWavesPerEU: 28
; NumVGPRsForWavesPerEU: 22
; NamedBarCnt: 0
; Occupancy: 16
; WaveLimiterHint : 1
; COMPUTE_PGM_RSRC2:SCRATCH_EN: 0
; COMPUTE_PGM_RSRC2:USER_SGPR: 2
; COMPUTE_PGM_RSRC2:TRAP_HANDLER: 0
; COMPUTE_PGM_RSRC2:TGID_X_EN: 1
; COMPUTE_PGM_RSRC2:TGID_Y_EN: 0
; COMPUTE_PGM_RSRC2:TGID_Z_EN: 0
; COMPUTE_PGM_RSRC2:TIDIG_COMP_CNT: 0
	.section	.text._ZN9rocsparseL19gebsrmvn_2xn_kernelILj128ELj1ELj4E21rocsparse_complex_numIfEEEvi20rocsparse_direction_NS_24const_host_device_scalarIT2_EEPKiS8_PKS5_SA_S6_PS5_21rocsparse_index_base_b,"axG",@progbits,_ZN9rocsparseL19gebsrmvn_2xn_kernelILj128ELj1ELj4E21rocsparse_complex_numIfEEEvi20rocsparse_direction_NS_24const_host_device_scalarIT2_EEPKiS8_PKS5_SA_S6_PS5_21rocsparse_index_base_b,comdat
	.globl	_ZN9rocsparseL19gebsrmvn_2xn_kernelILj128ELj1ELj4E21rocsparse_complex_numIfEEEvi20rocsparse_direction_NS_24const_host_device_scalarIT2_EEPKiS8_PKS5_SA_S6_PS5_21rocsparse_index_base_b ; -- Begin function _ZN9rocsparseL19gebsrmvn_2xn_kernelILj128ELj1ELj4E21rocsparse_complex_numIfEEEvi20rocsparse_direction_NS_24const_host_device_scalarIT2_EEPKiS8_PKS5_SA_S6_PS5_21rocsparse_index_base_b
	.p2align	8
	.type	_ZN9rocsparseL19gebsrmvn_2xn_kernelILj128ELj1ELj4E21rocsparse_complex_numIfEEEvi20rocsparse_direction_NS_24const_host_device_scalarIT2_EEPKiS8_PKS5_SA_S6_PS5_21rocsparse_index_base_b,@function
_ZN9rocsparseL19gebsrmvn_2xn_kernelILj128ELj1ELj4E21rocsparse_complex_numIfEEEvi20rocsparse_direction_NS_24const_host_device_scalarIT2_EEPKiS8_PKS5_SA_S6_PS5_21rocsparse_index_base_b: ; @_ZN9rocsparseL19gebsrmvn_2xn_kernelILj128ELj1ELj4E21rocsparse_complex_numIfEEEvi20rocsparse_direction_NS_24const_host_device_scalarIT2_EEPKiS8_PKS5_SA_S6_PS5_21rocsparse_index_base_b
; %bb.0:
	s_clause 0x2
	s_load_b64 s[12:13], s[0:1], 0x40
	s_load_b64 s[2:3], s[0:1], 0x8
	;; [unrolled: 1-line block ×3, first 2 shown]
	v_mov_b32_e32 v1, 0
	s_add_nc_u64 s[6:7], s[0:1], 8
	s_add_nc_u64 s[8:9], s[0:1], 48
	s_wait_kmcnt 0x0
	s_bitcmp1_b32 s13, 0
	s_cselect_b32 s3, s7, s3
	s_cselect_b32 s2, s6, s2
	;; [unrolled: 1-line block ×4, first 2 shown]
	s_clause 0x1
	flat_load_b64 v[2:3], v1, s[2:3]
	flat_load_b64 v[4:5], v1, s[4:5]
	s_wait_loadcnt_dscnt 0x101
	v_cmp_eq_f32_e32 vcc_lo, 0, v2
	v_cmp_eq_f32_e64 s2, 0, v3
	s_wait_loadcnt_dscnt 0x0
	v_cmp_eq_f32_e64 s3, 1.0, v4
	v_cmp_eq_f32_e64 s4, 0, v5
	s_and_b32 s2, vcc_lo, s2
	s_and_b32 s3, s3, s4
	s_delay_alu instid0(SALU_CYCLE_1) | instskip(NEXT) | instid1(SALU_CYCLE_1)
	s_and_b32 s2, s2, s3
	s_xor_b32 s2, s2, -1
	s_delay_alu instid0(SALU_CYCLE_1)
	s_and_saveexec_b32 s3, s2
	s_cbranch_execz .LBB152_19
; %bb.1:
	s_load_b64 s[2:3], s[0:1], 0x0
	s_bfe_u32 s4, ttmp6, 0x4000c
	s_and_b32 s5, ttmp6, 15
	s_add_co_i32 s4, s4, 1
	s_getreg_b32 s6, hwreg(HW_REG_IB_STS2, 6, 4)
	s_mul_i32 s4, ttmp9, s4
	v_lshrrev_b32_e32 v1, 2, v0
	s_add_co_i32 s5, s5, s4
	s_cmp_eq_u32 s6, 0
	s_cselect_b32 s4, ttmp9, s5
	s_delay_alu instid0(VALU_DEP_1) | instid1(SALU_CYCLE_1)
	v_lshl_or_b32 v6, s4, 5, v1
	s_wait_kmcnt 0x0
	s_delay_alu instid0(VALU_DEP_1)
	v_cmp_gt_i32_e32 vcc_lo, s2, v6
	s_and_b32 exec_lo, exec_lo, vcc_lo
	s_cbranch_execz .LBB152_19
; %bb.2:
	s_load_b256 s[4:11], s[0:1], 0x10
	v_ashrrev_i32_e32 v7, 31, v6
	s_cmp_lg_u32 s3, 0
	s_wait_kmcnt 0x0
	s_delay_alu instid0(VALU_DEP_1)
	v_lshl_add_u64 v[8:9], v[6:7], 2, s[4:5]
	v_and_b32_e32 v7, 3, v0
	global_load_b64 v[8:9], v[8:9], off
	s_wait_loadcnt 0x0
	v_subrev_nc_u32_e32 v0, s12, v8
	v_subrev_nc_u32_e32 v12, s12, v9
	s_delay_alu instid0(VALU_DEP_2) | instskip(NEXT) | instid1(VALU_DEP_1)
	v_add_nc_u32_e32 v13, v0, v7
	v_cmp_lt_i32_e64 s2, v13, v12
	s_cbranch_scc0 .LBB152_8
; %bb.3:
	v_mov_b32_e32 v1, 0
	s_delay_alu instid0(VALU_DEP_1)
	v_dual_mov_b32 v0, v1 :: v_dual_mov_b32 v9, v1
	v_mov_b32_e32 v8, v1
	s_and_saveexec_b32 s3, s2
	s_cbranch_execz .LBB152_7
; %bb.4:
	v_dual_mov_b32 v11, 0 :: v_dual_lshlrev_b32 v10, 1, v13
	v_mov_b32_e32 v14, v13
	s_mov_b32 s4, 0
	s_delay_alu instid0(VALU_DEP_2)
	v_dual_mov_b32 v8, v11 :: v_dual_mov_b32 v9, v11
	v_dual_mov_b32 v0, v11 :: v_dual_mov_b32 v1, v11
.LBB152_5:                              ; =>This Inner Loop Header: Depth=1
	global_load_b32 v15, v14, s[6:7] scale_offset
	v_lshl_add_u64 v[20:21], v[10:11], 3, s[8:9]
	v_add_nc_u32_e32 v10, 8, v10
	s_wait_loadcnt 0x0
	v_subrev_nc_u32_e32 v15, s12, v15
	global_load_b128 v[16:19], v[20:21], off
	global_load_b64 v[22:23], v15, s[10:11] scale_offset
	s_wait_loadcnt 0x1
	s_wait_xcnt 0x1
	v_dual_mov_b32 v21, v18 :: v_dual_add_nc_u32 v14, 4, v14
	v_xor_b32_e32 v20, 0x80000000, v19
	s_wait_loadcnt 0x0
	v_pk_fma_f32 v[0:1], v[16:17], v[22:23], v[0:1] op_sel_hi:[1,0,1]
	v_pk_fma_f32 v[8:9], v[18:19], v[22:23], v[8:9] op_sel_hi:[1,0,1]
	v_cmp_ge_i32_e32 vcc_lo, v14, v12
	s_delay_alu instid0(VALU_DEP_3) | instskip(NEXT) | instid1(VALU_DEP_3)
	v_pk_fma_f32 v[0:1], v[16:17], v[22:23], v[0:1] op_sel:[1,1,0] op_sel_hi:[0,1,1] neg_lo:[1,0,0]
	v_pk_fma_f32 v[8:9], v[20:21], v[22:23], v[8:9] op_sel:[0,1,0]
	s_or_b32 s4, vcc_lo, s4
	s_delay_alu instid0(SALU_CYCLE_1)
	s_and_not1_b32 exec_lo, exec_lo, s4
	s_cbranch_execnz .LBB152_5
; %bb.6:
	s_or_b32 exec_lo, exec_lo, s4
.LBB152_7:
	s_delay_alu instid0(SALU_CYCLE_1)
	s_or_b32 exec_lo, exec_lo, s3
	s_cbranch_execz .LBB152_9
	s_branch .LBB152_14
.LBB152_8:
                                        ; implicit-def: $vgpr1
                                        ; implicit-def: $vgpr9
.LBB152_9:
	v_mov_b32_e32 v1, 0
	s_delay_alu instid0(VALU_DEP_1)
	v_dual_mov_b32 v0, v1 :: v_dual_mov_b32 v9, v1
	v_mov_b32_e32 v8, v1
	s_and_saveexec_b32 s3, s2
	s_cbranch_execz .LBB152_13
; %bb.10:
	v_dual_mov_b32 v11, 0 :: v_dual_lshlrev_b32 v10, 1, v13
	s_mov_b32 s2, 0
	s_delay_alu instid0(VALU_DEP_1)
	v_dual_mov_b32 v8, v11 :: v_dual_mov_b32 v9, v11
	v_dual_mov_b32 v0, v11 :: v_dual_mov_b32 v1, v11
.LBB152_11:                             ; =>This Inner Loop Header: Depth=1
	global_load_b32 v14, v13, s[6:7] scale_offset
	v_lshl_add_u64 v[18:19], v[10:11], 3, s[8:9]
	v_add_nc_u32_e32 v10, 8, v10
	s_wait_loadcnt 0x0
	v_subrev_nc_u32_e32 v22, s12, v14
	global_load_b128 v[14:17], v[18:19], off
	global_load_b64 v[20:21], v22, s[10:11] scale_offset
	s_wait_loadcnt 0x1
	s_wait_xcnt 0x1
	v_dual_add_nc_u32 v13, 4, v13 :: v_dual_mov_b32 v19, v16
	v_xor_b32_e32 v18, 0x80000000, v17
	s_wait_loadcnt 0x0
	v_pk_fma_f32 v[0:1], v[14:15], v[20:21], v[0:1] op_sel_hi:[1,0,1]
	v_pk_fma_f32 v[8:9], v[16:17], v[20:21], v[8:9] op_sel_hi:[1,0,1]
	v_cmp_ge_i32_e32 vcc_lo, v13, v12
	s_delay_alu instid0(VALU_DEP_3) | instskip(NEXT) | instid1(VALU_DEP_3)
	v_pk_fma_f32 v[0:1], v[14:15], v[20:21], v[0:1] op_sel:[1,1,0] op_sel_hi:[0,1,1] neg_lo:[1,0,0]
	v_pk_fma_f32 v[8:9], v[18:19], v[20:21], v[8:9] op_sel:[0,1,0]
	s_or_b32 s2, vcc_lo, s2
	s_delay_alu instid0(SALU_CYCLE_1)
	s_and_not1_b32 exec_lo, exec_lo, s2
	s_cbranch_execnz .LBB152_11
; %bb.12:
	s_or_b32 exec_lo, exec_lo, s2
.LBB152_13:
	s_delay_alu instid0(SALU_CYCLE_1)
	s_or_b32 exec_lo, exec_lo, s3
.LBB152_14:
	v_mbcnt_lo_u32_b32 v10, -1, 0
	s_delay_alu instid0(VALU_DEP_1) | instskip(SKIP_1) | instid1(VALU_DEP_1)
	v_xor_b32_e32 v15, 1, v10
	v_xor_b32_e32 v11, 2, v10
	v_cmp_gt_i32_e32 vcc_lo, 32, v11
	v_cndmask_b32_e32 v11, v10, v11, vcc_lo
	s_delay_alu instid0(VALU_DEP_4) | instskip(SKIP_2) | instid1(VALU_DEP_2)
	v_cmp_gt_i32_e32 vcc_lo, 32, v15
	v_cndmask_b32_e32 v10, v10, v15, vcc_lo
	v_cmp_eq_u32_e32 vcc_lo, 3, v7
	v_dual_lshlrev_b32 v15, 2, v10 :: v_dual_lshlrev_b32 v11, 2, v11
	ds_bpermute_b32 v12, v11, v0
	s_wait_dscnt 0x0
	v_add_f32_e32 v0, v0, v12
	ds_bpermute_b32 v13, v11, v1
	ds_bpermute_b32 v14, v11, v8
	;; [unrolled: 1-line block ×4, first 2 shown]
	s_wait_dscnt 0x2
	v_dual_add_f32 v10, v1, v13 :: v_dual_add_f32 v1, v8, v14
	s_wait_dscnt 0x1
	v_add_f32_e32 v9, v9, v11
	ds_bpermute_b32 v13, v15, v10
	ds_bpermute_b32 v8, v15, v1
	;; [unrolled: 1-line block ×3, first 2 shown]
	s_and_b32 exec_lo, exec_lo, vcc_lo
	s_cbranch_execz .LBB152_19
; %bb.15:
	s_load_b64 s[2:3], s[0:1], 0x38
	v_cmp_eq_f32_e32 vcc_lo, 0, v4
	s_wait_xcnt 0x0
	v_cmp_eq_f32_e64 s0, 0, v5
	s_wait_dscnt 0x2
	v_dual_add_f32 v0, v0, v12 :: v_dual_add_f32 v12, v10, v13
	s_wait_dscnt 0x1
	v_add_f32_e32 v8, v1, v8
	s_wait_dscnt 0x0
	v_add_f32_e32 v10, v9, v11
	s_and_b32 s0, vcc_lo, s0
	s_delay_alu instid0(SALU_CYCLE_1) | instskip(NEXT) | instid1(SALU_CYCLE_1)
	s_and_saveexec_b32 s1, s0
	s_xor_b32 s0, exec_lo, s1
	s_cbranch_execz .LBB152_17
; %bb.16:
	v_xor_b32_e32 v4, 0x80000000, v3
	v_dual_mov_b32 v5, v2 :: v_dual_lshlrev_b32 v6, 1, v6
	s_delay_alu instid0(VALU_DEP_1) | instskip(NEXT) | instid1(VALU_DEP_2)
	v_ashrrev_i32_e32 v7, 31, v6
	v_pk_mul_f32 v[12:13], v[12:13], v[4:5] op_sel_hi:[0,1]
	v_pk_mul_f32 v[4:5], v[10:11], v[4:5] op_sel_hi:[0,1]
                                        ; implicit-def: $vgpr10
	s_wait_kmcnt 0x0
	s_delay_alu instid0(VALU_DEP_3) | instskip(NEXT) | instid1(VALU_DEP_3)
	v_lshl_add_u64 v[6:7], v[6:7], 3, s[2:3]
	v_pk_fma_f32 v[0:1], v[2:3], v[0:1], v[12:13] op_sel_hi:[1,0,1]
	s_delay_alu instid0(VALU_DEP_3)
	v_pk_fma_f32 v[2:3], v[2:3], v[8:9], v[4:5] op_sel_hi:[1,0,1]
                                        ; implicit-def: $vgpr4_vgpr5
                                        ; implicit-def: $vgpr12
                                        ; implicit-def: $vgpr8
	global_store_b128 v[6:7], v[0:3], off
                                        ; implicit-def: $vgpr6
                                        ; implicit-def: $vgpr2_vgpr3
                                        ; implicit-def: $vgpr0
.LBB152_17:
	s_wait_xcnt 0x0
	s_and_not1_saveexec_b32 s0, s0
	s_cbranch_execz .LBB152_19
; %bb.18:
	v_dual_mov_b32 v19, v2 :: v_dual_lshlrev_b32 v6, 1, v6
	v_xor_b32_e32 v18, 0x80000000, v3
	s_delay_alu instid0(VALU_DEP_2) | instskip(NEXT) | instid1(VALU_DEP_2)
	v_ashrrev_i32_e32 v7, 31, v6
	v_pk_mul_f32 v[12:13], v[12:13], v[18:19] op_sel_hi:[0,1]
	v_pk_mul_f32 v[10:11], v[10:11], v[18:19] op_sel_hi:[0,1]
	s_delay_alu instid0(VALU_DEP_2) | instskip(NEXT) | instid1(VALU_DEP_2)
	v_pk_fma_f32 v[0:1], v[2:3], v[0:1], v[12:13] op_sel_hi:[1,0,1]
	v_pk_fma_f32 v[2:3], v[2:3], v[8:9], v[10:11] op_sel_hi:[1,0,1]
	v_mov_b32_e32 v9, v4
	s_wait_kmcnt 0x0
	v_lshl_add_u64 v[6:7], v[6:7], 3, s[2:3]
	v_xor_b32_e32 v8, 0x80000000, v5
	global_load_b128 v[14:17], v[6:7], off
	s_wait_loadcnt 0x0
	v_pk_fma_f32 v[0:1], v[4:5], v[14:15], v[0:1] op_sel_hi:[1,0,1]
	v_pk_fma_f32 v[2:3], v[4:5], v[16:17], v[2:3] op_sel_hi:[1,0,1]
	v_mov_b32_e32 v4, v17
	s_delay_alu instid0(VALU_DEP_3) | instskip(NEXT) | instid1(VALU_DEP_2)
	v_pk_fma_f32 v[0:1], v[8:9], v[14:15], v[0:1] op_sel:[0,1,0]
	v_pk_fma_f32 v[2:3], v[8:9], v[4:5], v[2:3] op_sel_hi:[1,0,1]
	global_store_b128 v[6:7], v[0:3], off
.LBB152_19:
	s_endpgm
	.section	.rodata,"a",@progbits
	.p2align	6, 0x0
	.amdhsa_kernel _ZN9rocsparseL19gebsrmvn_2xn_kernelILj128ELj1ELj4E21rocsparse_complex_numIfEEEvi20rocsparse_direction_NS_24const_host_device_scalarIT2_EEPKiS8_PKS5_SA_S6_PS5_21rocsparse_index_base_b
		.amdhsa_group_segment_fixed_size 0
		.amdhsa_private_segment_fixed_size 0
		.amdhsa_kernarg_size 72
		.amdhsa_user_sgpr_count 2
		.amdhsa_user_sgpr_dispatch_ptr 0
		.amdhsa_user_sgpr_queue_ptr 0
		.amdhsa_user_sgpr_kernarg_segment_ptr 1
		.amdhsa_user_sgpr_dispatch_id 0
		.amdhsa_user_sgpr_kernarg_preload_length 0
		.amdhsa_user_sgpr_kernarg_preload_offset 0
		.amdhsa_user_sgpr_private_segment_size 0
		.amdhsa_wavefront_size32 1
		.amdhsa_uses_dynamic_stack 0
		.amdhsa_enable_private_segment 0
		.amdhsa_system_sgpr_workgroup_id_x 1
		.amdhsa_system_sgpr_workgroup_id_y 0
		.amdhsa_system_sgpr_workgroup_id_z 0
		.amdhsa_system_sgpr_workgroup_info 0
		.amdhsa_system_vgpr_workitem_id 0
		.amdhsa_next_free_vgpr 24
		.amdhsa_next_free_sgpr 14
		.amdhsa_named_barrier_count 0
		.amdhsa_reserve_vcc 1
		.amdhsa_float_round_mode_32 0
		.amdhsa_float_round_mode_16_64 0
		.amdhsa_float_denorm_mode_32 3
		.amdhsa_float_denorm_mode_16_64 3
		.amdhsa_fp16_overflow 0
		.amdhsa_memory_ordered 1
		.amdhsa_forward_progress 1
		.amdhsa_inst_pref_size 10
		.amdhsa_round_robin_scheduling 0
		.amdhsa_exception_fp_ieee_invalid_op 0
		.amdhsa_exception_fp_denorm_src 0
		.amdhsa_exception_fp_ieee_div_zero 0
		.amdhsa_exception_fp_ieee_overflow 0
		.amdhsa_exception_fp_ieee_underflow 0
		.amdhsa_exception_fp_ieee_inexact 0
		.amdhsa_exception_int_div_zero 0
	.end_amdhsa_kernel
	.section	.text._ZN9rocsparseL19gebsrmvn_2xn_kernelILj128ELj1ELj4E21rocsparse_complex_numIfEEEvi20rocsparse_direction_NS_24const_host_device_scalarIT2_EEPKiS8_PKS5_SA_S6_PS5_21rocsparse_index_base_b,"axG",@progbits,_ZN9rocsparseL19gebsrmvn_2xn_kernelILj128ELj1ELj4E21rocsparse_complex_numIfEEEvi20rocsparse_direction_NS_24const_host_device_scalarIT2_EEPKiS8_PKS5_SA_S6_PS5_21rocsparse_index_base_b,comdat
.Lfunc_end152:
	.size	_ZN9rocsparseL19gebsrmvn_2xn_kernelILj128ELj1ELj4E21rocsparse_complex_numIfEEEvi20rocsparse_direction_NS_24const_host_device_scalarIT2_EEPKiS8_PKS5_SA_S6_PS5_21rocsparse_index_base_b, .Lfunc_end152-_ZN9rocsparseL19gebsrmvn_2xn_kernelILj128ELj1ELj4E21rocsparse_complex_numIfEEEvi20rocsparse_direction_NS_24const_host_device_scalarIT2_EEPKiS8_PKS5_SA_S6_PS5_21rocsparse_index_base_b
                                        ; -- End function
	.set _ZN9rocsparseL19gebsrmvn_2xn_kernelILj128ELj1ELj4E21rocsparse_complex_numIfEEEvi20rocsparse_direction_NS_24const_host_device_scalarIT2_EEPKiS8_PKS5_SA_S6_PS5_21rocsparse_index_base_b.num_vgpr, 24
	.set _ZN9rocsparseL19gebsrmvn_2xn_kernelILj128ELj1ELj4E21rocsparse_complex_numIfEEEvi20rocsparse_direction_NS_24const_host_device_scalarIT2_EEPKiS8_PKS5_SA_S6_PS5_21rocsparse_index_base_b.num_agpr, 0
	.set _ZN9rocsparseL19gebsrmvn_2xn_kernelILj128ELj1ELj4E21rocsparse_complex_numIfEEEvi20rocsparse_direction_NS_24const_host_device_scalarIT2_EEPKiS8_PKS5_SA_S6_PS5_21rocsparse_index_base_b.numbered_sgpr, 14
	.set _ZN9rocsparseL19gebsrmvn_2xn_kernelILj128ELj1ELj4E21rocsparse_complex_numIfEEEvi20rocsparse_direction_NS_24const_host_device_scalarIT2_EEPKiS8_PKS5_SA_S6_PS5_21rocsparse_index_base_b.num_named_barrier, 0
	.set _ZN9rocsparseL19gebsrmvn_2xn_kernelILj128ELj1ELj4E21rocsparse_complex_numIfEEEvi20rocsparse_direction_NS_24const_host_device_scalarIT2_EEPKiS8_PKS5_SA_S6_PS5_21rocsparse_index_base_b.private_seg_size, 0
	.set _ZN9rocsparseL19gebsrmvn_2xn_kernelILj128ELj1ELj4E21rocsparse_complex_numIfEEEvi20rocsparse_direction_NS_24const_host_device_scalarIT2_EEPKiS8_PKS5_SA_S6_PS5_21rocsparse_index_base_b.uses_vcc, 1
	.set _ZN9rocsparseL19gebsrmvn_2xn_kernelILj128ELj1ELj4E21rocsparse_complex_numIfEEEvi20rocsparse_direction_NS_24const_host_device_scalarIT2_EEPKiS8_PKS5_SA_S6_PS5_21rocsparse_index_base_b.uses_flat_scratch, 1
	.set _ZN9rocsparseL19gebsrmvn_2xn_kernelILj128ELj1ELj4E21rocsparse_complex_numIfEEEvi20rocsparse_direction_NS_24const_host_device_scalarIT2_EEPKiS8_PKS5_SA_S6_PS5_21rocsparse_index_base_b.has_dyn_sized_stack, 0
	.set _ZN9rocsparseL19gebsrmvn_2xn_kernelILj128ELj1ELj4E21rocsparse_complex_numIfEEEvi20rocsparse_direction_NS_24const_host_device_scalarIT2_EEPKiS8_PKS5_SA_S6_PS5_21rocsparse_index_base_b.has_recursion, 0
	.set _ZN9rocsparseL19gebsrmvn_2xn_kernelILj128ELj1ELj4E21rocsparse_complex_numIfEEEvi20rocsparse_direction_NS_24const_host_device_scalarIT2_EEPKiS8_PKS5_SA_S6_PS5_21rocsparse_index_base_b.has_indirect_call, 0
	.section	.AMDGPU.csdata,"",@progbits
; Kernel info:
; codeLenInByte = 1248
; TotalNumSgprs: 16
; NumVgprs: 24
; ScratchSize: 0
; MemoryBound: 0
; FloatMode: 240
; IeeeMode: 1
; LDSByteSize: 0 bytes/workgroup (compile time only)
; SGPRBlocks: 0
; VGPRBlocks: 1
; NumSGPRsForWavesPerEU: 16
; NumVGPRsForWavesPerEU: 24
; NamedBarCnt: 0
; Occupancy: 16
; WaveLimiterHint : 1
; COMPUTE_PGM_RSRC2:SCRATCH_EN: 0
; COMPUTE_PGM_RSRC2:USER_SGPR: 2
; COMPUTE_PGM_RSRC2:TRAP_HANDLER: 0
; COMPUTE_PGM_RSRC2:TGID_X_EN: 1
; COMPUTE_PGM_RSRC2:TGID_Y_EN: 0
; COMPUTE_PGM_RSRC2:TGID_Z_EN: 0
; COMPUTE_PGM_RSRC2:TIDIG_COMP_CNT: 0
	.section	.text._ZN9rocsparseL19gebsrmvn_2xn_kernelILj128ELj1ELj8E21rocsparse_complex_numIfEEEvi20rocsparse_direction_NS_24const_host_device_scalarIT2_EEPKiS8_PKS5_SA_S6_PS5_21rocsparse_index_base_b,"axG",@progbits,_ZN9rocsparseL19gebsrmvn_2xn_kernelILj128ELj1ELj8E21rocsparse_complex_numIfEEEvi20rocsparse_direction_NS_24const_host_device_scalarIT2_EEPKiS8_PKS5_SA_S6_PS5_21rocsparse_index_base_b,comdat
	.globl	_ZN9rocsparseL19gebsrmvn_2xn_kernelILj128ELj1ELj8E21rocsparse_complex_numIfEEEvi20rocsparse_direction_NS_24const_host_device_scalarIT2_EEPKiS8_PKS5_SA_S6_PS5_21rocsparse_index_base_b ; -- Begin function _ZN9rocsparseL19gebsrmvn_2xn_kernelILj128ELj1ELj8E21rocsparse_complex_numIfEEEvi20rocsparse_direction_NS_24const_host_device_scalarIT2_EEPKiS8_PKS5_SA_S6_PS5_21rocsparse_index_base_b
	.p2align	8
	.type	_ZN9rocsparseL19gebsrmvn_2xn_kernelILj128ELj1ELj8E21rocsparse_complex_numIfEEEvi20rocsparse_direction_NS_24const_host_device_scalarIT2_EEPKiS8_PKS5_SA_S6_PS5_21rocsparse_index_base_b,@function
_ZN9rocsparseL19gebsrmvn_2xn_kernelILj128ELj1ELj8E21rocsparse_complex_numIfEEEvi20rocsparse_direction_NS_24const_host_device_scalarIT2_EEPKiS8_PKS5_SA_S6_PS5_21rocsparse_index_base_b: ; @_ZN9rocsparseL19gebsrmvn_2xn_kernelILj128ELj1ELj8E21rocsparse_complex_numIfEEEvi20rocsparse_direction_NS_24const_host_device_scalarIT2_EEPKiS8_PKS5_SA_S6_PS5_21rocsparse_index_base_b
; %bb.0:
	s_clause 0x2
	s_load_b64 s[12:13], s[0:1], 0x40
	s_load_b64 s[2:3], s[0:1], 0x8
	;; [unrolled: 1-line block ×3, first 2 shown]
	v_mov_b32_e32 v1, 0
	s_add_nc_u64 s[6:7], s[0:1], 8
	s_add_nc_u64 s[8:9], s[0:1], 48
	s_wait_kmcnt 0x0
	s_bitcmp1_b32 s13, 0
	s_cselect_b32 s3, s7, s3
	s_cselect_b32 s2, s6, s2
	;; [unrolled: 1-line block ×4, first 2 shown]
	s_clause 0x1
	flat_load_b64 v[2:3], v1, s[2:3]
	flat_load_b64 v[4:5], v1, s[4:5]
	s_wait_loadcnt_dscnt 0x101
	v_cmp_eq_f32_e32 vcc_lo, 0, v2
	v_cmp_eq_f32_e64 s2, 0, v3
	s_wait_loadcnt_dscnt 0x0
	v_cmp_eq_f32_e64 s3, 1.0, v4
	v_cmp_eq_f32_e64 s4, 0, v5
	s_and_b32 s2, vcc_lo, s2
	s_and_b32 s3, s3, s4
	s_delay_alu instid0(SALU_CYCLE_1) | instskip(NEXT) | instid1(SALU_CYCLE_1)
	s_and_b32 s2, s2, s3
	s_xor_b32 s2, s2, -1
	s_delay_alu instid0(SALU_CYCLE_1)
	s_and_saveexec_b32 s3, s2
	s_cbranch_execz .LBB153_19
; %bb.1:
	s_load_b64 s[2:3], s[0:1], 0x0
	s_bfe_u32 s4, ttmp6, 0x4000c
	s_and_b32 s5, ttmp6, 15
	s_add_co_i32 s4, s4, 1
	s_getreg_b32 s6, hwreg(HW_REG_IB_STS2, 6, 4)
	s_mul_i32 s4, ttmp9, s4
	v_lshrrev_b32_e32 v1, 3, v0
	s_add_co_i32 s5, s5, s4
	s_cmp_eq_u32 s6, 0
	s_cselect_b32 s4, ttmp9, s5
	s_delay_alu instid0(VALU_DEP_1) | instid1(SALU_CYCLE_1)
	v_lshl_or_b32 v6, s4, 4, v1
	s_wait_kmcnt 0x0
	s_delay_alu instid0(VALU_DEP_1)
	v_cmp_gt_i32_e32 vcc_lo, s2, v6
	s_and_b32 exec_lo, exec_lo, vcc_lo
	s_cbranch_execz .LBB153_19
; %bb.2:
	s_load_b256 s[4:11], s[0:1], 0x10
	v_ashrrev_i32_e32 v7, 31, v6
	s_cmp_lg_u32 s3, 0
	s_wait_kmcnt 0x0
	s_delay_alu instid0(VALU_DEP_1)
	v_lshl_add_u64 v[8:9], v[6:7], 2, s[4:5]
	v_and_b32_e32 v7, 7, v0
	global_load_b64 v[8:9], v[8:9], off
	s_wait_loadcnt 0x0
	v_subrev_nc_u32_e32 v0, s12, v8
	v_subrev_nc_u32_e32 v12, s12, v9
	s_delay_alu instid0(VALU_DEP_2) | instskip(NEXT) | instid1(VALU_DEP_1)
	v_add_nc_u32_e32 v13, v0, v7
	v_cmp_lt_i32_e64 s2, v13, v12
	s_cbranch_scc0 .LBB153_8
; %bb.3:
	v_mov_b32_e32 v1, 0
	s_delay_alu instid0(VALU_DEP_1)
	v_dual_mov_b32 v0, v1 :: v_dual_mov_b32 v9, v1
	v_mov_b32_e32 v8, v1
	s_and_saveexec_b32 s3, s2
	s_cbranch_execz .LBB153_7
; %bb.4:
	v_dual_mov_b32 v11, 0 :: v_dual_lshlrev_b32 v10, 1, v13
	v_mov_b32_e32 v14, v13
	s_mov_b32 s4, 0
	s_delay_alu instid0(VALU_DEP_2)
	v_dual_mov_b32 v8, v11 :: v_dual_mov_b32 v9, v11
	v_dual_mov_b32 v0, v11 :: v_dual_mov_b32 v1, v11
.LBB153_5:                              ; =>This Inner Loop Header: Depth=1
	global_load_b32 v15, v14, s[6:7] scale_offset
	v_lshl_add_u64 v[20:21], v[10:11], 3, s[8:9]
	v_add_nc_u32_e32 v10, 16, v10
	s_wait_loadcnt 0x0
	v_subrev_nc_u32_e32 v15, s12, v15
	global_load_b128 v[16:19], v[20:21], off
	global_load_b64 v[22:23], v15, s[10:11] scale_offset
	s_wait_loadcnt 0x1
	s_wait_xcnt 0x1
	v_dual_mov_b32 v21, v18 :: v_dual_add_nc_u32 v14, 8, v14
	v_xor_b32_e32 v20, 0x80000000, v19
	s_wait_loadcnt 0x0
	v_pk_fma_f32 v[0:1], v[16:17], v[22:23], v[0:1] op_sel_hi:[1,0,1]
	v_pk_fma_f32 v[8:9], v[18:19], v[22:23], v[8:9] op_sel_hi:[1,0,1]
	v_cmp_ge_i32_e32 vcc_lo, v14, v12
	s_delay_alu instid0(VALU_DEP_3) | instskip(NEXT) | instid1(VALU_DEP_3)
	v_pk_fma_f32 v[0:1], v[16:17], v[22:23], v[0:1] op_sel:[1,1,0] op_sel_hi:[0,1,1] neg_lo:[1,0,0]
	v_pk_fma_f32 v[8:9], v[20:21], v[22:23], v[8:9] op_sel:[0,1,0]
	s_or_b32 s4, vcc_lo, s4
	s_delay_alu instid0(SALU_CYCLE_1)
	s_and_not1_b32 exec_lo, exec_lo, s4
	s_cbranch_execnz .LBB153_5
; %bb.6:
	s_or_b32 exec_lo, exec_lo, s4
.LBB153_7:
	s_delay_alu instid0(SALU_CYCLE_1)
	s_or_b32 exec_lo, exec_lo, s3
	s_cbranch_execz .LBB153_9
	s_branch .LBB153_14
.LBB153_8:
                                        ; implicit-def: $vgpr1
                                        ; implicit-def: $vgpr9
.LBB153_9:
	v_mov_b32_e32 v1, 0
	s_delay_alu instid0(VALU_DEP_1)
	v_dual_mov_b32 v0, v1 :: v_dual_mov_b32 v9, v1
	v_mov_b32_e32 v8, v1
	s_and_saveexec_b32 s3, s2
	s_cbranch_execz .LBB153_13
; %bb.10:
	v_dual_mov_b32 v11, 0 :: v_dual_lshlrev_b32 v10, 1, v13
	s_mov_b32 s2, 0
	s_delay_alu instid0(VALU_DEP_1)
	v_dual_mov_b32 v8, v11 :: v_dual_mov_b32 v9, v11
	v_dual_mov_b32 v0, v11 :: v_dual_mov_b32 v1, v11
.LBB153_11:                             ; =>This Inner Loop Header: Depth=1
	global_load_b32 v14, v13, s[6:7] scale_offset
	v_lshl_add_u64 v[18:19], v[10:11], 3, s[8:9]
	v_add_nc_u32_e32 v10, 16, v10
	s_wait_loadcnt 0x0
	v_subrev_nc_u32_e32 v22, s12, v14
	global_load_b128 v[14:17], v[18:19], off
	global_load_b64 v[20:21], v22, s[10:11] scale_offset
	s_wait_loadcnt 0x1
	s_wait_xcnt 0x1
	v_dual_add_nc_u32 v13, 8, v13 :: v_dual_mov_b32 v19, v16
	v_xor_b32_e32 v18, 0x80000000, v17
	s_wait_loadcnt 0x0
	v_pk_fma_f32 v[0:1], v[14:15], v[20:21], v[0:1] op_sel_hi:[1,0,1]
	v_pk_fma_f32 v[8:9], v[16:17], v[20:21], v[8:9] op_sel_hi:[1,0,1]
	v_cmp_ge_i32_e32 vcc_lo, v13, v12
	s_delay_alu instid0(VALU_DEP_3) | instskip(NEXT) | instid1(VALU_DEP_3)
	v_pk_fma_f32 v[0:1], v[14:15], v[20:21], v[0:1] op_sel:[1,1,0] op_sel_hi:[0,1,1] neg_lo:[1,0,0]
	v_pk_fma_f32 v[8:9], v[18:19], v[20:21], v[8:9] op_sel:[0,1,0]
	s_or_b32 s2, vcc_lo, s2
	s_delay_alu instid0(SALU_CYCLE_1)
	s_and_not1_b32 exec_lo, exec_lo, s2
	s_cbranch_execnz .LBB153_11
; %bb.12:
	s_or_b32 exec_lo, exec_lo, s2
.LBB153_13:
	s_delay_alu instid0(SALU_CYCLE_1)
	s_or_b32 exec_lo, exec_lo, s3
.LBB153_14:
	v_mbcnt_lo_u32_b32 v10, -1, 0
	s_delay_alu instid0(VALU_DEP_1) | instskip(SKIP_1) | instid1(VALU_DEP_1)
	v_xor_b32_e32 v15, 2, v10
	v_xor_b32_e32 v11, 4, v10
	v_cmp_gt_i32_e32 vcc_lo, 32, v11
	v_cndmask_b32_e32 v11, v10, v11, vcc_lo
	s_delay_alu instid0(VALU_DEP_1)
	v_lshlrev_b32_e32 v11, 2, v11
	ds_bpermute_b32 v13, v11, v1
	s_wait_dscnt 0x0
	v_add_f32_e32 v1, v1, v13
	ds_bpermute_b32 v12, v11, v0
	ds_bpermute_b32 v14, v11, v8
	;; [unrolled: 1-line block ×3, first 2 shown]
	s_wait_dscnt 0x2
	v_add_f32_e32 v0, v0, v12
	s_wait_dscnt 0x0
	v_dual_add_f32 v12, v8, v14 :: v_dual_add_f32 v9, v9, v11
	v_cmp_gt_i32_e32 vcc_lo, 32, v15
	v_cndmask_b32_e32 v15, v10, v15, vcc_lo
	s_delay_alu instid0(VALU_DEP_1)
	v_lshlrev_b32_e32 v15, 2, v15
	ds_bpermute_b32 v8, v15, v0
	ds_bpermute_b32 v11, v15, v1
	;; [unrolled: 1-line block ×4, first 2 shown]
	s_wait_dscnt 0x3
	v_dual_add_f32 v0, v0, v8 :: v_dual_bitop2_b32 v15, 1, v10 bitop3:0x14
	s_delay_alu instid0(VALU_DEP_1)
	v_cmp_gt_i32_e32 vcc_lo, 32, v15
	s_wait_dscnt 0x1
	v_dual_add_f32 v8, v1, v11 :: v_dual_add_f32 v1, v12, v13
	s_wait_dscnt 0x0
	v_dual_add_f32 v9, v9, v14 :: v_dual_cndmask_b32 v10, v10, v15
	v_cmp_eq_u32_e32 vcc_lo, 7, v7
	s_delay_alu instid0(VALU_DEP_2)
	v_lshlrev_b32_e32 v15, 2, v10
	ds_bpermute_b32 v12, v15, v0
	ds_bpermute_b32 v13, v15, v8
	ds_bpermute_b32 v10, v15, v1
	ds_bpermute_b32 v11, v15, v9
	s_and_b32 exec_lo, exec_lo, vcc_lo
	s_cbranch_execz .LBB153_19
; %bb.15:
	s_load_b64 s[2:3], s[0:1], 0x38
	v_cmp_eq_f32_e32 vcc_lo, 0, v4
	s_wait_xcnt 0x0
	v_cmp_eq_f32_e64 s0, 0, v5
	s_wait_dscnt 0x3
	v_add_f32_e32 v0, v0, v12
	s_wait_dscnt 0x1
	v_dual_add_f32 v12, v8, v13 :: v_dual_add_f32 v8, v1, v10
	s_wait_dscnt 0x0
	v_add_f32_e32 v10, v9, v11
	s_and_b32 s0, vcc_lo, s0
	s_delay_alu instid0(SALU_CYCLE_1) | instskip(NEXT) | instid1(SALU_CYCLE_1)
	s_and_saveexec_b32 s1, s0
	s_xor_b32 s0, exec_lo, s1
	s_cbranch_execz .LBB153_17
; %bb.16:
	v_xor_b32_e32 v4, 0x80000000, v3
	v_dual_mov_b32 v5, v2 :: v_dual_lshlrev_b32 v6, 1, v6
	s_delay_alu instid0(VALU_DEP_1) | instskip(NEXT) | instid1(VALU_DEP_2)
	v_ashrrev_i32_e32 v7, 31, v6
	v_pk_mul_f32 v[12:13], v[12:13], v[4:5] op_sel_hi:[0,1]
	v_pk_mul_f32 v[4:5], v[10:11], v[4:5] op_sel_hi:[0,1]
                                        ; implicit-def: $vgpr10
	s_wait_kmcnt 0x0
	s_delay_alu instid0(VALU_DEP_3) | instskip(NEXT) | instid1(VALU_DEP_3)
	v_lshl_add_u64 v[6:7], v[6:7], 3, s[2:3]
	v_pk_fma_f32 v[0:1], v[2:3], v[0:1], v[12:13] op_sel_hi:[1,0,1]
	s_delay_alu instid0(VALU_DEP_3)
	v_pk_fma_f32 v[2:3], v[2:3], v[8:9], v[4:5] op_sel_hi:[1,0,1]
                                        ; implicit-def: $vgpr4_vgpr5
                                        ; implicit-def: $vgpr12
                                        ; implicit-def: $vgpr8
	global_store_b128 v[6:7], v[0:3], off
                                        ; implicit-def: $vgpr6
                                        ; implicit-def: $vgpr2_vgpr3
                                        ; implicit-def: $vgpr0
.LBB153_17:
	s_wait_xcnt 0x0
	s_and_not1_saveexec_b32 s0, s0
	s_cbranch_execz .LBB153_19
; %bb.18:
	v_dual_mov_b32 v19, v2 :: v_dual_lshlrev_b32 v6, 1, v6
	v_xor_b32_e32 v18, 0x80000000, v3
	s_delay_alu instid0(VALU_DEP_2) | instskip(NEXT) | instid1(VALU_DEP_2)
	v_ashrrev_i32_e32 v7, 31, v6
	v_pk_mul_f32 v[12:13], v[12:13], v[18:19] op_sel_hi:[0,1]
	v_pk_mul_f32 v[10:11], v[10:11], v[18:19] op_sel_hi:[0,1]
	s_delay_alu instid0(VALU_DEP_2) | instskip(NEXT) | instid1(VALU_DEP_2)
	v_pk_fma_f32 v[0:1], v[2:3], v[0:1], v[12:13] op_sel_hi:[1,0,1]
	v_pk_fma_f32 v[2:3], v[2:3], v[8:9], v[10:11] op_sel_hi:[1,0,1]
	v_mov_b32_e32 v9, v4
	s_wait_kmcnt 0x0
	v_lshl_add_u64 v[6:7], v[6:7], 3, s[2:3]
	v_xor_b32_e32 v8, 0x80000000, v5
	global_load_b128 v[14:17], v[6:7], off
	s_wait_loadcnt 0x0
	v_pk_fma_f32 v[0:1], v[4:5], v[14:15], v[0:1] op_sel_hi:[1,0,1]
	v_pk_fma_f32 v[2:3], v[4:5], v[16:17], v[2:3] op_sel_hi:[1,0,1]
	v_mov_b32_e32 v4, v17
	s_delay_alu instid0(VALU_DEP_3) | instskip(NEXT) | instid1(VALU_DEP_2)
	v_pk_fma_f32 v[0:1], v[8:9], v[14:15], v[0:1] op_sel:[0,1,0]
	v_pk_fma_f32 v[2:3], v[8:9], v[4:5], v[2:3] op_sel_hi:[1,0,1]
	global_store_b128 v[6:7], v[0:3], off
.LBB153_19:
	s_endpgm
	.section	.rodata,"a",@progbits
	.p2align	6, 0x0
	.amdhsa_kernel _ZN9rocsparseL19gebsrmvn_2xn_kernelILj128ELj1ELj8E21rocsparse_complex_numIfEEEvi20rocsparse_direction_NS_24const_host_device_scalarIT2_EEPKiS8_PKS5_SA_S6_PS5_21rocsparse_index_base_b
		.amdhsa_group_segment_fixed_size 0
		.amdhsa_private_segment_fixed_size 0
		.amdhsa_kernarg_size 72
		.amdhsa_user_sgpr_count 2
		.amdhsa_user_sgpr_dispatch_ptr 0
		.amdhsa_user_sgpr_queue_ptr 0
		.amdhsa_user_sgpr_kernarg_segment_ptr 1
		.amdhsa_user_sgpr_dispatch_id 0
		.amdhsa_user_sgpr_kernarg_preload_length 0
		.amdhsa_user_sgpr_kernarg_preload_offset 0
		.amdhsa_user_sgpr_private_segment_size 0
		.amdhsa_wavefront_size32 1
		.amdhsa_uses_dynamic_stack 0
		.amdhsa_enable_private_segment 0
		.amdhsa_system_sgpr_workgroup_id_x 1
		.amdhsa_system_sgpr_workgroup_id_y 0
		.amdhsa_system_sgpr_workgroup_id_z 0
		.amdhsa_system_sgpr_workgroup_info 0
		.amdhsa_system_vgpr_workitem_id 0
		.amdhsa_next_free_vgpr 24
		.amdhsa_next_free_sgpr 14
		.amdhsa_named_barrier_count 0
		.amdhsa_reserve_vcc 1
		.amdhsa_float_round_mode_32 0
		.amdhsa_float_round_mode_16_64 0
		.amdhsa_float_denorm_mode_32 3
		.amdhsa_float_denorm_mode_16_64 3
		.amdhsa_fp16_overflow 0
		.amdhsa_memory_ordered 1
		.amdhsa_forward_progress 1
		.amdhsa_inst_pref_size 11
		.amdhsa_round_robin_scheduling 0
		.amdhsa_exception_fp_ieee_invalid_op 0
		.amdhsa_exception_fp_denorm_src 0
		.amdhsa_exception_fp_ieee_div_zero 0
		.amdhsa_exception_fp_ieee_overflow 0
		.amdhsa_exception_fp_ieee_underflow 0
		.amdhsa_exception_fp_ieee_inexact 0
		.amdhsa_exception_int_div_zero 0
	.end_amdhsa_kernel
	.section	.text._ZN9rocsparseL19gebsrmvn_2xn_kernelILj128ELj1ELj8E21rocsparse_complex_numIfEEEvi20rocsparse_direction_NS_24const_host_device_scalarIT2_EEPKiS8_PKS5_SA_S6_PS5_21rocsparse_index_base_b,"axG",@progbits,_ZN9rocsparseL19gebsrmvn_2xn_kernelILj128ELj1ELj8E21rocsparse_complex_numIfEEEvi20rocsparse_direction_NS_24const_host_device_scalarIT2_EEPKiS8_PKS5_SA_S6_PS5_21rocsparse_index_base_b,comdat
.Lfunc_end153:
	.size	_ZN9rocsparseL19gebsrmvn_2xn_kernelILj128ELj1ELj8E21rocsparse_complex_numIfEEEvi20rocsparse_direction_NS_24const_host_device_scalarIT2_EEPKiS8_PKS5_SA_S6_PS5_21rocsparse_index_base_b, .Lfunc_end153-_ZN9rocsparseL19gebsrmvn_2xn_kernelILj128ELj1ELj8E21rocsparse_complex_numIfEEEvi20rocsparse_direction_NS_24const_host_device_scalarIT2_EEPKiS8_PKS5_SA_S6_PS5_21rocsparse_index_base_b
                                        ; -- End function
	.set _ZN9rocsparseL19gebsrmvn_2xn_kernelILj128ELj1ELj8E21rocsparse_complex_numIfEEEvi20rocsparse_direction_NS_24const_host_device_scalarIT2_EEPKiS8_PKS5_SA_S6_PS5_21rocsparse_index_base_b.num_vgpr, 24
	.set _ZN9rocsparseL19gebsrmvn_2xn_kernelILj128ELj1ELj8E21rocsparse_complex_numIfEEEvi20rocsparse_direction_NS_24const_host_device_scalarIT2_EEPKiS8_PKS5_SA_S6_PS5_21rocsparse_index_base_b.num_agpr, 0
	.set _ZN9rocsparseL19gebsrmvn_2xn_kernelILj128ELj1ELj8E21rocsparse_complex_numIfEEEvi20rocsparse_direction_NS_24const_host_device_scalarIT2_EEPKiS8_PKS5_SA_S6_PS5_21rocsparse_index_base_b.numbered_sgpr, 14
	.set _ZN9rocsparseL19gebsrmvn_2xn_kernelILj128ELj1ELj8E21rocsparse_complex_numIfEEEvi20rocsparse_direction_NS_24const_host_device_scalarIT2_EEPKiS8_PKS5_SA_S6_PS5_21rocsparse_index_base_b.num_named_barrier, 0
	.set _ZN9rocsparseL19gebsrmvn_2xn_kernelILj128ELj1ELj8E21rocsparse_complex_numIfEEEvi20rocsparse_direction_NS_24const_host_device_scalarIT2_EEPKiS8_PKS5_SA_S6_PS5_21rocsparse_index_base_b.private_seg_size, 0
	.set _ZN9rocsparseL19gebsrmvn_2xn_kernelILj128ELj1ELj8E21rocsparse_complex_numIfEEEvi20rocsparse_direction_NS_24const_host_device_scalarIT2_EEPKiS8_PKS5_SA_S6_PS5_21rocsparse_index_base_b.uses_vcc, 1
	.set _ZN9rocsparseL19gebsrmvn_2xn_kernelILj128ELj1ELj8E21rocsparse_complex_numIfEEEvi20rocsparse_direction_NS_24const_host_device_scalarIT2_EEPKiS8_PKS5_SA_S6_PS5_21rocsparse_index_base_b.uses_flat_scratch, 1
	.set _ZN9rocsparseL19gebsrmvn_2xn_kernelILj128ELj1ELj8E21rocsparse_complex_numIfEEEvi20rocsparse_direction_NS_24const_host_device_scalarIT2_EEPKiS8_PKS5_SA_S6_PS5_21rocsparse_index_base_b.has_dyn_sized_stack, 0
	.set _ZN9rocsparseL19gebsrmvn_2xn_kernelILj128ELj1ELj8E21rocsparse_complex_numIfEEEvi20rocsparse_direction_NS_24const_host_device_scalarIT2_EEPKiS8_PKS5_SA_S6_PS5_21rocsparse_index_base_b.has_recursion, 0
	.set _ZN9rocsparseL19gebsrmvn_2xn_kernelILj128ELj1ELj8E21rocsparse_complex_numIfEEEvi20rocsparse_direction_NS_24const_host_device_scalarIT2_EEPKiS8_PKS5_SA_S6_PS5_21rocsparse_index_base_b.has_indirect_call, 0
	.section	.AMDGPU.csdata,"",@progbits
; Kernel info:
; codeLenInByte = 1336
; TotalNumSgprs: 16
; NumVgprs: 24
; ScratchSize: 0
; MemoryBound: 0
; FloatMode: 240
; IeeeMode: 1
; LDSByteSize: 0 bytes/workgroup (compile time only)
; SGPRBlocks: 0
; VGPRBlocks: 1
; NumSGPRsForWavesPerEU: 16
; NumVGPRsForWavesPerEU: 24
; NamedBarCnt: 0
; Occupancy: 16
; WaveLimiterHint : 1
; COMPUTE_PGM_RSRC2:SCRATCH_EN: 0
; COMPUTE_PGM_RSRC2:USER_SGPR: 2
; COMPUTE_PGM_RSRC2:TRAP_HANDLER: 0
; COMPUTE_PGM_RSRC2:TGID_X_EN: 1
; COMPUTE_PGM_RSRC2:TGID_Y_EN: 0
; COMPUTE_PGM_RSRC2:TGID_Z_EN: 0
; COMPUTE_PGM_RSRC2:TIDIG_COMP_CNT: 0
	.section	.text._ZN9rocsparseL19gebsrmvn_2xn_kernelILj128ELj1ELj16E21rocsparse_complex_numIfEEEvi20rocsparse_direction_NS_24const_host_device_scalarIT2_EEPKiS8_PKS5_SA_S6_PS5_21rocsparse_index_base_b,"axG",@progbits,_ZN9rocsparseL19gebsrmvn_2xn_kernelILj128ELj1ELj16E21rocsparse_complex_numIfEEEvi20rocsparse_direction_NS_24const_host_device_scalarIT2_EEPKiS8_PKS5_SA_S6_PS5_21rocsparse_index_base_b,comdat
	.globl	_ZN9rocsparseL19gebsrmvn_2xn_kernelILj128ELj1ELj16E21rocsparse_complex_numIfEEEvi20rocsparse_direction_NS_24const_host_device_scalarIT2_EEPKiS8_PKS5_SA_S6_PS5_21rocsparse_index_base_b ; -- Begin function _ZN9rocsparseL19gebsrmvn_2xn_kernelILj128ELj1ELj16E21rocsparse_complex_numIfEEEvi20rocsparse_direction_NS_24const_host_device_scalarIT2_EEPKiS8_PKS5_SA_S6_PS5_21rocsparse_index_base_b
	.p2align	8
	.type	_ZN9rocsparseL19gebsrmvn_2xn_kernelILj128ELj1ELj16E21rocsparse_complex_numIfEEEvi20rocsparse_direction_NS_24const_host_device_scalarIT2_EEPKiS8_PKS5_SA_S6_PS5_21rocsparse_index_base_b,@function
_ZN9rocsparseL19gebsrmvn_2xn_kernelILj128ELj1ELj16E21rocsparse_complex_numIfEEEvi20rocsparse_direction_NS_24const_host_device_scalarIT2_EEPKiS8_PKS5_SA_S6_PS5_21rocsparse_index_base_b: ; @_ZN9rocsparseL19gebsrmvn_2xn_kernelILj128ELj1ELj16E21rocsparse_complex_numIfEEEvi20rocsparse_direction_NS_24const_host_device_scalarIT2_EEPKiS8_PKS5_SA_S6_PS5_21rocsparse_index_base_b
; %bb.0:
	s_clause 0x2
	s_load_b64 s[12:13], s[0:1], 0x40
	s_load_b64 s[2:3], s[0:1], 0x8
	;; [unrolled: 1-line block ×3, first 2 shown]
	v_mov_b32_e32 v1, 0
	s_add_nc_u64 s[6:7], s[0:1], 8
	s_add_nc_u64 s[8:9], s[0:1], 48
	s_wait_kmcnt 0x0
	s_bitcmp1_b32 s13, 0
	s_cselect_b32 s3, s7, s3
	s_cselect_b32 s2, s6, s2
	;; [unrolled: 1-line block ×4, first 2 shown]
	s_clause 0x1
	flat_load_b64 v[2:3], v1, s[2:3]
	flat_load_b64 v[4:5], v1, s[4:5]
	s_wait_loadcnt_dscnt 0x101
	v_cmp_eq_f32_e32 vcc_lo, 0, v2
	v_cmp_eq_f32_e64 s2, 0, v3
	s_wait_loadcnt_dscnt 0x0
	v_cmp_eq_f32_e64 s3, 1.0, v4
	v_cmp_eq_f32_e64 s4, 0, v5
	s_and_b32 s2, vcc_lo, s2
	s_and_b32 s3, s3, s4
	s_delay_alu instid0(SALU_CYCLE_1) | instskip(NEXT) | instid1(SALU_CYCLE_1)
	s_and_b32 s2, s2, s3
	s_xor_b32 s2, s2, -1
	s_delay_alu instid0(SALU_CYCLE_1)
	s_and_saveexec_b32 s3, s2
	s_cbranch_execz .LBB154_19
; %bb.1:
	s_load_b64 s[2:3], s[0:1], 0x0
	s_bfe_u32 s4, ttmp6, 0x4000c
	s_and_b32 s5, ttmp6, 15
	s_add_co_i32 s4, s4, 1
	s_getreg_b32 s6, hwreg(HW_REG_IB_STS2, 6, 4)
	s_mul_i32 s4, ttmp9, s4
	v_lshrrev_b32_e32 v1, 4, v0
	s_add_co_i32 s5, s5, s4
	s_cmp_eq_u32 s6, 0
	s_cselect_b32 s4, ttmp9, s5
	s_delay_alu instid0(VALU_DEP_1) | instid1(SALU_CYCLE_1)
	v_lshl_or_b32 v6, s4, 3, v1
	s_wait_kmcnt 0x0
	s_delay_alu instid0(VALU_DEP_1)
	v_cmp_gt_i32_e32 vcc_lo, s2, v6
	s_and_b32 exec_lo, exec_lo, vcc_lo
	s_cbranch_execz .LBB154_19
; %bb.2:
	s_load_b256 s[4:11], s[0:1], 0x10
	v_ashrrev_i32_e32 v7, 31, v6
	s_cmp_lg_u32 s3, 0
	s_wait_kmcnt 0x0
	s_delay_alu instid0(VALU_DEP_1)
	v_lshl_add_u64 v[8:9], v[6:7], 2, s[4:5]
	v_and_b32_e32 v7, 15, v0
	global_load_b64 v[8:9], v[8:9], off
	s_wait_loadcnt 0x0
	v_subrev_nc_u32_e32 v0, s12, v8
	v_subrev_nc_u32_e32 v12, s12, v9
	s_delay_alu instid0(VALU_DEP_2) | instskip(NEXT) | instid1(VALU_DEP_1)
	v_add_nc_u32_e32 v13, v0, v7
	v_cmp_lt_i32_e64 s2, v13, v12
	s_cbranch_scc0 .LBB154_8
; %bb.3:
	v_mov_b32_e32 v1, 0
	s_delay_alu instid0(VALU_DEP_1)
	v_dual_mov_b32 v0, v1 :: v_dual_mov_b32 v9, v1
	v_mov_b32_e32 v8, v1
	s_and_saveexec_b32 s3, s2
	s_cbranch_execz .LBB154_7
; %bb.4:
	v_dual_mov_b32 v11, 0 :: v_dual_lshlrev_b32 v10, 1, v13
	v_mov_b32_e32 v14, v13
	s_mov_b32 s4, 0
	s_delay_alu instid0(VALU_DEP_2)
	v_dual_mov_b32 v8, v11 :: v_dual_mov_b32 v9, v11
	v_dual_mov_b32 v0, v11 :: v_dual_mov_b32 v1, v11
.LBB154_5:                              ; =>This Inner Loop Header: Depth=1
	global_load_b32 v15, v14, s[6:7] scale_offset
	v_lshl_add_u64 v[20:21], v[10:11], 3, s[8:9]
	v_add_nc_u32_e32 v10, 32, v10
	s_wait_loadcnt 0x0
	v_subrev_nc_u32_e32 v15, s12, v15
	global_load_b128 v[16:19], v[20:21], off
	global_load_b64 v[22:23], v15, s[10:11] scale_offset
	s_wait_loadcnt 0x1
	s_wait_xcnt 0x1
	v_dual_mov_b32 v21, v18 :: v_dual_add_nc_u32 v14, 16, v14
	v_xor_b32_e32 v20, 0x80000000, v19
	s_wait_loadcnt 0x0
	v_pk_fma_f32 v[0:1], v[16:17], v[22:23], v[0:1] op_sel_hi:[1,0,1]
	v_pk_fma_f32 v[8:9], v[18:19], v[22:23], v[8:9] op_sel_hi:[1,0,1]
	v_cmp_ge_i32_e32 vcc_lo, v14, v12
	s_delay_alu instid0(VALU_DEP_3) | instskip(NEXT) | instid1(VALU_DEP_3)
	v_pk_fma_f32 v[0:1], v[16:17], v[22:23], v[0:1] op_sel:[1,1,0] op_sel_hi:[0,1,1] neg_lo:[1,0,0]
	v_pk_fma_f32 v[8:9], v[20:21], v[22:23], v[8:9] op_sel:[0,1,0]
	s_or_b32 s4, vcc_lo, s4
	s_delay_alu instid0(SALU_CYCLE_1)
	s_and_not1_b32 exec_lo, exec_lo, s4
	s_cbranch_execnz .LBB154_5
; %bb.6:
	s_or_b32 exec_lo, exec_lo, s4
.LBB154_7:
	s_delay_alu instid0(SALU_CYCLE_1)
	s_or_b32 exec_lo, exec_lo, s3
	s_cbranch_execz .LBB154_9
	s_branch .LBB154_14
.LBB154_8:
                                        ; implicit-def: $vgpr1
                                        ; implicit-def: $vgpr9
.LBB154_9:
	v_mov_b32_e32 v1, 0
	s_delay_alu instid0(VALU_DEP_1)
	v_dual_mov_b32 v0, v1 :: v_dual_mov_b32 v9, v1
	v_mov_b32_e32 v8, v1
	s_and_saveexec_b32 s3, s2
	s_cbranch_execz .LBB154_13
; %bb.10:
	v_dual_mov_b32 v11, 0 :: v_dual_lshlrev_b32 v10, 1, v13
	s_mov_b32 s2, 0
	s_delay_alu instid0(VALU_DEP_1)
	v_dual_mov_b32 v8, v11 :: v_dual_mov_b32 v9, v11
	v_dual_mov_b32 v0, v11 :: v_dual_mov_b32 v1, v11
.LBB154_11:                             ; =>This Inner Loop Header: Depth=1
	global_load_b32 v14, v13, s[6:7] scale_offset
	v_lshl_add_u64 v[18:19], v[10:11], 3, s[8:9]
	v_add_nc_u32_e32 v10, 32, v10
	s_wait_loadcnt 0x0
	v_subrev_nc_u32_e32 v22, s12, v14
	global_load_b128 v[14:17], v[18:19], off
	global_load_b64 v[20:21], v22, s[10:11] scale_offset
	s_wait_loadcnt 0x1
	s_wait_xcnt 0x1
	v_dual_add_nc_u32 v13, 16, v13 :: v_dual_mov_b32 v19, v16
	v_xor_b32_e32 v18, 0x80000000, v17
	s_wait_loadcnt 0x0
	v_pk_fma_f32 v[0:1], v[14:15], v[20:21], v[0:1] op_sel_hi:[1,0,1]
	v_pk_fma_f32 v[8:9], v[16:17], v[20:21], v[8:9] op_sel_hi:[1,0,1]
	v_cmp_ge_i32_e32 vcc_lo, v13, v12
	s_delay_alu instid0(VALU_DEP_3) | instskip(NEXT) | instid1(VALU_DEP_3)
	v_pk_fma_f32 v[0:1], v[14:15], v[20:21], v[0:1] op_sel:[1,1,0] op_sel_hi:[0,1,1] neg_lo:[1,0,0]
	v_pk_fma_f32 v[8:9], v[18:19], v[20:21], v[8:9] op_sel:[0,1,0]
	s_or_b32 s2, vcc_lo, s2
	s_delay_alu instid0(SALU_CYCLE_1)
	s_and_not1_b32 exec_lo, exec_lo, s2
	s_cbranch_execnz .LBB154_11
; %bb.12:
	s_or_b32 exec_lo, exec_lo, s2
.LBB154_13:
	s_delay_alu instid0(SALU_CYCLE_1)
	s_or_b32 exec_lo, exec_lo, s3
.LBB154_14:
	v_mbcnt_lo_u32_b32 v10, -1, 0
	s_delay_alu instid0(VALU_DEP_1) | instskip(SKIP_1) | instid1(VALU_DEP_1)
	v_xor_b32_e32 v15, 4, v10
	v_xor_b32_e32 v11, 8, v10
	v_cmp_gt_i32_e32 vcc_lo, 32, v11
	v_cndmask_b32_e32 v11, v10, v11, vcc_lo
	s_delay_alu instid0(VALU_DEP_1)
	v_lshlrev_b32_e32 v11, 2, v11
	ds_bpermute_b32 v13, v11, v1
	s_wait_dscnt 0x0
	v_add_f32_e32 v1, v1, v13
	ds_bpermute_b32 v12, v11, v0
	ds_bpermute_b32 v14, v11, v8
	;; [unrolled: 1-line block ×3, first 2 shown]
	s_wait_dscnt 0x2
	v_add_f32_e32 v0, v0, v12
	s_wait_dscnt 0x0
	v_dual_add_f32 v8, v8, v14 :: v_dual_add_f32 v9, v9, v11
	v_cmp_gt_i32_e32 vcc_lo, 32, v15
	v_cndmask_b32_e32 v15, v10, v15, vcc_lo
	s_delay_alu instid0(VALU_DEP_1)
	v_lshlrev_b32_e32 v15, 2, v15
	ds_bpermute_b32 v11, v15, v0
	ds_bpermute_b32 v12, v15, v1
	;; [unrolled: 1-line block ×4, first 2 shown]
	s_wait_dscnt 0x3
	v_dual_add_f32 v0, v0, v11 :: v_dual_bitop2_b32 v15, 2, v10 bitop3:0x14
	s_delay_alu instid0(VALU_DEP_1)
	v_cmp_gt_i32_e32 vcc_lo, 32, v15
	s_wait_dscnt 0x2
	v_add_f32_e32 v1, v1, v12
	s_wait_dscnt 0x0
	v_dual_add_f32 v9, v9, v14 :: v_dual_add_f32 v11, v8, v13
	v_cndmask_b32_e32 v15, v10, v15, vcc_lo
	s_delay_alu instid0(VALU_DEP_1)
	v_lshlrev_b32_e32 v15, 2, v15
	ds_bpermute_b32 v8, v15, v0
	ds_bpermute_b32 v12, v15, v1
	;; [unrolled: 1-line block ×4, first 2 shown]
	s_wait_dscnt 0x3
	v_dual_add_f32 v0, v0, v8 :: v_dual_bitop2_b32 v15, 1, v10 bitop3:0x14
	s_delay_alu instid0(VALU_DEP_1)
	v_cmp_gt_i32_e32 vcc_lo, 32, v15
	s_wait_dscnt 0x2
	v_dual_add_f32 v8, v1, v12 :: v_dual_cndmask_b32 v10, v10, v15, vcc_lo
	s_wait_dscnt 0x0
	v_dual_add_f32 v1, v11, v13 :: v_dual_add_f32 v9, v9, v14
	v_cmp_eq_u32_e32 vcc_lo, 15, v7
	s_delay_alu instid0(VALU_DEP_3)
	v_lshlrev_b32_e32 v15, 2, v10
	ds_bpermute_b32 v12, v15, v0
	ds_bpermute_b32 v13, v15, v8
	;; [unrolled: 1-line block ×4, first 2 shown]
	s_and_b32 exec_lo, exec_lo, vcc_lo
	s_cbranch_execz .LBB154_19
; %bb.15:
	s_load_b64 s[2:3], s[0:1], 0x38
	v_cmp_eq_f32_e32 vcc_lo, 0, v4
	s_wait_xcnt 0x0
	v_cmp_eq_f32_e64 s0, 0, v5
	s_wait_dscnt 0x3
	v_add_f32_e32 v0, v0, v12
	s_wait_dscnt 0x1
	v_dual_add_f32 v12, v8, v13 :: v_dual_add_f32 v8, v1, v10
	s_wait_dscnt 0x0
	v_add_f32_e32 v10, v9, v11
	s_and_b32 s0, vcc_lo, s0
	s_delay_alu instid0(SALU_CYCLE_1) | instskip(NEXT) | instid1(SALU_CYCLE_1)
	s_and_saveexec_b32 s1, s0
	s_xor_b32 s0, exec_lo, s1
	s_cbranch_execz .LBB154_17
; %bb.16:
	v_xor_b32_e32 v4, 0x80000000, v3
	v_dual_mov_b32 v5, v2 :: v_dual_lshlrev_b32 v6, 1, v6
	s_delay_alu instid0(VALU_DEP_1) | instskip(NEXT) | instid1(VALU_DEP_2)
	v_ashrrev_i32_e32 v7, 31, v6
	v_pk_mul_f32 v[12:13], v[12:13], v[4:5] op_sel_hi:[0,1]
	v_pk_mul_f32 v[4:5], v[10:11], v[4:5] op_sel_hi:[0,1]
                                        ; implicit-def: $vgpr10
	s_wait_kmcnt 0x0
	s_delay_alu instid0(VALU_DEP_3) | instskip(NEXT) | instid1(VALU_DEP_3)
	v_lshl_add_u64 v[6:7], v[6:7], 3, s[2:3]
	v_pk_fma_f32 v[0:1], v[2:3], v[0:1], v[12:13] op_sel_hi:[1,0,1]
	s_delay_alu instid0(VALU_DEP_3)
	v_pk_fma_f32 v[2:3], v[2:3], v[8:9], v[4:5] op_sel_hi:[1,0,1]
                                        ; implicit-def: $vgpr4_vgpr5
                                        ; implicit-def: $vgpr12
                                        ; implicit-def: $vgpr8
	global_store_b128 v[6:7], v[0:3], off
                                        ; implicit-def: $vgpr6
                                        ; implicit-def: $vgpr2_vgpr3
                                        ; implicit-def: $vgpr0
.LBB154_17:
	s_wait_xcnt 0x0
	s_and_not1_saveexec_b32 s0, s0
	s_cbranch_execz .LBB154_19
; %bb.18:
	v_dual_mov_b32 v19, v2 :: v_dual_lshlrev_b32 v6, 1, v6
	v_xor_b32_e32 v18, 0x80000000, v3
	s_delay_alu instid0(VALU_DEP_2) | instskip(NEXT) | instid1(VALU_DEP_2)
	v_ashrrev_i32_e32 v7, 31, v6
	v_pk_mul_f32 v[12:13], v[12:13], v[18:19] op_sel_hi:[0,1]
	v_pk_mul_f32 v[10:11], v[10:11], v[18:19] op_sel_hi:[0,1]
	s_delay_alu instid0(VALU_DEP_2) | instskip(NEXT) | instid1(VALU_DEP_2)
	v_pk_fma_f32 v[0:1], v[2:3], v[0:1], v[12:13] op_sel_hi:[1,0,1]
	v_pk_fma_f32 v[2:3], v[2:3], v[8:9], v[10:11] op_sel_hi:[1,0,1]
	v_mov_b32_e32 v9, v4
	s_wait_kmcnt 0x0
	v_lshl_add_u64 v[6:7], v[6:7], 3, s[2:3]
	v_xor_b32_e32 v8, 0x80000000, v5
	global_load_b128 v[14:17], v[6:7], off
	s_wait_loadcnt 0x0
	v_pk_fma_f32 v[0:1], v[4:5], v[14:15], v[0:1] op_sel_hi:[1,0,1]
	v_pk_fma_f32 v[2:3], v[4:5], v[16:17], v[2:3] op_sel_hi:[1,0,1]
	v_mov_b32_e32 v4, v17
	s_delay_alu instid0(VALU_DEP_3) | instskip(NEXT) | instid1(VALU_DEP_2)
	v_pk_fma_f32 v[0:1], v[8:9], v[14:15], v[0:1] op_sel:[0,1,0]
	v_pk_fma_f32 v[2:3], v[8:9], v[4:5], v[2:3] op_sel_hi:[1,0,1]
	global_store_b128 v[6:7], v[0:3], off
.LBB154_19:
	s_endpgm
	.section	.rodata,"a",@progbits
	.p2align	6, 0x0
	.amdhsa_kernel _ZN9rocsparseL19gebsrmvn_2xn_kernelILj128ELj1ELj16E21rocsparse_complex_numIfEEEvi20rocsparse_direction_NS_24const_host_device_scalarIT2_EEPKiS8_PKS5_SA_S6_PS5_21rocsparse_index_base_b
		.amdhsa_group_segment_fixed_size 0
		.amdhsa_private_segment_fixed_size 0
		.amdhsa_kernarg_size 72
		.amdhsa_user_sgpr_count 2
		.amdhsa_user_sgpr_dispatch_ptr 0
		.amdhsa_user_sgpr_queue_ptr 0
		.amdhsa_user_sgpr_kernarg_segment_ptr 1
		.amdhsa_user_sgpr_dispatch_id 0
		.amdhsa_user_sgpr_kernarg_preload_length 0
		.amdhsa_user_sgpr_kernarg_preload_offset 0
		.amdhsa_user_sgpr_private_segment_size 0
		.amdhsa_wavefront_size32 1
		.amdhsa_uses_dynamic_stack 0
		.amdhsa_enable_private_segment 0
		.amdhsa_system_sgpr_workgroup_id_x 1
		.amdhsa_system_sgpr_workgroup_id_y 0
		.amdhsa_system_sgpr_workgroup_id_z 0
		.amdhsa_system_sgpr_workgroup_info 0
		.amdhsa_system_vgpr_workitem_id 0
		.amdhsa_next_free_vgpr 24
		.amdhsa_next_free_sgpr 14
		.amdhsa_named_barrier_count 0
		.amdhsa_reserve_vcc 1
		.amdhsa_float_round_mode_32 0
		.amdhsa_float_round_mode_16_64 0
		.amdhsa_float_denorm_mode_32 3
		.amdhsa_float_denorm_mode_16_64 3
		.amdhsa_fp16_overflow 0
		.amdhsa_memory_ordered 1
		.amdhsa_forward_progress 1
		.amdhsa_inst_pref_size 12
		.amdhsa_round_robin_scheduling 0
		.amdhsa_exception_fp_ieee_invalid_op 0
		.amdhsa_exception_fp_denorm_src 0
		.amdhsa_exception_fp_ieee_div_zero 0
		.amdhsa_exception_fp_ieee_overflow 0
		.amdhsa_exception_fp_ieee_underflow 0
		.amdhsa_exception_fp_ieee_inexact 0
		.amdhsa_exception_int_div_zero 0
	.end_amdhsa_kernel
	.section	.text._ZN9rocsparseL19gebsrmvn_2xn_kernelILj128ELj1ELj16E21rocsparse_complex_numIfEEEvi20rocsparse_direction_NS_24const_host_device_scalarIT2_EEPKiS8_PKS5_SA_S6_PS5_21rocsparse_index_base_b,"axG",@progbits,_ZN9rocsparseL19gebsrmvn_2xn_kernelILj128ELj1ELj16E21rocsparse_complex_numIfEEEvi20rocsparse_direction_NS_24const_host_device_scalarIT2_EEPKiS8_PKS5_SA_S6_PS5_21rocsparse_index_base_b,comdat
.Lfunc_end154:
	.size	_ZN9rocsparseL19gebsrmvn_2xn_kernelILj128ELj1ELj16E21rocsparse_complex_numIfEEEvi20rocsparse_direction_NS_24const_host_device_scalarIT2_EEPKiS8_PKS5_SA_S6_PS5_21rocsparse_index_base_b, .Lfunc_end154-_ZN9rocsparseL19gebsrmvn_2xn_kernelILj128ELj1ELj16E21rocsparse_complex_numIfEEEvi20rocsparse_direction_NS_24const_host_device_scalarIT2_EEPKiS8_PKS5_SA_S6_PS5_21rocsparse_index_base_b
                                        ; -- End function
	.set _ZN9rocsparseL19gebsrmvn_2xn_kernelILj128ELj1ELj16E21rocsparse_complex_numIfEEEvi20rocsparse_direction_NS_24const_host_device_scalarIT2_EEPKiS8_PKS5_SA_S6_PS5_21rocsparse_index_base_b.num_vgpr, 24
	.set _ZN9rocsparseL19gebsrmvn_2xn_kernelILj128ELj1ELj16E21rocsparse_complex_numIfEEEvi20rocsparse_direction_NS_24const_host_device_scalarIT2_EEPKiS8_PKS5_SA_S6_PS5_21rocsparse_index_base_b.num_agpr, 0
	.set _ZN9rocsparseL19gebsrmvn_2xn_kernelILj128ELj1ELj16E21rocsparse_complex_numIfEEEvi20rocsparse_direction_NS_24const_host_device_scalarIT2_EEPKiS8_PKS5_SA_S6_PS5_21rocsparse_index_base_b.numbered_sgpr, 14
	.set _ZN9rocsparseL19gebsrmvn_2xn_kernelILj128ELj1ELj16E21rocsparse_complex_numIfEEEvi20rocsparse_direction_NS_24const_host_device_scalarIT2_EEPKiS8_PKS5_SA_S6_PS5_21rocsparse_index_base_b.num_named_barrier, 0
	.set _ZN9rocsparseL19gebsrmvn_2xn_kernelILj128ELj1ELj16E21rocsparse_complex_numIfEEEvi20rocsparse_direction_NS_24const_host_device_scalarIT2_EEPKiS8_PKS5_SA_S6_PS5_21rocsparse_index_base_b.private_seg_size, 0
	.set _ZN9rocsparseL19gebsrmvn_2xn_kernelILj128ELj1ELj16E21rocsparse_complex_numIfEEEvi20rocsparse_direction_NS_24const_host_device_scalarIT2_EEPKiS8_PKS5_SA_S6_PS5_21rocsparse_index_base_b.uses_vcc, 1
	.set _ZN9rocsparseL19gebsrmvn_2xn_kernelILj128ELj1ELj16E21rocsparse_complex_numIfEEEvi20rocsparse_direction_NS_24const_host_device_scalarIT2_EEPKiS8_PKS5_SA_S6_PS5_21rocsparse_index_base_b.uses_flat_scratch, 1
	.set _ZN9rocsparseL19gebsrmvn_2xn_kernelILj128ELj1ELj16E21rocsparse_complex_numIfEEEvi20rocsparse_direction_NS_24const_host_device_scalarIT2_EEPKiS8_PKS5_SA_S6_PS5_21rocsparse_index_base_b.has_dyn_sized_stack, 0
	.set _ZN9rocsparseL19gebsrmvn_2xn_kernelILj128ELj1ELj16E21rocsparse_complex_numIfEEEvi20rocsparse_direction_NS_24const_host_device_scalarIT2_EEPKiS8_PKS5_SA_S6_PS5_21rocsparse_index_base_b.has_recursion, 0
	.set _ZN9rocsparseL19gebsrmvn_2xn_kernelILj128ELj1ELj16E21rocsparse_complex_numIfEEEvi20rocsparse_direction_NS_24const_host_device_scalarIT2_EEPKiS8_PKS5_SA_S6_PS5_21rocsparse_index_base_b.has_indirect_call, 0
	.section	.AMDGPU.csdata,"",@progbits
; Kernel info:
; codeLenInByte = 1436
; TotalNumSgprs: 16
; NumVgprs: 24
; ScratchSize: 0
; MemoryBound: 0
; FloatMode: 240
; IeeeMode: 1
; LDSByteSize: 0 bytes/workgroup (compile time only)
; SGPRBlocks: 0
; VGPRBlocks: 1
; NumSGPRsForWavesPerEU: 16
; NumVGPRsForWavesPerEU: 24
; NamedBarCnt: 0
; Occupancy: 16
; WaveLimiterHint : 1
; COMPUTE_PGM_RSRC2:SCRATCH_EN: 0
; COMPUTE_PGM_RSRC2:USER_SGPR: 2
; COMPUTE_PGM_RSRC2:TRAP_HANDLER: 0
; COMPUTE_PGM_RSRC2:TGID_X_EN: 1
; COMPUTE_PGM_RSRC2:TGID_Y_EN: 0
; COMPUTE_PGM_RSRC2:TGID_Z_EN: 0
; COMPUTE_PGM_RSRC2:TIDIG_COMP_CNT: 0
	.section	.text._ZN9rocsparseL19gebsrmvn_2xn_kernelILj128ELj1ELj32E21rocsparse_complex_numIfEEEvi20rocsparse_direction_NS_24const_host_device_scalarIT2_EEPKiS8_PKS5_SA_S6_PS5_21rocsparse_index_base_b,"axG",@progbits,_ZN9rocsparseL19gebsrmvn_2xn_kernelILj128ELj1ELj32E21rocsparse_complex_numIfEEEvi20rocsparse_direction_NS_24const_host_device_scalarIT2_EEPKiS8_PKS5_SA_S6_PS5_21rocsparse_index_base_b,comdat
	.globl	_ZN9rocsparseL19gebsrmvn_2xn_kernelILj128ELj1ELj32E21rocsparse_complex_numIfEEEvi20rocsparse_direction_NS_24const_host_device_scalarIT2_EEPKiS8_PKS5_SA_S6_PS5_21rocsparse_index_base_b ; -- Begin function _ZN9rocsparseL19gebsrmvn_2xn_kernelILj128ELj1ELj32E21rocsparse_complex_numIfEEEvi20rocsparse_direction_NS_24const_host_device_scalarIT2_EEPKiS8_PKS5_SA_S6_PS5_21rocsparse_index_base_b
	.p2align	8
	.type	_ZN9rocsparseL19gebsrmvn_2xn_kernelILj128ELj1ELj32E21rocsparse_complex_numIfEEEvi20rocsparse_direction_NS_24const_host_device_scalarIT2_EEPKiS8_PKS5_SA_S6_PS5_21rocsparse_index_base_b,@function
_ZN9rocsparseL19gebsrmvn_2xn_kernelILj128ELj1ELj32E21rocsparse_complex_numIfEEEvi20rocsparse_direction_NS_24const_host_device_scalarIT2_EEPKiS8_PKS5_SA_S6_PS5_21rocsparse_index_base_b: ; @_ZN9rocsparseL19gebsrmvn_2xn_kernelILj128ELj1ELj32E21rocsparse_complex_numIfEEEvi20rocsparse_direction_NS_24const_host_device_scalarIT2_EEPKiS8_PKS5_SA_S6_PS5_21rocsparse_index_base_b
; %bb.0:
	s_clause 0x2
	s_load_b64 s[12:13], s[0:1], 0x40
	s_load_b64 s[2:3], s[0:1], 0x8
	;; [unrolled: 1-line block ×3, first 2 shown]
	v_mov_b32_e32 v1, 0
	s_add_nc_u64 s[6:7], s[0:1], 8
	s_add_nc_u64 s[8:9], s[0:1], 48
	s_wait_kmcnt 0x0
	s_bitcmp1_b32 s13, 0
	s_cselect_b32 s3, s7, s3
	s_cselect_b32 s2, s6, s2
	s_cselect_b32 s5, s9, s5
	s_cselect_b32 s4, s8, s4
	s_clause 0x1
	flat_load_b64 v[2:3], v1, s[2:3]
	flat_load_b64 v[4:5], v1, s[4:5]
	s_wait_loadcnt_dscnt 0x101
	v_cmp_eq_f32_e32 vcc_lo, 0, v2
	v_cmp_eq_f32_e64 s2, 0, v3
	s_wait_loadcnt_dscnt 0x0
	v_cmp_eq_f32_e64 s3, 1.0, v4
	v_cmp_eq_f32_e64 s4, 0, v5
	s_and_b32 s2, vcc_lo, s2
	s_and_b32 s3, s3, s4
	s_delay_alu instid0(SALU_CYCLE_1) | instskip(NEXT) | instid1(SALU_CYCLE_1)
	s_and_b32 s2, s2, s3
	s_xor_b32 s2, s2, -1
	s_delay_alu instid0(SALU_CYCLE_1)
	s_and_saveexec_b32 s3, s2
	s_cbranch_execz .LBB155_19
; %bb.1:
	s_load_b64 s[2:3], s[0:1], 0x0
	s_bfe_u32 s4, ttmp6, 0x4000c
	s_and_b32 s5, ttmp6, 15
	s_add_co_i32 s4, s4, 1
	s_getreg_b32 s6, hwreg(HW_REG_IB_STS2, 6, 4)
	s_mul_i32 s4, ttmp9, s4
	v_lshrrev_b32_e32 v1, 5, v0
	s_add_co_i32 s5, s5, s4
	s_cmp_eq_u32 s6, 0
	s_cselect_b32 s4, ttmp9, s5
	s_delay_alu instid0(VALU_DEP_1) | instid1(SALU_CYCLE_1)
	v_lshl_or_b32 v6, s4, 2, v1
	s_wait_kmcnt 0x0
	s_delay_alu instid0(VALU_DEP_1)
	v_cmp_gt_i32_e32 vcc_lo, s2, v6
	s_and_b32 exec_lo, exec_lo, vcc_lo
	s_cbranch_execz .LBB155_19
; %bb.2:
	s_load_b256 s[4:11], s[0:1], 0x10
	v_ashrrev_i32_e32 v7, 31, v6
	s_cmp_lg_u32 s3, 0
	s_wait_kmcnt 0x0
	s_delay_alu instid0(VALU_DEP_1)
	v_lshl_add_u64 v[8:9], v[6:7], 2, s[4:5]
	v_and_b32_e32 v7, 31, v0
	global_load_b64 v[8:9], v[8:9], off
	s_wait_loadcnt 0x0
	v_subrev_nc_u32_e32 v0, s12, v8
	v_subrev_nc_u32_e32 v12, s12, v9
	s_delay_alu instid0(VALU_DEP_2) | instskip(NEXT) | instid1(VALU_DEP_1)
	v_add_nc_u32_e32 v13, v0, v7
	v_cmp_lt_i32_e64 s2, v13, v12
	s_cbranch_scc0 .LBB155_8
; %bb.3:
	v_mov_b32_e32 v1, 0
	s_delay_alu instid0(VALU_DEP_1)
	v_dual_mov_b32 v0, v1 :: v_dual_mov_b32 v9, v1
	v_mov_b32_e32 v8, v1
	s_and_saveexec_b32 s3, s2
	s_cbranch_execz .LBB155_7
; %bb.4:
	v_dual_mov_b32 v11, 0 :: v_dual_lshlrev_b32 v10, 1, v13
	v_mov_b32_e32 v14, v13
	s_mov_b32 s4, 0
	s_delay_alu instid0(VALU_DEP_2)
	v_dual_mov_b32 v8, v11 :: v_dual_mov_b32 v9, v11
	v_dual_mov_b32 v0, v11 :: v_dual_mov_b32 v1, v11
.LBB155_5:                              ; =>This Inner Loop Header: Depth=1
	global_load_b32 v15, v14, s[6:7] scale_offset
	v_lshl_add_u64 v[20:21], v[10:11], 3, s[8:9]
	v_add_nc_u32_e32 v10, 64, v10
	s_wait_loadcnt 0x0
	v_subrev_nc_u32_e32 v15, s12, v15
	global_load_b128 v[16:19], v[20:21], off
	global_load_b64 v[22:23], v15, s[10:11] scale_offset
	s_wait_loadcnt 0x1
	s_wait_xcnt 0x1
	v_dual_mov_b32 v21, v18 :: v_dual_add_nc_u32 v14, 32, v14
	v_xor_b32_e32 v20, 0x80000000, v19
	s_wait_loadcnt 0x0
	v_pk_fma_f32 v[0:1], v[16:17], v[22:23], v[0:1] op_sel_hi:[1,0,1]
	v_pk_fma_f32 v[8:9], v[18:19], v[22:23], v[8:9] op_sel_hi:[1,0,1]
	v_cmp_ge_i32_e32 vcc_lo, v14, v12
	s_delay_alu instid0(VALU_DEP_3) | instskip(NEXT) | instid1(VALU_DEP_3)
	v_pk_fma_f32 v[0:1], v[16:17], v[22:23], v[0:1] op_sel:[1,1,0] op_sel_hi:[0,1,1] neg_lo:[1,0,0]
	v_pk_fma_f32 v[8:9], v[20:21], v[22:23], v[8:9] op_sel:[0,1,0]
	s_or_b32 s4, vcc_lo, s4
	s_delay_alu instid0(SALU_CYCLE_1)
	s_and_not1_b32 exec_lo, exec_lo, s4
	s_cbranch_execnz .LBB155_5
; %bb.6:
	s_or_b32 exec_lo, exec_lo, s4
.LBB155_7:
	s_delay_alu instid0(SALU_CYCLE_1)
	s_or_b32 exec_lo, exec_lo, s3
	s_cbranch_execz .LBB155_9
	s_branch .LBB155_14
.LBB155_8:
                                        ; implicit-def: $vgpr1
                                        ; implicit-def: $vgpr9
.LBB155_9:
	v_mov_b32_e32 v1, 0
	s_delay_alu instid0(VALU_DEP_1)
	v_dual_mov_b32 v0, v1 :: v_dual_mov_b32 v9, v1
	v_mov_b32_e32 v8, v1
	s_and_saveexec_b32 s3, s2
	s_cbranch_execz .LBB155_13
; %bb.10:
	v_dual_mov_b32 v11, 0 :: v_dual_lshlrev_b32 v10, 1, v13
	s_mov_b32 s2, 0
	s_delay_alu instid0(VALU_DEP_1)
	v_dual_mov_b32 v8, v11 :: v_dual_mov_b32 v9, v11
	v_dual_mov_b32 v0, v11 :: v_dual_mov_b32 v1, v11
.LBB155_11:                             ; =>This Inner Loop Header: Depth=1
	global_load_b32 v14, v13, s[6:7] scale_offset
	v_lshl_add_u64 v[18:19], v[10:11], 3, s[8:9]
	v_add_nc_u32_e32 v10, 64, v10
	s_wait_loadcnt 0x0
	v_subrev_nc_u32_e32 v22, s12, v14
	global_load_b128 v[14:17], v[18:19], off
	global_load_b64 v[20:21], v22, s[10:11] scale_offset
	s_wait_loadcnt 0x1
	s_wait_xcnt 0x1
	v_dual_add_nc_u32 v13, 32, v13 :: v_dual_mov_b32 v19, v16
	v_xor_b32_e32 v18, 0x80000000, v17
	s_wait_loadcnt 0x0
	v_pk_fma_f32 v[0:1], v[14:15], v[20:21], v[0:1] op_sel_hi:[1,0,1]
	v_pk_fma_f32 v[8:9], v[16:17], v[20:21], v[8:9] op_sel_hi:[1,0,1]
	v_cmp_ge_i32_e32 vcc_lo, v13, v12
	s_delay_alu instid0(VALU_DEP_3) | instskip(NEXT) | instid1(VALU_DEP_3)
	v_pk_fma_f32 v[0:1], v[14:15], v[20:21], v[0:1] op_sel:[1,1,0] op_sel_hi:[0,1,1] neg_lo:[1,0,0]
	v_pk_fma_f32 v[8:9], v[18:19], v[20:21], v[8:9] op_sel:[0,1,0]
	s_or_b32 s2, vcc_lo, s2
	s_delay_alu instid0(SALU_CYCLE_1)
	s_and_not1_b32 exec_lo, exec_lo, s2
	s_cbranch_execnz .LBB155_11
; %bb.12:
	s_or_b32 exec_lo, exec_lo, s2
.LBB155_13:
	s_delay_alu instid0(SALU_CYCLE_1)
	s_or_b32 exec_lo, exec_lo, s3
.LBB155_14:
	v_mbcnt_lo_u32_b32 v10, -1, 0
	s_delay_alu instid0(VALU_DEP_1) | instskip(SKIP_1) | instid1(VALU_DEP_1)
	v_xor_b32_e32 v15, 8, v10
	v_xor_b32_e32 v11, 16, v10
	v_cmp_gt_i32_e32 vcc_lo, 32, v11
	v_cndmask_b32_e32 v11, v10, v11, vcc_lo
	s_delay_alu instid0(VALU_DEP_1)
	v_lshlrev_b32_e32 v11, 2, v11
	ds_bpermute_b32 v13, v11, v1
	s_wait_dscnt 0x0
	v_add_f32_e32 v1, v1, v13
	ds_bpermute_b32 v12, v11, v0
	ds_bpermute_b32 v14, v11, v8
	;; [unrolled: 1-line block ×3, first 2 shown]
	s_wait_dscnt 0x2
	v_add_f32_e32 v0, v0, v12
	s_wait_dscnt 0x0
	v_dual_add_f32 v8, v8, v14 :: v_dual_add_f32 v9, v9, v11
	v_cmp_gt_i32_e32 vcc_lo, 32, v15
	v_cndmask_b32_e32 v15, v10, v15, vcc_lo
	s_delay_alu instid0(VALU_DEP_1)
	v_lshlrev_b32_e32 v15, 2, v15
	ds_bpermute_b32 v11, v15, v0
	ds_bpermute_b32 v12, v15, v1
	;; [unrolled: 1-line block ×4, first 2 shown]
	s_wait_dscnt 0x3
	v_dual_add_f32 v0, v0, v11 :: v_dual_bitop2_b32 v15, 4, v10 bitop3:0x14
	s_delay_alu instid0(VALU_DEP_1)
	v_cmp_gt_i32_e32 vcc_lo, 32, v15
	s_wait_dscnt 0x2
	v_add_f32_e32 v1, v1, v12
	s_wait_dscnt 0x0
	v_dual_add_f32 v9, v9, v14 :: v_dual_add_f32 v8, v8, v13
	v_cndmask_b32_e32 v15, v10, v15, vcc_lo
	s_delay_alu instid0(VALU_DEP_1)
	v_lshlrev_b32_e32 v15, 2, v15
	ds_bpermute_b32 v11, v15, v0
	ds_bpermute_b32 v12, v15, v1
	ds_bpermute_b32 v13, v15, v8
	ds_bpermute_b32 v14, v15, v9
	s_wait_dscnt 0x3
	v_dual_add_f32 v0, v0, v11 :: v_dual_bitop2_b32 v15, 2, v10 bitop3:0x14
	s_delay_alu instid0(VALU_DEP_1) | instskip(SKIP_4) | instid1(VALU_DEP_2)
	v_cmp_gt_i32_e32 vcc_lo, 32, v15
	s_wait_dscnt 0x2
	v_dual_add_f32 v1, v1, v12 :: v_dual_cndmask_b32 v15, v10, v15, vcc_lo
	s_wait_dscnt 0x0
	v_dual_add_f32 v11, v8, v13 :: v_dual_add_f32 v9, v9, v14
	v_lshlrev_b32_e32 v15, 2, v15
	ds_bpermute_b32 v8, v15, v0
	ds_bpermute_b32 v12, v15, v1
	ds_bpermute_b32 v13, v15, v11
	ds_bpermute_b32 v14, v15, v9
	s_wait_dscnt 0x3
	v_dual_add_f32 v0, v0, v8 :: v_dual_bitop2_b32 v15, 1, v10 bitop3:0x14
	s_delay_alu instid0(VALU_DEP_1)
	v_cmp_gt_i32_e32 vcc_lo, 32, v15
	s_wait_dscnt 0x1
	v_dual_add_f32 v8, v1, v12 :: v_dual_add_f32 v1, v11, v13
	s_wait_dscnt 0x0
	v_dual_add_f32 v9, v9, v14 :: v_dual_cndmask_b32 v10, v10, v15
	v_cmp_eq_u32_e32 vcc_lo, 31, v7
	s_delay_alu instid0(VALU_DEP_2)
	v_lshlrev_b32_e32 v15, 2, v10
	ds_bpermute_b32 v12, v15, v0
	ds_bpermute_b32 v13, v15, v8
	;; [unrolled: 1-line block ×4, first 2 shown]
	s_and_b32 exec_lo, exec_lo, vcc_lo
	s_cbranch_execz .LBB155_19
; %bb.15:
	s_load_b64 s[2:3], s[0:1], 0x38
	v_cmp_eq_f32_e32 vcc_lo, 0, v4
	s_wait_xcnt 0x0
	v_cmp_eq_f32_e64 s0, 0, v5
	s_wait_dscnt 0x3
	v_add_f32_e32 v0, v0, v12
	s_wait_dscnt 0x1
	v_dual_add_f32 v12, v8, v13 :: v_dual_add_f32 v8, v1, v10
	s_wait_dscnt 0x0
	v_add_f32_e32 v10, v9, v11
	s_and_b32 s0, vcc_lo, s0
	s_delay_alu instid0(SALU_CYCLE_1) | instskip(NEXT) | instid1(SALU_CYCLE_1)
	s_and_saveexec_b32 s1, s0
	s_xor_b32 s0, exec_lo, s1
	s_cbranch_execz .LBB155_17
; %bb.16:
	v_xor_b32_e32 v4, 0x80000000, v3
	v_dual_mov_b32 v5, v2 :: v_dual_lshlrev_b32 v6, 1, v6
	s_delay_alu instid0(VALU_DEP_1) | instskip(NEXT) | instid1(VALU_DEP_2)
	v_ashrrev_i32_e32 v7, 31, v6
	v_pk_mul_f32 v[12:13], v[12:13], v[4:5] op_sel_hi:[0,1]
	v_pk_mul_f32 v[4:5], v[10:11], v[4:5] op_sel_hi:[0,1]
                                        ; implicit-def: $vgpr10
	s_wait_kmcnt 0x0
	s_delay_alu instid0(VALU_DEP_3) | instskip(NEXT) | instid1(VALU_DEP_3)
	v_lshl_add_u64 v[6:7], v[6:7], 3, s[2:3]
	v_pk_fma_f32 v[0:1], v[2:3], v[0:1], v[12:13] op_sel_hi:[1,0,1]
	s_delay_alu instid0(VALU_DEP_3)
	v_pk_fma_f32 v[2:3], v[2:3], v[8:9], v[4:5] op_sel_hi:[1,0,1]
                                        ; implicit-def: $vgpr4_vgpr5
                                        ; implicit-def: $vgpr12
                                        ; implicit-def: $vgpr8
	global_store_b128 v[6:7], v[0:3], off
                                        ; implicit-def: $vgpr6
                                        ; implicit-def: $vgpr2_vgpr3
                                        ; implicit-def: $vgpr0
.LBB155_17:
	s_wait_xcnt 0x0
	s_and_not1_saveexec_b32 s0, s0
	s_cbranch_execz .LBB155_19
; %bb.18:
	v_dual_mov_b32 v19, v2 :: v_dual_lshlrev_b32 v6, 1, v6
	v_xor_b32_e32 v18, 0x80000000, v3
	s_delay_alu instid0(VALU_DEP_2) | instskip(NEXT) | instid1(VALU_DEP_2)
	v_ashrrev_i32_e32 v7, 31, v6
	v_pk_mul_f32 v[12:13], v[12:13], v[18:19] op_sel_hi:[0,1]
	v_pk_mul_f32 v[10:11], v[10:11], v[18:19] op_sel_hi:[0,1]
	s_delay_alu instid0(VALU_DEP_2) | instskip(NEXT) | instid1(VALU_DEP_2)
	v_pk_fma_f32 v[0:1], v[2:3], v[0:1], v[12:13] op_sel_hi:[1,0,1]
	v_pk_fma_f32 v[2:3], v[2:3], v[8:9], v[10:11] op_sel_hi:[1,0,1]
	v_mov_b32_e32 v9, v4
	s_wait_kmcnt 0x0
	v_lshl_add_u64 v[6:7], v[6:7], 3, s[2:3]
	v_xor_b32_e32 v8, 0x80000000, v5
	global_load_b128 v[14:17], v[6:7], off
	s_wait_loadcnt 0x0
	v_pk_fma_f32 v[0:1], v[4:5], v[14:15], v[0:1] op_sel_hi:[1,0,1]
	v_pk_fma_f32 v[2:3], v[4:5], v[16:17], v[2:3] op_sel_hi:[1,0,1]
	v_mov_b32_e32 v4, v17
	s_delay_alu instid0(VALU_DEP_3) | instskip(NEXT) | instid1(VALU_DEP_2)
	v_pk_fma_f32 v[0:1], v[8:9], v[14:15], v[0:1] op_sel:[0,1,0]
	v_pk_fma_f32 v[2:3], v[8:9], v[4:5], v[2:3] op_sel_hi:[1,0,1]
	global_store_b128 v[6:7], v[0:3], off
.LBB155_19:
	s_endpgm
	.section	.rodata,"a",@progbits
	.p2align	6, 0x0
	.amdhsa_kernel _ZN9rocsparseL19gebsrmvn_2xn_kernelILj128ELj1ELj32E21rocsparse_complex_numIfEEEvi20rocsparse_direction_NS_24const_host_device_scalarIT2_EEPKiS8_PKS5_SA_S6_PS5_21rocsparse_index_base_b
		.amdhsa_group_segment_fixed_size 0
		.amdhsa_private_segment_fixed_size 0
		.amdhsa_kernarg_size 72
		.amdhsa_user_sgpr_count 2
		.amdhsa_user_sgpr_dispatch_ptr 0
		.amdhsa_user_sgpr_queue_ptr 0
		.amdhsa_user_sgpr_kernarg_segment_ptr 1
		.amdhsa_user_sgpr_dispatch_id 0
		.amdhsa_user_sgpr_kernarg_preload_length 0
		.amdhsa_user_sgpr_kernarg_preload_offset 0
		.amdhsa_user_sgpr_private_segment_size 0
		.amdhsa_wavefront_size32 1
		.amdhsa_uses_dynamic_stack 0
		.amdhsa_enable_private_segment 0
		.amdhsa_system_sgpr_workgroup_id_x 1
		.amdhsa_system_sgpr_workgroup_id_y 0
		.amdhsa_system_sgpr_workgroup_id_z 0
		.amdhsa_system_sgpr_workgroup_info 0
		.amdhsa_system_vgpr_workitem_id 0
		.amdhsa_next_free_vgpr 24
		.amdhsa_next_free_sgpr 14
		.amdhsa_named_barrier_count 0
		.amdhsa_reserve_vcc 1
		.amdhsa_float_round_mode_32 0
		.amdhsa_float_round_mode_16_64 0
		.amdhsa_float_denorm_mode_32 3
		.amdhsa_float_denorm_mode_16_64 3
		.amdhsa_fp16_overflow 0
		.amdhsa_memory_ordered 1
		.amdhsa_forward_progress 1
		.amdhsa_inst_pref_size 12
		.amdhsa_round_robin_scheduling 0
		.amdhsa_exception_fp_ieee_invalid_op 0
		.amdhsa_exception_fp_denorm_src 0
		.amdhsa_exception_fp_ieee_div_zero 0
		.amdhsa_exception_fp_ieee_overflow 0
		.amdhsa_exception_fp_ieee_underflow 0
		.amdhsa_exception_fp_ieee_inexact 0
		.amdhsa_exception_int_div_zero 0
	.end_amdhsa_kernel
	.section	.text._ZN9rocsparseL19gebsrmvn_2xn_kernelILj128ELj1ELj32E21rocsparse_complex_numIfEEEvi20rocsparse_direction_NS_24const_host_device_scalarIT2_EEPKiS8_PKS5_SA_S6_PS5_21rocsparse_index_base_b,"axG",@progbits,_ZN9rocsparseL19gebsrmvn_2xn_kernelILj128ELj1ELj32E21rocsparse_complex_numIfEEEvi20rocsparse_direction_NS_24const_host_device_scalarIT2_EEPKiS8_PKS5_SA_S6_PS5_21rocsparse_index_base_b,comdat
.Lfunc_end155:
	.size	_ZN9rocsparseL19gebsrmvn_2xn_kernelILj128ELj1ELj32E21rocsparse_complex_numIfEEEvi20rocsparse_direction_NS_24const_host_device_scalarIT2_EEPKiS8_PKS5_SA_S6_PS5_21rocsparse_index_base_b, .Lfunc_end155-_ZN9rocsparseL19gebsrmvn_2xn_kernelILj128ELj1ELj32E21rocsparse_complex_numIfEEEvi20rocsparse_direction_NS_24const_host_device_scalarIT2_EEPKiS8_PKS5_SA_S6_PS5_21rocsparse_index_base_b
                                        ; -- End function
	.set _ZN9rocsparseL19gebsrmvn_2xn_kernelILj128ELj1ELj32E21rocsparse_complex_numIfEEEvi20rocsparse_direction_NS_24const_host_device_scalarIT2_EEPKiS8_PKS5_SA_S6_PS5_21rocsparse_index_base_b.num_vgpr, 24
	.set _ZN9rocsparseL19gebsrmvn_2xn_kernelILj128ELj1ELj32E21rocsparse_complex_numIfEEEvi20rocsparse_direction_NS_24const_host_device_scalarIT2_EEPKiS8_PKS5_SA_S6_PS5_21rocsparse_index_base_b.num_agpr, 0
	.set _ZN9rocsparseL19gebsrmvn_2xn_kernelILj128ELj1ELj32E21rocsparse_complex_numIfEEEvi20rocsparse_direction_NS_24const_host_device_scalarIT2_EEPKiS8_PKS5_SA_S6_PS5_21rocsparse_index_base_b.numbered_sgpr, 14
	.set _ZN9rocsparseL19gebsrmvn_2xn_kernelILj128ELj1ELj32E21rocsparse_complex_numIfEEEvi20rocsparse_direction_NS_24const_host_device_scalarIT2_EEPKiS8_PKS5_SA_S6_PS5_21rocsparse_index_base_b.num_named_barrier, 0
	.set _ZN9rocsparseL19gebsrmvn_2xn_kernelILj128ELj1ELj32E21rocsparse_complex_numIfEEEvi20rocsparse_direction_NS_24const_host_device_scalarIT2_EEPKiS8_PKS5_SA_S6_PS5_21rocsparse_index_base_b.private_seg_size, 0
	.set _ZN9rocsparseL19gebsrmvn_2xn_kernelILj128ELj1ELj32E21rocsparse_complex_numIfEEEvi20rocsparse_direction_NS_24const_host_device_scalarIT2_EEPKiS8_PKS5_SA_S6_PS5_21rocsparse_index_base_b.uses_vcc, 1
	.set _ZN9rocsparseL19gebsrmvn_2xn_kernelILj128ELj1ELj32E21rocsparse_complex_numIfEEEvi20rocsparse_direction_NS_24const_host_device_scalarIT2_EEPKiS8_PKS5_SA_S6_PS5_21rocsparse_index_base_b.uses_flat_scratch, 1
	.set _ZN9rocsparseL19gebsrmvn_2xn_kernelILj128ELj1ELj32E21rocsparse_complex_numIfEEEvi20rocsparse_direction_NS_24const_host_device_scalarIT2_EEPKiS8_PKS5_SA_S6_PS5_21rocsparse_index_base_b.has_dyn_sized_stack, 0
	.set _ZN9rocsparseL19gebsrmvn_2xn_kernelILj128ELj1ELj32E21rocsparse_complex_numIfEEEvi20rocsparse_direction_NS_24const_host_device_scalarIT2_EEPKiS8_PKS5_SA_S6_PS5_21rocsparse_index_base_b.has_recursion, 0
	.set _ZN9rocsparseL19gebsrmvn_2xn_kernelILj128ELj1ELj32E21rocsparse_complex_numIfEEEvi20rocsparse_direction_NS_24const_host_device_scalarIT2_EEPKiS8_PKS5_SA_S6_PS5_21rocsparse_index_base_b.has_indirect_call, 0
	.section	.AMDGPU.csdata,"",@progbits
; Kernel info:
; codeLenInByte = 1516
; TotalNumSgprs: 16
; NumVgprs: 24
; ScratchSize: 0
; MemoryBound: 0
; FloatMode: 240
; IeeeMode: 1
; LDSByteSize: 0 bytes/workgroup (compile time only)
; SGPRBlocks: 0
; VGPRBlocks: 1
; NumSGPRsForWavesPerEU: 16
; NumVGPRsForWavesPerEU: 24
; NamedBarCnt: 0
; Occupancy: 16
; WaveLimiterHint : 1
; COMPUTE_PGM_RSRC2:SCRATCH_EN: 0
; COMPUTE_PGM_RSRC2:USER_SGPR: 2
; COMPUTE_PGM_RSRC2:TRAP_HANDLER: 0
; COMPUTE_PGM_RSRC2:TGID_X_EN: 1
; COMPUTE_PGM_RSRC2:TGID_Y_EN: 0
; COMPUTE_PGM_RSRC2:TGID_Z_EN: 0
; COMPUTE_PGM_RSRC2:TIDIG_COMP_CNT: 0
	.section	.text._ZN9rocsparseL19gebsrmvn_2xn_kernelILj128ELj1ELj64E21rocsparse_complex_numIfEEEvi20rocsparse_direction_NS_24const_host_device_scalarIT2_EEPKiS8_PKS5_SA_S6_PS5_21rocsparse_index_base_b,"axG",@progbits,_ZN9rocsparseL19gebsrmvn_2xn_kernelILj128ELj1ELj64E21rocsparse_complex_numIfEEEvi20rocsparse_direction_NS_24const_host_device_scalarIT2_EEPKiS8_PKS5_SA_S6_PS5_21rocsparse_index_base_b,comdat
	.globl	_ZN9rocsparseL19gebsrmvn_2xn_kernelILj128ELj1ELj64E21rocsparse_complex_numIfEEEvi20rocsparse_direction_NS_24const_host_device_scalarIT2_EEPKiS8_PKS5_SA_S6_PS5_21rocsparse_index_base_b ; -- Begin function _ZN9rocsparseL19gebsrmvn_2xn_kernelILj128ELj1ELj64E21rocsparse_complex_numIfEEEvi20rocsparse_direction_NS_24const_host_device_scalarIT2_EEPKiS8_PKS5_SA_S6_PS5_21rocsparse_index_base_b
	.p2align	8
	.type	_ZN9rocsparseL19gebsrmvn_2xn_kernelILj128ELj1ELj64E21rocsparse_complex_numIfEEEvi20rocsparse_direction_NS_24const_host_device_scalarIT2_EEPKiS8_PKS5_SA_S6_PS5_21rocsparse_index_base_b,@function
_ZN9rocsparseL19gebsrmvn_2xn_kernelILj128ELj1ELj64E21rocsparse_complex_numIfEEEvi20rocsparse_direction_NS_24const_host_device_scalarIT2_EEPKiS8_PKS5_SA_S6_PS5_21rocsparse_index_base_b: ; @_ZN9rocsparseL19gebsrmvn_2xn_kernelILj128ELj1ELj64E21rocsparse_complex_numIfEEEvi20rocsparse_direction_NS_24const_host_device_scalarIT2_EEPKiS8_PKS5_SA_S6_PS5_21rocsparse_index_base_b
; %bb.0:
	s_clause 0x2
	s_load_b64 s[12:13], s[0:1], 0x40
	s_load_b64 s[2:3], s[0:1], 0x8
	;; [unrolled: 1-line block ×3, first 2 shown]
	v_mov_b32_e32 v1, 0
	s_add_nc_u64 s[6:7], s[0:1], 8
	s_add_nc_u64 s[8:9], s[0:1], 48
	s_wait_kmcnt 0x0
	s_bitcmp1_b32 s13, 0
	s_cselect_b32 s3, s7, s3
	s_cselect_b32 s2, s6, s2
	;; [unrolled: 1-line block ×4, first 2 shown]
	s_clause 0x1
	flat_load_b64 v[2:3], v1, s[2:3]
	flat_load_b64 v[4:5], v1, s[4:5]
	s_wait_loadcnt_dscnt 0x101
	v_cmp_eq_f32_e32 vcc_lo, 0, v2
	v_cmp_eq_f32_e64 s2, 0, v3
	s_wait_loadcnt_dscnt 0x0
	v_cmp_eq_f32_e64 s3, 1.0, v4
	v_cmp_eq_f32_e64 s4, 0, v5
	s_and_b32 s2, vcc_lo, s2
	s_and_b32 s3, s3, s4
	s_delay_alu instid0(SALU_CYCLE_1) | instskip(NEXT) | instid1(SALU_CYCLE_1)
	s_and_b32 s2, s2, s3
	s_xor_b32 s2, s2, -1
	s_delay_alu instid0(SALU_CYCLE_1)
	s_and_saveexec_b32 s3, s2
	s_cbranch_execz .LBB156_19
; %bb.1:
	s_load_b64 s[2:3], s[0:1], 0x0
	s_bfe_u32 s4, ttmp6, 0x4000c
	s_and_b32 s5, ttmp6, 15
	s_add_co_i32 s4, s4, 1
	s_getreg_b32 s6, hwreg(HW_REG_IB_STS2, 6, 4)
	s_mul_i32 s4, ttmp9, s4
	v_lshrrev_b32_e32 v1, 6, v0
	s_add_co_i32 s5, s5, s4
	s_cmp_eq_u32 s6, 0
	s_cselect_b32 s4, ttmp9, s5
	s_delay_alu instid0(VALU_DEP_1) | instid1(SALU_CYCLE_1)
	v_lshl_or_b32 v6, s4, 1, v1
	s_wait_kmcnt 0x0
	s_delay_alu instid0(VALU_DEP_1)
	v_cmp_gt_i32_e32 vcc_lo, s2, v6
	s_and_b32 exec_lo, exec_lo, vcc_lo
	s_cbranch_execz .LBB156_19
; %bb.2:
	s_load_b256 s[4:11], s[0:1], 0x10
	v_ashrrev_i32_e32 v7, 31, v6
	s_cmp_lg_u32 s3, 0
	s_wait_kmcnt 0x0
	s_delay_alu instid0(VALU_DEP_1)
	v_lshl_add_u64 v[8:9], v[6:7], 2, s[4:5]
	v_and_b32_e32 v7, 63, v0
	global_load_b64 v[8:9], v[8:9], off
	s_wait_loadcnt 0x0
	v_subrev_nc_u32_e32 v0, s12, v8
	v_subrev_nc_u32_e32 v12, s12, v9
	s_delay_alu instid0(VALU_DEP_2) | instskip(NEXT) | instid1(VALU_DEP_1)
	v_add_nc_u32_e32 v13, v0, v7
	v_cmp_lt_i32_e64 s2, v13, v12
	s_cbranch_scc0 .LBB156_8
; %bb.3:
	v_mov_b32_e32 v1, 0
	s_delay_alu instid0(VALU_DEP_1)
	v_dual_mov_b32 v0, v1 :: v_dual_mov_b32 v9, v1
	v_mov_b32_e32 v8, v1
	s_and_saveexec_b32 s3, s2
	s_cbranch_execz .LBB156_7
; %bb.4:
	v_dual_mov_b32 v11, 0 :: v_dual_lshlrev_b32 v10, 1, v13
	v_mov_b32_e32 v14, v13
	s_mov_b32 s4, 0
	s_delay_alu instid0(VALU_DEP_2)
	v_dual_mov_b32 v8, v11 :: v_dual_mov_b32 v9, v11
	v_dual_mov_b32 v0, v11 :: v_dual_mov_b32 v1, v11
.LBB156_5:                              ; =>This Inner Loop Header: Depth=1
	global_load_b32 v15, v14, s[6:7] scale_offset
	v_lshl_add_u64 v[20:21], v[10:11], 3, s[8:9]
	v_add_nc_u32_e32 v10, 0x80, v10
	s_wait_loadcnt 0x0
	v_subrev_nc_u32_e32 v15, s12, v15
	global_load_b128 v[16:19], v[20:21], off
	global_load_b64 v[22:23], v15, s[10:11] scale_offset
	s_wait_loadcnt 0x1
	s_wait_xcnt 0x1
	v_dual_mov_b32 v21, v18 :: v_dual_add_nc_u32 v14, 64, v14
	v_xor_b32_e32 v20, 0x80000000, v19
	s_wait_loadcnt 0x0
	v_pk_fma_f32 v[0:1], v[16:17], v[22:23], v[0:1] op_sel_hi:[1,0,1]
	v_pk_fma_f32 v[8:9], v[18:19], v[22:23], v[8:9] op_sel_hi:[1,0,1]
	v_cmp_ge_i32_e32 vcc_lo, v14, v12
	s_delay_alu instid0(VALU_DEP_3) | instskip(NEXT) | instid1(VALU_DEP_3)
	v_pk_fma_f32 v[0:1], v[16:17], v[22:23], v[0:1] op_sel:[1,1,0] op_sel_hi:[0,1,1] neg_lo:[1,0,0]
	v_pk_fma_f32 v[8:9], v[20:21], v[22:23], v[8:9] op_sel:[0,1,0]
	s_or_b32 s4, vcc_lo, s4
	s_delay_alu instid0(SALU_CYCLE_1)
	s_and_not1_b32 exec_lo, exec_lo, s4
	s_cbranch_execnz .LBB156_5
; %bb.6:
	s_or_b32 exec_lo, exec_lo, s4
.LBB156_7:
	s_delay_alu instid0(SALU_CYCLE_1)
	s_or_b32 exec_lo, exec_lo, s3
	s_cbranch_execz .LBB156_9
	s_branch .LBB156_14
.LBB156_8:
                                        ; implicit-def: $vgpr1
                                        ; implicit-def: $vgpr9
.LBB156_9:
	v_mov_b32_e32 v1, 0
	s_delay_alu instid0(VALU_DEP_1)
	v_dual_mov_b32 v0, v1 :: v_dual_mov_b32 v9, v1
	v_mov_b32_e32 v8, v1
	s_and_saveexec_b32 s3, s2
	s_cbranch_execz .LBB156_13
; %bb.10:
	v_dual_mov_b32 v11, 0 :: v_dual_lshlrev_b32 v10, 1, v13
	s_mov_b32 s2, 0
	s_delay_alu instid0(VALU_DEP_1)
	v_dual_mov_b32 v8, v11 :: v_dual_mov_b32 v9, v11
	v_dual_mov_b32 v0, v11 :: v_dual_mov_b32 v1, v11
.LBB156_11:                             ; =>This Inner Loop Header: Depth=1
	global_load_b32 v14, v13, s[6:7] scale_offset
	v_lshl_add_u64 v[18:19], v[10:11], 3, s[8:9]
	v_add_nc_u32_e32 v10, 0x80, v10
	s_wait_loadcnt 0x0
	v_subrev_nc_u32_e32 v22, s12, v14
	global_load_b128 v[14:17], v[18:19], off
	global_load_b64 v[20:21], v22, s[10:11] scale_offset
	s_wait_loadcnt 0x1
	s_wait_xcnt 0x1
	v_dual_add_nc_u32 v13, 64, v13 :: v_dual_mov_b32 v19, v16
	v_xor_b32_e32 v18, 0x80000000, v17
	s_wait_loadcnt 0x0
	v_pk_fma_f32 v[0:1], v[14:15], v[20:21], v[0:1] op_sel_hi:[1,0,1]
	v_pk_fma_f32 v[8:9], v[16:17], v[20:21], v[8:9] op_sel_hi:[1,0,1]
	v_cmp_ge_i32_e32 vcc_lo, v13, v12
	s_delay_alu instid0(VALU_DEP_3) | instskip(NEXT) | instid1(VALU_DEP_3)
	v_pk_fma_f32 v[0:1], v[14:15], v[20:21], v[0:1] op_sel:[1,1,0] op_sel_hi:[0,1,1] neg_lo:[1,0,0]
	v_pk_fma_f32 v[8:9], v[18:19], v[20:21], v[8:9] op_sel:[0,1,0]
	s_or_b32 s2, vcc_lo, s2
	s_delay_alu instid0(SALU_CYCLE_1)
	s_and_not1_b32 exec_lo, exec_lo, s2
	s_cbranch_execnz .LBB156_11
; %bb.12:
	s_or_b32 exec_lo, exec_lo, s2
.LBB156_13:
	s_delay_alu instid0(SALU_CYCLE_1)
	s_or_b32 exec_lo, exec_lo, s3
.LBB156_14:
	v_mbcnt_lo_u32_b32 v10, -1, 0
	s_delay_alu instid0(VALU_DEP_1) | instskip(SKIP_1) | instid1(VALU_DEP_1)
	v_xor_b32_e32 v15, 16, v10
	v_or_b32_e32 v11, 32, v10
	v_cmp_gt_i32_e32 vcc_lo, 32, v11
	v_cndmask_b32_e32 v11, v10, v11, vcc_lo
	s_delay_alu instid0(VALU_DEP_1)
	v_lshlrev_b32_e32 v11, 2, v11
	ds_bpermute_b32 v13, v11, v1
	s_wait_dscnt 0x0
	v_add_f32_e32 v1, v1, v13
	ds_bpermute_b32 v12, v11, v0
	ds_bpermute_b32 v14, v11, v8
	;; [unrolled: 1-line block ×3, first 2 shown]
	s_wait_dscnt 0x2
	v_add_f32_e32 v0, v0, v12
	s_wait_dscnt 0x0
	v_dual_add_f32 v8, v8, v14 :: v_dual_add_f32 v9, v9, v11
	v_cmp_gt_i32_e32 vcc_lo, 32, v15
	v_cndmask_b32_e32 v15, v10, v15, vcc_lo
	s_delay_alu instid0(VALU_DEP_1)
	v_lshlrev_b32_e32 v15, 2, v15
	ds_bpermute_b32 v11, v15, v0
	ds_bpermute_b32 v12, v15, v1
	;; [unrolled: 1-line block ×4, first 2 shown]
	s_wait_dscnt 0x3
	v_dual_add_f32 v0, v0, v11 :: v_dual_bitop2_b32 v15, 8, v10 bitop3:0x14
	s_delay_alu instid0(VALU_DEP_1)
	v_cmp_gt_i32_e32 vcc_lo, 32, v15
	s_wait_dscnt 0x2
	v_add_f32_e32 v1, v1, v12
	s_wait_dscnt 0x0
	v_dual_add_f32 v9, v9, v14 :: v_dual_add_f32 v8, v8, v13
	v_cndmask_b32_e32 v15, v10, v15, vcc_lo
	s_delay_alu instid0(VALU_DEP_1)
	v_lshlrev_b32_e32 v15, 2, v15
	ds_bpermute_b32 v11, v15, v0
	ds_bpermute_b32 v12, v15, v1
	;; [unrolled: 1-line block ×4, first 2 shown]
	s_wait_dscnt 0x3
	v_dual_add_f32 v0, v0, v11 :: v_dual_bitop2_b32 v15, 4, v10 bitop3:0x14
	s_delay_alu instid0(VALU_DEP_1) | instskip(SKIP_4) | instid1(VALU_DEP_2)
	v_cmp_gt_i32_e32 vcc_lo, 32, v15
	s_wait_dscnt 0x2
	v_dual_add_f32 v1, v1, v12 :: v_dual_cndmask_b32 v15, v10, v15, vcc_lo
	s_wait_dscnt 0x0
	v_dual_add_f32 v8, v8, v13 :: v_dual_add_f32 v9, v9, v14
	v_lshlrev_b32_e32 v15, 2, v15
	ds_bpermute_b32 v11, v15, v0
	ds_bpermute_b32 v12, v15, v1
	;; [unrolled: 1-line block ×4, first 2 shown]
	s_wait_dscnt 0x3
	v_dual_add_f32 v0, v0, v11 :: v_dual_bitop2_b32 v15, 2, v10 bitop3:0x14
	s_delay_alu instid0(VALU_DEP_1) | instskip(SKIP_4) | instid1(VALU_DEP_1)
	v_cmp_gt_i32_e32 vcc_lo, 32, v15
	s_wait_dscnt 0x1
	v_dual_add_f32 v1, v1, v12 :: v_dual_add_f32 v11, v8, v13
	s_wait_dscnt 0x0
	v_dual_add_f32 v9, v9, v14 :: v_dual_cndmask_b32 v15, v10, v15, vcc_lo
	v_lshlrev_b32_e32 v15, 2, v15
	ds_bpermute_b32 v8, v15, v0
	ds_bpermute_b32 v12, v15, v1
	ds_bpermute_b32 v13, v15, v11
	ds_bpermute_b32 v14, v15, v9
	s_wait_dscnt 0x3
	v_dual_add_f32 v0, v0, v8 :: v_dual_bitop2_b32 v15, 1, v10 bitop3:0x14
	s_delay_alu instid0(VALU_DEP_1)
	v_cmp_gt_i32_e32 vcc_lo, 32, v15
	s_wait_dscnt 0x2
	v_dual_add_f32 v8, v1, v12 :: v_dual_cndmask_b32 v10, v10, v15, vcc_lo
	s_wait_dscnt 0x0
	v_dual_add_f32 v1, v11, v13 :: v_dual_add_f32 v9, v9, v14
	v_cmp_eq_u32_e32 vcc_lo, 63, v7
	s_delay_alu instid0(VALU_DEP_3)
	v_lshlrev_b32_e32 v15, 2, v10
	ds_bpermute_b32 v12, v15, v0
	ds_bpermute_b32 v13, v15, v8
	;; [unrolled: 1-line block ×4, first 2 shown]
	s_and_b32 exec_lo, exec_lo, vcc_lo
	s_cbranch_execz .LBB156_19
; %bb.15:
	s_load_b64 s[2:3], s[0:1], 0x38
	v_cmp_eq_f32_e32 vcc_lo, 0, v4
	s_wait_xcnt 0x0
	v_cmp_eq_f32_e64 s0, 0, v5
	s_wait_dscnt 0x3
	v_add_f32_e32 v0, v0, v12
	s_wait_dscnt 0x1
	v_dual_add_f32 v12, v8, v13 :: v_dual_add_f32 v8, v1, v10
	s_wait_dscnt 0x0
	v_add_f32_e32 v10, v9, v11
	s_and_b32 s0, vcc_lo, s0
	s_delay_alu instid0(SALU_CYCLE_1) | instskip(NEXT) | instid1(SALU_CYCLE_1)
	s_and_saveexec_b32 s1, s0
	s_xor_b32 s0, exec_lo, s1
	s_cbranch_execz .LBB156_17
; %bb.16:
	v_xor_b32_e32 v4, 0x80000000, v3
	v_dual_mov_b32 v5, v2 :: v_dual_lshlrev_b32 v6, 1, v6
	s_delay_alu instid0(VALU_DEP_1) | instskip(NEXT) | instid1(VALU_DEP_2)
	v_ashrrev_i32_e32 v7, 31, v6
	v_pk_mul_f32 v[12:13], v[12:13], v[4:5] op_sel_hi:[0,1]
	v_pk_mul_f32 v[4:5], v[10:11], v[4:5] op_sel_hi:[0,1]
                                        ; implicit-def: $vgpr10
	s_wait_kmcnt 0x0
	s_delay_alu instid0(VALU_DEP_3) | instskip(NEXT) | instid1(VALU_DEP_3)
	v_lshl_add_u64 v[6:7], v[6:7], 3, s[2:3]
	v_pk_fma_f32 v[0:1], v[2:3], v[0:1], v[12:13] op_sel_hi:[1,0,1]
	s_delay_alu instid0(VALU_DEP_3)
	v_pk_fma_f32 v[2:3], v[2:3], v[8:9], v[4:5] op_sel_hi:[1,0,1]
                                        ; implicit-def: $vgpr4_vgpr5
                                        ; implicit-def: $vgpr12
                                        ; implicit-def: $vgpr8
	global_store_b128 v[6:7], v[0:3], off
                                        ; implicit-def: $vgpr6
                                        ; implicit-def: $vgpr2_vgpr3
                                        ; implicit-def: $vgpr0
.LBB156_17:
	s_wait_xcnt 0x0
	s_and_not1_saveexec_b32 s0, s0
	s_cbranch_execz .LBB156_19
; %bb.18:
	v_dual_mov_b32 v19, v2 :: v_dual_lshlrev_b32 v6, 1, v6
	v_xor_b32_e32 v18, 0x80000000, v3
	s_delay_alu instid0(VALU_DEP_2) | instskip(NEXT) | instid1(VALU_DEP_2)
	v_ashrrev_i32_e32 v7, 31, v6
	v_pk_mul_f32 v[12:13], v[12:13], v[18:19] op_sel_hi:[0,1]
	v_pk_mul_f32 v[10:11], v[10:11], v[18:19] op_sel_hi:[0,1]
	s_delay_alu instid0(VALU_DEP_2) | instskip(NEXT) | instid1(VALU_DEP_2)
	v_pk_fma_f32 v[0:1], v[2:3], v[0:1], v[12:13] op_sel_hi:[1,0,1]
	v_pk_fma_f32 v[2:3], v[2:3], v[8:9], v[10:11] op_sel_hi:[1,0,1]
	v_mov_b32_e32 v9, v4
	s_wait_kmcnt 0x0
	v_lshl_add_u64 v[6:7], v[6:7], 3, s[2:3]
	v_xor_b32_e32 v8, 0x80000000, v5
	global_load_b128 v[14:17], v[6:7], off
	s_wait_loadcnt 0x0
	v_pk_fma_f32 v[0:1], v[4:5], v[14:15], v[0:1] op_sel_hi:[1,0,1]
	v_pk_fma_f32 v[2:3], v[4:5], v[16:17], v[2:3] op_sel_hi:[1,0,1]
	v_mov_b32_e32 v4, v17
	s_delay_alu instid0(VALU_DEP_3) | instskip(NEXT) | instid1(VALU_DEP_2)
	v_pk_fma_f32 v[0:1], v[8:9], v[14:15], v[0:1] op_sel:[0,1,0]
	v_pk_fma_f32 v[2:3], v[8:9], v[4:5], v[2:3] op_sel_hi:[1,0,1]
	global_store_b128 v[6:7], v[0:3], off
.LBB156_19:
	s_endpgm
	.section	.rodata,"a",@progbits
	.p2align	6, 0x0
	.amdhsa_kernel _ZN9rocsparseL19gebsrmvn_2xn_kernelILj128ELj1ELj64E21rocsparse_complex_numIfEEEvi20rocsparse_direction_NS_24const_host_device_scalarIT2_EEPKiS8_PKS5_SA_S6_PS5_21rocsparse_index_base_b
		.amdhsa_group_segment_fixed_size 0
		.amdhsa_private_segment_fixed_size 0
		.amdhsa_kernarg_size 72
		.amdhsa_user_sgpr_count 2
		.amdhsa_user_sgpr_dispatch_ptr 0
		.amdhsa_user_sgpr_queue_ptr 0
		.amdhsa_user_sgpr_kernarg_segment_ptr 1
		.amdhsa_user_sgpr_dispatch_id 0
		.amdhsa_user_sgpr_kernarg_preload_length 0
		.amdhsa_user_sgpr_kernarg_preload_offset 0
		.amdhsa_user_sgpr_private_segment_size 0
		.amdhsa_wavefront_size32 1
		.amdhsa_uses_dynamic_stack 0
		.amdhsa_enable_private_segment 0
		.amdhsa_system_sgpr_workgroup_id_x 1
		.amdhsa_system_sgpr_workgroup_id_y 0
		.amdhsa_system_sgpr_workgroup_id_z 0
		.amdhsa_system_sgpr_workgroup_info 0
		.amdhsa_system_vgpr_workitem_id 0
		.amdhsa_next_free_vgpr 24
		.amdhsa_next_free_sgpr 14
		.amdhsa_named_barrier_count 0
		.amdhsa_reserve_vcc 1
		.amdhsa_float_round_mode_32 0
		.amdhsa_float_round_mode_16_64 0
		.amdhsa_float_denorm_mode_32 3
		.amdhsa_float_denorm_mode_16_64 3
		.amdhsa_fp16_overflow 0
		.amdhsa_memory_ordered 1
		.amdhsa_forward_progress 1
		.amdhsa_inst_pref_size 13
		.amdhsa_round_robin_scheduling 0
		.amdhsa_exception_fp_ieee_invalid_op 0
		.amdhsa_exception_fp_denorm_src 0
		.amdhsa_exception_fp_ieee_div_zero 0
		.amdhsa_exception_fp_ieee_overflow 0
		.amdhsa_exception_fp_ieee_underflow 0
		.amdhsa_exception_fp_ieee_inexact 0
		.amdhsa_exception_int_div_zero 0
	.end_amdhsa_kernel
	.section	.text._ZN9rocsparseL19gebsrmvn_2xn_kernelILj128ELj1ELj64E21rocsparse_complex_numIfEEEvi20rocsparse_direction_NS_24const_host_device_scalarIT2_EEPKiS8_PKS5_SA_S6_PS5_21rocsparse_index_base_b,"axG",@progbits,_ZN9rocsparseL19gebsrmvn_2xn_kernelILj128ELj1ELj64E21rocsparse_complex_numIfEEEvi20rocsparse_direction_NS_24const_host_device_scalarIT2_EEPKiS8_PKS5_SA_S6_PS5_21rocsparse_index_base_b,comdat
.Lfunc_end156:
	.size	_ZN9rocsparseL19gebsrmvn_2xn_kernelILj128ELj1ELj64E21rocsparse_complex_numIfEEEvi20rocsparse_direction_NS_24const_host_device_scalarIT2_EEPKiS8_PKS5_SA_S6_PS5_21rocsparse_index_base_b, .Lfunc_end156-_ZN9rocsparseL19gebsrmvn_2xn_kernelILj128ELj1ELj64E21rocsparse_complex_numIfEEEvi20rocsparse_direction_NS_24const_host_device_scalarIT2_EEPKiS8_PKS5_SA_S6_PS5_21rocsparse_index_base_b
                                        ; -- End function
	.set _ZN9rocsparseL19gebsrmvn_2xn_kernelILj128ELj1ELj64E21rocsparse_complex_numIfEEEvi20rocsparse_direction_NS_24const_host_device_scalarIT2_EEPKiS8_PKS5_SA_S6_PS5_21rocsparse_index_base_b.num_vgpr, 24
	.set _ZN9rocsparseL19gebsrmvn_2xn_kernelILj128ELj1ELj64E21rocsparse_complex_numIfEEEvi20rocsparse_direction_NS_24const_host_device_scalarIT2_EEPKiS8_PKS5_SA_S6_PS5_21rocsparse_index_base_b.num_agpr, 0
	.set _ZN9rocsparseL19gebsrmvn_2xn_kernelILj128ELj1ELj64E21rocsparse_complex_numIfEEEvi20rocsparse_direction_NS_24const_host_device_scalarIT2_EEPKiS8_PKS5_SA_S6_PS5_21rocsparse_index_base_b.numbered_sgpr, 14
	.set _ZN9rocsparseL19gebsrmvn_2xn_kernelILj128ELj1ELj64E21rocsparse_complex_numIfEEEvi20rocsparse_direction_NS_24const_host_device_scalarIT2_EEPKiS8_PKS5_SA_S6_PS5_21rocsparse_index_base_b.num_named_barrier, 0
	.set _ZN9rocsparseL19gebsrmvn_2xn_kernelILj128ELj1ELj64E21rocsparse_complex_numIfEEEvi20rocsparse_direction_NS_24const_host_device_scalarIT2_EEPKiS8_PKS5_SA_S6_PS5_21rocsparse_index_base_b.private_seg_size, 0
	.set _ZN9rocsparseL19gebsrmvn_2xn_kernelILj128ELj1ELj64E21rocsparse_complex_numIfEEEvi20rocsparse_direction_NS_24const_host_device_scalarIT2_EEPKiS8_PKS5_SA_S6_PS5_21rocsparse_index_base_b.uses_vcc, 1
	.set _ZN9rocsparseL19gebsrmvn_2xn_kernelILj128ELj1ELj64E21rocsparse_complex_numIfEEEvi20rocsparse_direction_NS_24const_host_device_scalarIT2_EEPKiS8_PKS5_SA_S6_PS5_21rocsparse_index_base_b.uses_flat_scratch, 1
	.set _ZN9rocsparseL19gebsrmvn_2xn_kernelILj128ELj1ELj64E21rocsparse_complex_numIfEEEvi20rocsparse_direction_NS_24const_host_device_scalarIT2_EEPKiS8_PKS5_SA_S6_PS5_21rocsparse_index_base_b.has_dyn_sized_stack, 0
	.set _ZN9rocsparseL19gebsrmvn_2xn_kernelILj128ELj1ELj64E21rocsparse_complex_numIfEEEvi20rocsparse_direction_NS_24const_host_device_scalarIT2_EEPKiS8_PKS5_SA_S6_PS5_21rocsparse_index_base_b.has_recursion, 0
	.set _ZN9rocsparseL19gebsrmvn_2xn_kernelILj128ELj1ELj64E21rocsparse_complex_numIfEEEvi20rocsparse_direction_NS_24const_host_device_scalarIT2_EEPKiS8_PKS5_SA_S6_PS5_21rocsparse_index_base_b.has_indirect_call, 0
	.section	.AMDGPU.csdata,"",@progbits
; Kernel info:
; codeLenInByte = 1620
; TotalNumSgprs: 16
; NumVgprs: 24
; ScratchSize: 0
; MemoryBound: 0
; FloatMode: 240
; IeeeMode: 1
; LDSByteSize: 0 bytes/workgroup (compile time only)
; SGPRBlocks: 0
; VGPRBlocks: 1
; NumSGPRsForWavesPerEU: 16
; NumVGPRsForWavesPerEU: 24
; NamedBarCnt: 0
; Occupancy: 16
; WaveLimiterHint : 1
; COMPUTE_PGM_RSRC2:SCRATCH_EN: 0
; COMPUTE_PGM_RSRC2:USER_SGPR: 2
; COMPUTE_PGM_RSRC2:TRAP_HANDLER: 0
; COMPUTE_PGM_RSRC2:TGID_X_EN: 1
; COMPUTE_PGM_RSRC2:TGID_Y_EN: 0
; COMPUTE_PGM_RSRC2:TGID_Z_EN: 0
; COMPUTE_PGM_RSRC2:TIDIG_COMP_CNT: 0
	.section	.text._ZN9rocsparseL19gebsrmvn_2xn_kernelILj128ELj3ELj4E21rocsparse_complex_numIfEEEvi20rocsparse_direction_NS_24const_host_device_scalarIT2_EEPKiS8_PKS5_SA_S6_PS5_21rocsparse_index_base_b,"axG",@progbits,_ZN9rocsparseL19gebsrmvn_2xn_kernelILj128ELj3ELj4E21rocsparse_complex_numIfEEEvi20rocsparse_direction_NS_24const_host_device_scalarIT2_EEPKiS8_PKS5_SA_S6_PS5_21rocsparse_index_base_b,comdat
	.globl	_ZN9rocsparseL19gebsrmvn_2xn_kernelILj128ELj3ELj4E21rocsparse_complex_numIfEEEvi20rocsparse_direction_NS_24const_host_device_scalarIT2_EEPKiS8_PKS5_SA_S6_PS5_21rocsparse_index_base_b ; -- Begin function _ZN9rocsparseL19gebsrmvn_2xn_kernelILj128ELj3ELj4E21rocsparse_complex_numIfEEEvi20rocsparse_direction_NS_24const_host_device_scalarIT2_EEPKiS8_PKS5_SA_S6_PS5_21rocsparse_index_base_b
	.p2align	8
	.type	_ZN9rocsparseL19gebsrmvn_2xn_kernelILj128ELj3ELj4E21rocsparse_complex_numIfEEEvi20rocsparse_direction_NS_24const_host_device_scalarIT2_EEPKiS8_PKS5_SA_S6_PS5_21rocsparse_index_base_b,@function
_ZN9rocsparseL19gebsrmvn_2xn_kernelILj128ELj3ELj4E21rocsparse_complex_numIfEEEvi20rocsparse_direction_NS_24const_host_device_scalarIT2_EEPKiS8_PKS5_SA_S6_PS5_21rocsparse_index_base_b: ; @_ZN9rocsparseL19gebsrmvn_2xn_kernelILj128ELj3ELj4E21rocsparse_complex_numIfEEEvi20rocsparse_direction_NS_24const_host_device_scalarIT2_EEPKiS8_PKS5_SA_S6_PS5_21rocsparse_index_base_b
; %bb.0:
	s_clause 0x2
	s_load_b64 s[12:13], s[0:1], 0x40
	s_load_b64 s[2:3], s[0:1], 0x8
	;; [unrolled: 1-line block ×3, first 2 shown]
	v_mov_b32_e32 v1, 0
	s_add_nc_u64 s[6:7], s[0:1], 8
	s_add_nc_u64 s[8:9], s[0:1], 48
	s_wait_kmcnt 0x0
	s_bitcmp1_b32 s13, 0
	s_cselect_b32 s3, s7, s3
	s_cselect_b32 s2, s6, s2
	;; [unrolled: 1-line block ×4, first 2 shown]
	s_clause 0x1
	flat_load_b64 v[2:3], v1, s[2:3]
	flat_load_b64 v[4:5], v1, s[4:5]
	s_wait_loadcnt_dscnt 0x101
	v_cmp_eq_f32_e32 vcc_lo, 0, v2
	v_cmp_eq_f32_e64 s2, 0, v3
	s_wait_loadcnt_dscnt 0x0
	v_cmp_eq_f32_e64 s3, 1.0, v4
	v_cmp_eq_f32_e64 s4, 0, v5
	s_and_b32 s2, vcc_lo, s2
	s_and_b32 s3, s3, s4
	s_delay_alu instid0(SALU_CYCLE_1) | instskip(NEXT) | instid1(SALU_CYCLE_1)
	s_and_b32 s2, s2, s3
	s_xor_b32 s2, s2, -1
	s_delay_alu instid0(SALU_CYCLE_1)
	s_and_saveexec_b32 s3, s2
	s_cbranch_execz .LBB157_19
; %bb.1:
	s_load_b64 s[2:3], s[0:1], 0x0
	s_bfe_u32 s4, ttmp6, 0x4000c
	s_and_b32 s5, ttmp6, 15
	s_add_co_i32 s4, s4, 1
	s_getreg_b32 s6, hwreg(HW_REG_IB_STS2, 6, 4)
	s_mul_i32 s4, ttmp9, s4
	v_lshrrev_b32_e32 v1, 2, v0
	s_add_co_i32 s5, s5, s4
	s_cmp_eq_u32 s6, 0
	s_cselect_b32 s4, ttmp9, s5
	s_delay_alu instid0(VALU_DEP_1) | instid1(SALU_CYCLE_1)
	v_lshl_or_b32 v6, s4, 5, v1
	s_wait_kmcnt 0x0
	s_delay_alu instid0(VALU_DEP_1)
	v_cmp_gt_i32_e32 vcc_lo, s2, v6
	s_and_b32 exec_lo, exec_lo, vcc_lo
	s_cbranch_execz .LBB157_19
; %bb.2:
	s_load_b256 s[4:11], s[0:1], 0x10
	v_ashrrev_i32_e32 v7, 31, v6
	s_cmp_lg_u32 s3, 0
	s_wait_kmcnt 0x0
	s_delay_alu instid0(VALU_DEP_1)
	v_lshl_add_u64 v[8:9], v[6:7], 2, s[4:5]
	v_and_b32_e32 v7, 3, v0
	global_load_b64 v[8:9], v[8:9], off
	s_wait_loadcnt 0x0
	v_subrev_nc_u32_e32 v0, s12, v8
	v_subrev_nc_u32_e32 v12, s12, v9
	s_delay_alu instid0(VALU_DEP_2) | instskip(NEXT) | instid1(VALU_DEP_1)
	v_add_nc_u32_e32 v13, v0, v7
	v_cmp_lt_i32_e64 s2, v13, v12
	s_cbranch_scc0 .LBB157_8
; %bb.3:
	v_mov_b32_e32 v1, 0
	s_delay_alu instid0(VALU_DEP_1)
	v_dual_mov_b32 v0, v1 :: v_dual_mov_b32 v9, v1
	v_mov_b32_e32 v8, v1
	s_and_saveexec_b32 s3, s2
	s_cbranch_execz .LBB157_7
; %bb.4:
	v_mul_lo_u32 v10, v13, 6
	v_dual_mov_b32 v11, 0 :: v_dual_mov_b32 v14, v13
	s_mov_b32 s4, 0
	s_delay_alu instid0(VALU_DEP_1)
	v_dual_mov_b32 v8, v11 :: v_dual_mov_b32 v9, v11
	v_dual_mov_b32 v0, v11 :: v_dual_mov_b32 v1, v11
.LBB157_5:                              ; =>This Inner Loop Header: Depth=1
	global_load_b32 v15, v14, s[6:7] scale_offset
	v_lshl_add_u64 v[20:21], v[10:11], 3, s[8:9]
	v_dual_mov_b32 v23, v11 :: v_dual_add_nc_u32 v22, 2, v10
	s_delay_alu instid0(VALU_DEP_1) | instskip(SKIP_2) | instid1(VALU_DEP_1)
	v_lshl_add_u64 v[26:27], v[22:23], 3, s[8:9]
	s_wait_loadcnt 0x0
	v_subrev_nc_u32_e32 v15, s12, v15
	v_lshl_add_u32 v15, v15, 1, v15
	v_dual_mov_b32 v25, v11 :: v_dual_add_nc_u32 v24, 4, v10
	v_add_nc_u32_e32 v10, 24, v10
	global_load_b128 v[16:19], v[20:21], off
	global_load_b64 v[28:29], v15, s[10:11] scale_offset
	s_wait_xcnt 0x0
	v_dual_add_nc_u32 v32, 1, v15 :: v_dual_add_nc_u32 v15, 2, v15
	global_load_b128 v[20:23], v[26:27], off
	global_load_b64 v[30:31], v32, s[10:11] scale_offset
	s_wait_xcnt 0x0
	v_lshl_add_u64 v[32:33], v[24:25], 3, s[8:9]
	global_load_b128 v[24:27], v[32:33], off
	global_load_b64 v[34:35], v15, s[10:11] scale_offset
	v_add_nc_u32_e32 v14, 4, v14
	s_wait_loadcnt 0x5
	s_wait_xcnt 0x1
	v_xor_b32_e32 v32, 0x80000000, v19
	v_mov_b32_e32 v33, v18
	s_wait_loadcnt 0x4
	v_pk_fma_f32 v[0:1], v[16:17], v[28:29], v[0:1] op_sel_hi:[1,0,1]
	v_pk_fma_f32 v[8:9], v[18:19], v[28:29], v[8:9] op_sel_hi:[1,0,1]
	s_delay_alu instid0(VALU_DEP_2) | instskip(SKIP_2) | instid1(VALU_DEP_3)
	v_pk_fma_f32 v[0:1], v[16:17], v[28:29], v[0:1] op_sel:[1,1,0] op_sel_hi:[0,1,1] neg_lo:[1,0,0]
	s_wait_loadcnt 0x3
	v_mov_b32_e32 v17, v22
	v_pk_fma_f32 v[8:9], v[32:33], v[28:29], v[8:9] op_sel:[0,1,0]
	v_xor_b32_e32 v16, 0x80000000, v23
	s_wait_loadcnt 0x2
	v_pk_fma_f32 v[0:1], v[20:21], v[30:31], v[0:1] op_sel_hi:[1,0,1]
	s_delay_alu instid0(VALU_DEP_3) | instskip(NEXT) | instid1(VALU_DEP_2)
	v_pk_fma_f32 v[8:9], v[22:23], v[30:31], v[8:9] op_sel_hi:[1,0,1]
	v_pk_fma_f32 v[0:1], v[20:21], v[30:31], v[0:1] op_sel:[1,1,0] op_sel_hi:[0,1,1] neg_lo:[1,0,0]
	s_delay_alu instid0(VALU_DEP_2)
	v_pk_fma_f32 v[8:9], v[16:17], v[30:31], v[8:9] op_sel:[0,1,0]
	s_wait_loadcnt 0x1
	v_xor_b32_e32 v16, 0x80000000, v27
	v_mov_b32_e32 v17, v26
	s_wait_loadcnt 0x0
	v_pk_fma_f32 v[0:1], v[24:25], v[34:35], v[0:1] op_sel_hi:[1,0,1]
	v_cmp_ge_i32_e32 vcc_lo, v14, v12
	v_pk_fma_f32 v[8:9], v[26:27], v[34:35], v[8:9] op_sel_hi:[1,0,1]
	s_delay_alu instid0(VALU_DEP_3) | instskip(SKIP_1) | instid1(VALU_DEP_2)
	v_pk_fma_f32 v[0:1], v[24:25], v[34:35], v[0:1] op_sel:[1,1,0] op_sel_hi:[0,1,1] neg_lo:[1,0,0]
	s_or_b32 s4, vcc_lo, s4
	v_pk_fma_f32 v[8:9], v[16:17], v[34:35], v[8:9] op_sel:[0,1,0]
	s_and_not1_b32 exec_lo, exec_lo, s4
	s_cbranch_execnz .LBB157_5
; %bb.6:
	s_or_b32 exec_lo, exec_lo, s4
.LBB157_7:
	s_delay_alu instid0(SALU_CYCLE_1)
	s_or_b32 exec_lo, exec_lo, s3
	s_cbranch_execz .LBB157_9
	s_branch .LBB157_14
.LBB157_8:
                                        ; implicit-def: $vgpr1
                                        ; implicit-def: $vgpr9
.LBB157_9:
	v_mov_b32_e32 v1, 0
	s_delay_alu instid0(VALU_DEP_1)
	v_dual_mov_b32 v0, v1 :: v_dual_mov_b32 v9, v1
	v_mov_b32_e32 v8, v1
	s_and_saveexec_b32 s3, s2
	s_cbranch_execz .LBB157_13
; %bb.10:
	v_mad_u32 v14, v13, 6, 5
	v_mov_b32_e32 v11, 0
	s_mov_b32 s2, 0
	s_delay_alu instid0(VALU_DEP_1)
	v_dual_mov_b32 v8, v11 :: v_dual_mov_b32 v9, v11
	v_dual_mov_b32 v0, v11 :: v_dual_mov_b32 v1, v11
.LBB157_11:                             ; =>This Inner Loop Header: Depth=1
	global_load_b32 v15, v13, s[6:7] scale_offset
	v_dual_add_nc_u32 v10, -5, v14 :: v_dual_add_nc_u32 v26, -2, v14
	s_wait_xcnt 0x0
	v_dual_add_nc_u32 v30, -1, v14 :: v_dual_add_nc_u32 v13, 4, v13
	s_delay_alu instid0(VALU_DEP_2) | instskip(NEXT) | instid1(VALU_DEP_2)
	v_lshl_add_u64 v[20:21], v[10:11], 3, s[8:9]
	v_cmp_ge_i32_e32 vcc_lo, v13, v12
	s_or_b32 s2, vcc_lo, s2
	s_wait_loadcnt 0x0
	v_subrev_nc_u32_e32 v15, s12, v15
	s_delay_alu instid0(VALU_DEP_1)
	v_lshl_add_u32 v10, v15, 1, v15
	s_clause 0x1
	global_load_b128 v[16:19], v[20:21], off
	global_load_b64 v[22:23], v26, s[8:9] scale_offset
	global_load_b64 v[24:25], v10, s[10:11] scale_offset
	v_add_nc_u32_e32 v15, -3, v14
	s_wait_xcnt 0x0
	v_dual_add_nc_u32 v31, 1, v10 :: v_dual_add_nc_u32 v10, 2, v10
	s_clause 0x1
	global_load_b64 v[20:21], v15, s[8:9] scale_offset
	global_load_b64 v[26:27], v30, s[8:9] scale_offset
	;; [unrolled: 1-line block ×5, first 2 shown]
	s_wait_xcnt 0x1
	v_add_nc_u32_e32 v14, 24, v14
	s_wait_loadcnt 0x5
	v_pk_fma_f32 v[0:1], v[16:17], v[24:25], v[0:1] op_sel_hi:[1,0,1]
	v_pk_fma_f32 v[8:9], v[22:23], v[24:25], v[8:9] op_sel_hi:[1,0,1]
	s_delay_alu instid0(VALU_DEP_2) | instskip(NEXT) | instid1(VALU_DEP_2)
	v_pk_fma_f32 v[0:1], v[16:17], v[24:25], v[0:1] op_sel:[1,1,0] op_sel_hi:[0,1,1] neg_lo:[1,0,0]
	v_pk_fma_f32 v[8:9], v[22:23], v[24:25], v[8:9] op_sel:[1,1,0] op_sel_hi:[0,1,1] neg_lo:[1,0,0]
	v_xor_b32_e32 v16, 0x80000000, v19
	v_mov_b32_e32 v17, v18
	s_wait_loadcnt 0x2
	v_pk_fma_f32 v[0:1], v[18:19], v[28:29], v[0:1] op_sel_hi:[1,0,1]
	v_pk_fma_f32 v[8:9], v[26:27], v[28:29], v[8:9] op_sel_hi:[1,0,1]
	s_delay_alu instid0(VALU_DEP_2) | instskip(NEXT) | instid1(VALU_DEP_2)
	v_pk_fma_f32 v[0:1], v[16:17], v[28:29], v[0:1] op_sel:[0,1,0]
	v_pk_fma_f32 v[8:9], v[26:27], v[28:29], v[8:9] op_sel:[1,1,0] op_sel_hi:[0,1,1] neg_lo:[1,0,0]
	s_wait_loadcnt 0x0
	s_delay_alu instid0(VALU_DEP_2) | instskip(NEXT) | instid1(VALU_DEP_2)
	v_pk_fma_f32 v[0:1], v[20:21], v[32:33], v[0:1] op_sel_hi:[1,0,1]
	v_pk_fma_f32 v[8:9], v[30:31], v[32:33], v[8:9] op_sel_hi:[1,0,1]
	s_delay_alu instid0(VALU_DEP_2) | instskip(NEXT) | instid1(VALU_DEP_2)
	v_pk_fma_f32 v[0:1], v[20:21], v[32:33], v[0:1] op_sel:[1,1,0] op_sel_hi:[0,1,1] neg_lo:[1,0,0]
	v_pk_fma_f32 v[8:9], v[30:31], v[32:33], v[8:9] op_sel:[1,1,0] op_sel_hi:[0,1,1] neg_lo:[1,0,0]
	s_and_not1_b32 exec_lo, exec_lo, s2
	s_cbranch_execnz .LBB157_11
; %bb.12:
	s_or_b32 exec_lo, exec_lo, s2
.LBB157_13:
	s_delay_alu instid0(SALU_CYCLE_1)
	s_or_b32 exec_lo, exec_lo, s3
.LBB157_14:
	v_mbcnt_lo_u32_b32 v10, -1, 0
	s_delay_alu instid0(VALU_DEP_1) | instskip(SKIP_1) | instid1(VALU_DEP_1)
	v_xor_b32_e32 v15, 1, v10
	v_xor_b32_e32 v11, 2, v10
	v_cmp_gt_i32_e32 vcc_lo, 32, v11
	v_cndmask_b32_e32 v11, v10, v11, vcc_lo
	s_delay_alu instid0(VALU_DEP_4) | instskip(SKIP_2) | instid1(VALU_DEP_2)
	v_cmp_gt_i32_e32 vcc_lo, 32, v15
	v_cndmask_b32_e32 v10, v10, v15, vcc_lo
	v_cmp_eq_u32_e32 vcc_lo, 3, v7
	v_dual_lshlrev_b32 v15, 2, v10 :: v_dual_lshlrev_b32 v11, 2, v11
	ds_bpermute_b32 v12, v11, v0
	s_wait_dscnt 0x0
	v_add_f32_e32 v0, v0, v12
	ds_bpermute_b32 v13, v11, v1
	ds_bpermute_b32 v14, v11, v8
	;; [unrolled: 1-line block ×4, first 2 shown]
	s_wait_dscnt 0x2
	v_dual_add_f32 v10, v1, v13 :: v_dual_add_f32 v1, v8, v14
	s_wait_dscnt 0x1
	v_add_f32_e32 v9, v9, v11
	ds_bpermute_b32 v13, v15, v10
	ds_bpermute_b32 v8, v15, v1
	;; [unrolled: 1-line block ×3, first 2 shown]
	s_and_b32 exec_lo, exec_lo, vcc_lo
	s_cbranch_execz .LBB157_19
; %bb.15:
	s_load_b64 s[2:3], s[0:1], 0x38
	v_cmp_eq_f32_e32 vcc_lo, 0, v4
	s_wait_xcnt 0x0
	v_cmp_eq_f32_e64 s0, 0, v5
	s_wait_dscnt 0x2
	v_dual_add_f32 v0, v0, v12 :: v_dual_add_f32 v12, v10, v13
	s_wait_dscnt 0x1
	v_add_f32_e32 v8, v1, v8
	s_wait_dscnt 0x0
	v_add_f32_e32 v10, v9, v11
	s_and_b32 s0, vcc_lo, s0
	s_delay_alu instid0(SALU_CYCLE_1) | instskip(NEXT) | instid1(SALU_CYCLE_1)
	s_and_saveexec_b32 s1, s0
	s_xor_b32 s0, exec_lo, s1
	s_cbranch_execz .LBB157_17
; %bb.16:
	v_xor_b32_e32 v4, 0x80000000, v3
	v_dual_mov_b32 v5, v2 :: v_dual_lshlrev_b32 v6, 1, v6
	s_delay_alu instid0(VALU_DEP_1) | instskip(NEXT) | instid1(VALU_DEP_2)
	v_ashrrev_i32_e32 v7, 31, v6
	v_pk_mul_f32 v[12:13], v[12:13], v[4:5] op_sel_hi:[0,1]
	v_pk_mul_f32 v[4:5], v[10:11], v[4:5] op_sel_hi:[0,1]
                                        ; implicit-def: $vgpr10
	s_wait_kmcnt 0x0
	s_delay_alu instid0(VALU_DEP_3) | instskip(NEXT) | instid1(VALU_DEP_3)
	v_lshl_add_u64 v[6:7], v[6:7], 3, s[2:3]
	v_pk_fma_f32 v[0:1], v[2:3], v[0:1], v[12:13] op_sel_hi:[1,0,1]
	s_delay_alu instid0(VALU_DEP_3)
	v_pk_fma_f32 v[2:3], v[2:3], v[8:9], v[4:5] op_sel_hi:[1,0,1]
                                        ; implicit-def: $vgpr4_vgpr5
                                        ; implicit-def: $vgpr12
                                        ; implicit-def: $vgpr8
	global_store_b128 v[6:7], v[0:3], off
                                        ; implicit-def: $vgpr6
                                        ; implicit-def: $vgpr2_vgpr3
                                        ; implicit-def: $vgpr0
.LBB157_17:
	s_wait_xcnt 0x0
	s_and_not1_saveexec_b32 s0, s0
	s_cbranch_execz .LBB157_19
; %bb.18:
	v_dual_mov_b32 v19, v2 :: v_dual_lshlrev_b32 v6, 1, v6
	v_xor_b32_e32 v18, 0x80000000, v3
	s_delay_alu instid0(VALU_DEP_2) | instskip(NEXT) | instid1(VALU_DEP_2)
	v_ashrrev_i32_e32 v7, 31, v6
	v_pk_mul_f32 v[12:13], v[12:13], v[18:19] op_sel_hi:[0,1]
	v_pk_mul_f32 v[10:11], v[10:11], v[18:19] op_sel_hi:[0,1]
	s_delay_alu instid0(VALU_DEP_2) | instskip(NEXT) | instid1(VALU_DEP_2)
	v_pk_fma_f32 v[0:1], v[2:3], v[0:1], v[12:13] op_sel_hi:[1,0,1]
	v_pk_fma_f32 v[2:3], v[2:3], v[8:9], v[10:11] op_sel_hi:[1,0,1]
	v_mov_b32_e32 v9, v4
	s_wait_kmcnt 0x0
	v_lshl_add_u64 v[6:7], v[6:7], 3, s[2:3]
	v_xor_b32_e32 v8, 0x80000000, v5
	global_load_b128 v[14:17], v[6:7], off
	s_wait_loadcnt 0x0
	v_pk_fma_f32 v[0:1], v[4:5], v[14:15], v[0:1] op_sel_hi:[1,0,1]
	v_pk_fma_f32 v[2:3], v[4:5], v[16:17], v[2:3] op_sel_hi:[1,0,1]
	v_mov_b32_e32 v4, v17
	s_delay_alu instid0(VALU_DEP_3) | instskip(NEXT) | instid1(VALU_DEP_2)
	v_pk_fma_f32 v[0:1], v[8:9], v[14:15], v[0:1] op_sel:[0,1,0]
	v_pk_fma_f32 v[2:3], v[8:9], v[4:5], v[2:3] op_sel_hi:[1,0,1]
	global_store_b128 v[6:7], v[0:3], off
.LBB157_19:
	s_endpgm
	.section	.rodata,"a",@progbits
	.p2align	6, 0x0
	.amdhsa_kernel _ZN9rocsparseL19gebsrmvn_2xn_kernelILj128ELj3ELj4E21rocsparse_complex_numIfEEEvi20rocsparse_direction_NS_24const_host_device_scalarIT2_EEPKiS8_PKS5_SA_S6_PS5_21rocsparse_index_base_b
		.amdhsa_group_segment_fixed_size 0
		.amdhsa_private_segment_fixed_size 0
		.amdhsa_kernarg_size 72
		.amdhsa_user_sgpr_count 2
		.amdhsa_user_sgpr_dispatch_ptr 0
		.amdhsa_user_sgpr_queue_ptr 0
		.amdhsa_user_sgpr_kernarg_segment_ptr 1
		.amdhsa_user_sgpr_dispatch_id 0
		.amdhsa_user_sgpr_kernarg_preload_length 0
		.amdhsa_user_sgpr_kernarg_preload_offset 0
		.amdhsa_user_sgpr_private_segment_size 0
		.amdhsa_wavefront_size32 1
		.amdhsa_uses_dynamic_stack 0
		.amdhsa_enable_private_segment 0
		.amdhsa_system_sgpr_workgroup_id_x 1
		.amdhsa_system_sgpr_workgroup_id_y 0
		.amdhsa_system_sgpr_workgroup_id_z 0
		.amdhsa_system_sgpr_workgroup_info 0
		.amdhsa_system_vgpr_workitem_id 0
		.amdhsa_next_free_vgpr 36
		.amdhsa_next_free_sgpr 14
		.amdhsa_named_barrier_count 0
		.amdhsa_reserve_vcc 1
		.amdhsa_float_round_mode_32 0
		.amdhsa_float_round_mode_16_64 0
		.amdhsa_float_denorm_mode_32 3
		.amdhsa_float_denorm_mode_16_64 3
		.amdhsa_fp16_overflow 0
		.amdhsa_memory_ordered 1
		.amdhsa_forward_progress 1
		.amdhsa_inst_pref_size 14
		.amdhsa_round_robin_scheduling 0
		.amdhsa_exception_fp_ieee_invalid_op 0
		.amdhsa_exception_fp_denorm_src 0
		.amdhsa_exception_fp_ieee_div_zero 0
		.amdhsa_exception_fp_ieee_overflow 0
		.amdhsa_exception_fp_ieee_underflow 0
		.amdhsa_exception_fp_ieee_inexact 0
		.amdhsa_exception_int_div_zero 0
	.end_amdhsa_kernel
	.section	.text._ZN9rocsparseL19gebsrmvn_2xn_kernelILj128ELj3ELj4E21rocsparse_complex_numIfEEEvi20rocsparse_direction_NS_24const_host_device_scalarIT2_EEPKiS8_PKS5_SA_S6_PS5_21rocsparse_index_base_b,"axG",@progbits,_ZN9rocsparseL19gebsrmvn_2xn_kernelILj128ELj3ELj4E21rocsparse_complex_numIfEEEvi20rocsparse_direction_NS_24const_host_device_scalarIT2_EEPKiS8_PKS5_SA_S6_PS5_21rocsparse_index_base_b,comdat
.Lfunc_end157:
	.size	_ZN9rocsparseL19gebsrmvn_2xn_kernelILj128ELj3ELj4E21rocsparse_complex_numIfEEEvi20rocsparse_direction_NS_24const_host_device_scalarIT2_EEPKiS8_PKS5_SA_S6_PS5_21rocsparse_index_base_b, .Lfunc_end157-_ZN9rocsparseL19gebsrmvn_2xn_kernelILj128ELj3ELj4E21rocsparse_complex_numIfEEEvi20rocsparse_direction_NS_24const_host_device_scalarIT2_EEPKiS8_PKS5_SA_S6_PS5_21rocsparse_index_base_b
                                        ; -- End function
	.set _ZN9rocsparseL19gebsrmvn_2xn_kernelILj128ELj3ELj4E21rocsparse_complex_numIfEEEvi20rocsparse_direction_NS_24const_host_device_scalarIT2_EEPKiS8_PKS5_SA_S6_PS5_21rocsparse_index_base_b.num_vgpr, 36
	.set _ZN9rocsparseL19gebsrmvn_2xn_kernelILj128ELj3ELj4E21rocsparse_complex_numIfEEEvi20rocsparse_direction_NS_24const_host_device_scalarIT2_EEPKiS8_PKS5_SA_S6_PS5_21rocsparse_index_base_b.num_agpr, 0
	.set _ZN9rocsparseL19gebsrmvn_2xn_kernelILj128ELj3ELj4E21rocsparse_complex_numIfEEEvi20rocsparse_direction_NS_24const_host_device_scalarIT2_EEPKiS8_PKS5_SA_S6_PS5_21rocsparse_index_base_b.numbered_sgpr, 14
	.set _ZN9rocsparseL19gebsrmvn_2xn_kernelILj128ELj3ELj4E21rocsparse_complex_numIfEEEvi20rocsparse_direction_NS_24const_host_device_scalarIT2_EEPKiS8_PKS5_SA_S6_PS5_21rocsparse_index_base_b.num_named_barrier, 0
	.set _ZN9rocsparseL19gebsrmvn_2xn_kernelILj128ELj3ELj4E21rocsparse_complex_numIfEEEvi20rocsparse_direction_NS_24const_host_device_scalarIT2_EEPKiS8_PKS5_SA_S6_PS5_21rocsparse_index_base_b.private_seg_size, 0
	.set _ZN9rocsparseL19gebsrmvn_2xn_kernelILj128ELj3ELj4E21rocsparse_complex_numIfEEEvi20rocsparse_direction_NS_24const_host_device_scalarIT2_EEPKiS8_PKS5_SA_S6_PS5_21rocsparse_index_base_b.uses_vcc, 1
	.set _ZN9rocsparseL19gebsrmvn_2xn_kernelILj128ELj3ELj4E21rocsparse_complex_numIfEEEvi20rocsparse_direction_NS_24const_host_device_scalarIT2_EEPKiS8_PKS5_SA_S6_PS5_21rocsparse_index_base_b.uses_flat_scratch, 1
	.set _ZN9rocsparseL19gebsrmvn_2xn_kernelILj128ELj3ELj4E21rocsparse_complex_numIfEEEvi20rocsparse_direction_NS_24const_host_device_scalarIT2_EEPKiS8_PKS5_SA_S6_PS5_21rocsparse_index_base_b.has_dyn_sized_stack, 0
	.set _ZN9rocsparseL19gebsrmvn_2xn_kernelILj128ELj3ELj4E21rocsparse_complex_numIfEEEvi20rocsparse_direction_NS_24const_host_device_scalarIT2_EEPKiS8_PKS5_SA_S6_PS5_21rocsparse_index_base_b.has_recursion, 0
	.set _ZN9rocsparseL19gebsrmvn_2xn_kernelILj128ELj3ELj4E21rocsparse_complex_numIfEEEvi20rocsparse_direction_NS_24const_host_device_scalarIT2_EEPKiS8_PKS5_SA_S6_PS5_21rocsparse_index_base_b.has_indirect_call, 0
	.section	.AMDGPU.csdata,"",@progbits
; Kernel info:
; codeLenInByte = 1692
; TotalNumSgprs: 16
; NumVgprs: 36
; ScratchSize: 0
; MemoryBound: 0
; FloatMode: 240
; IeeeMode: 1
; LDSByteSize: 0 bytes/workgroup (compile time only)
; SGPRBlocks: 0
; VGPRBlocks: 2
; NumSGPRsForWavesPerEU: 16
; NumVGPRsForWavesPerEU: 36
; NamedBarCnt: 0
; Occupancy: 16
; WaveLimiterHint : 1
; COMPUTE_PGM_RSRC2:SCRATCH_EN: 0
; COMPUTE_PGM_RSRC2:USER_SGPR: 2
; COMPUTE_PGM_RSRC2:TRAP_HANDLER: 0
; COMPUTE_PGM_RSRC2:TGID_X_EN: 1
; COMPUTE_PGM_RSRC2:TGID_Y_EN: 0
; COMPUTE_PGM_RSRC2:TGID_Z_EN: 0
; COMPUTE_PGM_RSRC2:TIDIG_COMP_CNT: 0
	.section	.text._ZN9rocsparseL19gebsrmvn_2xn_kernelILj128ELj3ELj8E21rocsparse_complex_numIfEEEvi20rocsparse_direction_NS_24const_host_device_scalarIT2_EEPKiS8_PKS5_SA_S6_PS5_21rocsparse_index_base_b,"axG",@progbits,_ZN9rocsparseL19gebsrmvn_2xn_kernelILj128ELj3ELj8E21rocsparse_complex_numIfEEEvi20rocsparse_direction_NS_24const_host_device_scalarIT2_EEPKiS8_PKS5_SA_S6_PS5_21rocsparse_index_base_b,comdat
	.globl	_ZN9rocsparseL19gebsrmvn_2xn_kernelILj128ELj3ELj8E21rocsparse_complex_numIfEEEvi20rocsparse_direction_NS_24const_host_device_scalarIT2_EEPKiS8_PKS5_SA_S6_PS5_21rocsparse_index_base_b ; -- Begin function _ZN9rocsparseL19gebsrmvn_2xn_kernelILj128ELj3ELj8E21rocsparse_complex_numIfEEEvi20rocsparse_direction_NS_24const_host_device_scalarIT2_EEPKiS8_PKS5_SA_S6_PS5_21rocsparse_index_base_b
	.p2align	8
	.type	_ZN9rocsparseL19gebsrmvn_2xn_kernelILj128ELj3ELj8E21rocsparse_complex_numIfEEEvi20rocsparse_direction_NS_24const_host_device_scalarIT2_EEPKiS8_PKS5_SA_S6_PS5_21rocsparse_index_base_b,@function
_ZN9rocsparseL19gebsrmvn_2xn_kernelILj128ELj3ELj8E21rocsparse_complex_numIfEEEvi20rocsparse_direction_NS_24const_host_device_scalarIT2_EEPKiS8_PKS5_SA_S6_PS5_21rocsparse_index_base_b: ; @_ZN9rocsparseL19gebsrmvn_2xn_kernelILj128ELj3ELj8E21rocsparse_complex_numIfEEEvi20rocsparse_direction_NS_24const_host_device_scalarIT2_EEPKiS8_PKS5_SA_S6_PS5_21rocsparse_index_base_b
; %bb.0:
	s_clause 0x2
	s_load_b64 s[12:13], s[0:1], 0x40
	s_load_b64 s[2:3], s[0:1], 0x8
	;; [unrolled: 1-line block ×3, first 2 shown]
	v_mov_b32_e32 v1, 0
	s_add_nc_u64 s[6:7], s[0:1], 8
	s_add_nc_u64 s[8:9], s[0:1], 48
	s_wait_kmcnt 0x0
	s_bitcmp1_b32 s13, 0
	s_cselect_b32 s3, s7, s3
	s_cselect_b32 s2, s6, s2
	;; [unrolled: 1-line block ×4, first 2 shown]
	s_clause 0x1
	flat_load_b64 v[2:3], v1, s[2:3]
	flat_load_b64 v[4:5], v1, s[4:5]
	s_wait_loadcnt_dscnt 0x101
	v_cmp_eq_f32_e32 vcc_lo, 0, v2
	v_cmp_eq_f32_e64 s2, 0, v3
	s_wait_loadcnt_dscnt 0x0
	v_cmp_eq_f32_e64 s3, 1.0, v4
	v_cmp_eq_f32_e64 s4, 0, v5
	s_and_b32 s2, vcc_lo, s2
	s_and_b32 s3, s3, s4
	s_delay_alu instid0(SALU_CYCLE_1) | instskip(NEXT) | instid1(SALU_CYCLE_1)
	s_and_b32 s2, s2, s3
	s_xor_b32 s2, s2, -1
	s_delay_alu instid0(SALU_CYCLE_1)
	s_and_saveexec_b32 s3, s2
	s_cbranch_execz .LBB158_19
; %bb.1:
	s_load_b64 s[2:3], s[0:1], 0x0
	s_bfe_u32 s4, ttmp6, 0x4000c
	s_and_b32 s5, ttmp6, 15
	s_add_co_i32 s4, s4, 1
	s_getreg_b32 s6, hwreg(HW_REG_IB_STS2, 6, 4)
	s_mul_i32 s4, ttmp9, s4
	v_lshrrev_b32_e32 v1, 3, v0
	s_add_co_i32 s5, s5, s4
	s_cmp_eq_u32 s6, 0
	s_cselect_b32 s4, ttmp9, s5
	s_delay_alu instid0(VALU_DEP_1) | instid1(SALU_CYCLE_1)
	v_lshl_or_b32 v6, s4, 4, v1
	s_wait_kmcnt 0x0
	s_delay_alu instid0(VALU_DEP_1)
	v_cmp_gt_i32_e32 vcc_lo, s2, v6
	s_and_b32 exec_lo, exec_lo, vcc_lo
	s_cbranch_execz .LBB158_19
; %bb.2:
	s_load_b256 s[4:11], s[0:1], 0x10
	v_ashrrev_i32_e32 v7, 31, v6
	s_cmp_lg_u32 s3, 0
	s_wait_kmcnt 0x0
	s_delay_alu instid0(VALU_DEP_1)
	v_lshl_add_u64 v[8:9], v[6:7], 2, s[4:5]
	v_and_b32_e32 v7, 7, v0
	global_load_b64 v[8:9], v[8:9], off
	s_wait_loadcnt 0x0
	v_subrev_nc_u32_e32 v0, s12, v8
	v_subrev_nc_u32_e32 v12, s12, v9
	s_delay_alu instid0(VALU_DEP_2) | instskip(NEXT) | instid1(VALU_DEP_1)
	v_add_nc_u32_e32 v13, v0, v7
	v_cmp_lt_i32_e64 s2, v13, v12
	s_cbranch_scc0 .LBB158_8
; %bb.3:
	v_mov_b32_e32 v1, 0
	s_delay_alu instid0(VALU_DEP_1)
	v_dual_mov_b32 v0, v1 :: v_dual_mov_b32 v9, v1
	v_mov_b32_e32 v8, v1
	s_and_saveexec_b32 s3, s2
	s_cbranch_execz .LBB158_7
; %bb.4:
	v_mul_lo_u32 v10, v13, 6
	v_dual_mov_b32 v11, 0 :: v_dual_mov_b32 v14, v13
	s_mov_b32 s4, 0
	s_delay_alu instid0(VALU_DEP_1)
	v_dual_mov_b32 v8, v11 :: v_dual_mov_b32 v9, v11
	v_dual_mov_b32 v0, v11 :: v_dual_mov_b32 v1, v11
.LBB158_5:                              ; =>This Inner Loop Header: Depth=1
	global_load_b32 v15, v14, s[6:7] scale_offset
	v_lshl_add_u64 v[20:21], v[10:11], 3, s[8:9]
	v_dual_mov_b32 v23, v11 :: v_dual_add_nc_u32 v22, 2, v10
	s_delay_alu instid0(VALU_DEP_1) | instskip(SKIP_2) | instid1(VALU_DEP_1)
	v_lshl_add_u64 v[26:27], v[22:23], 3, s[8:9]
	s_wait_loadcnt 0x0
	v_subrev_nc_u32_e32 v15, s12, v15
	v_lshl_add_u32 v15, v15, 1, v15
	v_dual_mov_b32 v25, v11 :: v_dual_add_nc_u32 v24, 4, v10
	v_add_nc_u32_e32 v10, 48, v10
	global_load_b128 v[16:19], v[20:21], off
	global_load_b64 v[28:29], v15, s[10:11] scale_offset
	s_wait_xcnt 0x0
	v_dual_add_nc_u32 v32, 1, v15 :: v_dual_add_nc_u32 v15, 2, v15
	global_load_b128 v[20:23], v[26:27], off
	global_load_b64 v[30:31], v32, s[10:11] scale_offset
	s_wait_xcnt 0x0
	v_lshl_add_u64 v[32:33], v[24:25], 3, s[8:9]
	global_load_b128 v[24:27], v[32:33], off
	global_load_b64 v[34:35], v15, s[10:11] scale_offset
	v_add_nc_u32_e32 v14, 8, v14
	s_wait_loadcnt 0x5
	s_wait_xcnt 0x1
	v_xor_b32_e32 v32, 0x80000000, v19
	v_mov_b32_e32 v33, v18
	s_wait_loadcnt 0x4
	v_pk_fma_f32 v[0:1], v[16:17], v[28:29], v[0:1] op_sel_hi:[1,0,1]
	v_pk_fma_f32 v[8:9], v[18:19], v[28:29], v[8:9] op_sel_hi:[1,0,1]
	s_delay_alu instid0(VALU_DEP_2) | instskip(SKIP_2) | instid1(VALU_DEP_3)
	v_pk_fma_f32 v[0:1], v[16:17], v[28:29], v[0:1] op_sel:[1,1,0] op_sel_hi:[0,1,1] neg_lo:[1,0,0]
	s_wait_loadcnt 0x3
	v_mov_b32_e32 v17, v22
	v_pk_fma_f32 v[8:9], v[32:33], v[28:29], v[8:9] op_sel:[0,1,0]
	v_xor_b32_e32 v16, 0x80000000, v23
	s_wait_loadcnt 0x2
	v_pk_fma_f32 v[0:1], v[20:21], v[30:31], v[0:1] op_sel_hi:[1,0,1]
	s_delay_alu instid0(VALU_DEP_3) | instskip(NEXT) | instid1(VALU_DEP_2)
	v_pk_fma_f32 v[8:9], v[22:23], v[30:31], v[8:9] op_sel_hi:[1,0,1]
	v_pk_fma_f32 v[0:1], v[20:21], v[30:31], v[0:1] op_sel:[1,1,0] op_sel_hi:[0,1,1] neg_lo:[1,0,0]
	s_delay_alu instid0(VALU_DEP_2)
	v_pk_fma_f32 v[8:9], v[16:17], v[30:31], v[8:9] op_sel:[0,1,0]
	s_wait_loadcnt 0x1
	v_xor_b32_e32 v16, 0x80000000, v27
	v_mov_b32_e32 v17, v26
	s_wait_loadcnt 0x0
	v_pk_fma_f32 v[0:1], v[24:25], v[34:35], v[0:1] op_sel_hi:[1,0,1]
	v_cmp_ge_i32_e32 vcc_lo, v14, v12
	v_pk_fma_f32 v[8:9], v[26:27], v[34:35], v[8:9] op_sel_hi:[1,0,1]
	s_delay_alu instid0(VALU_DEP_3) | instskip(SKIP_1) | instid1(VALU_DEP_2)
	v_pk_fma_f32 v[0:1], v[24:25], v[34:35], v[0:1] op_sel:[1,1,0] op_sel_hi:[0,1,1] neg_lo:[1,0,0]
	s_or_b32 s4, vcc_lo, s4
	v_pk_fma_f32 v[8:9], v[16:17], v[34:35], v[8:9] op_sel:[0,1,0]
	s_and_not1_b32 exec_lo, exec_lo, s4
	s_cbranch_execnz .LBB158_5
; %bb.6:
	s_or_b32 exec_lo, exec_lo, s4
.LBB158_7:
	s_delay_alu instid0(SALU_CYCLE_1)
	s_or_b32 exec_lo, exec_lo, s3
	s_cbranch_execz .LBB158_9
	s_branch .LBB158_14
.LBB158_8:
                                        ; implicit-def: $vgpr1
                                        ; implicit-def: $vgpr9
.LBB158_9:
	v_mov_b32_e32 v1, 0
	s_delay_alu instid0(VALU_DEP_1)
	v_dual_mov_b32 v0, v1 :: v_dual_mov_b32 v9, v1
	v_mov_b32_e32 v8, v1
	s_and_saveexec_b32 s3, s2
	s_cbranch_execz .LBB158_13
; %bb.10:
	v_mad_u32 v14, v13, 6, 5
	v_mov_b32_e32 v11, 0
	s_mov_b32 s2, 0
	s_delay_alu instid0(VALU_DEP_1)
	v_dual_mov_b32 v8, v11 :: v_dual_mov_b32 v9, v11
	v_dual_mov_b32 v0, v11 :: v_dual_mov_b32 v1, v11
.LBB158_11:                             ; =>This Inner Loop Header: Depth=1
	global_load_b32 v15, v13, s[6:7] scale_offset
	v_dual_add_nc_u32 v10, -5, v14 :: v_dual_add_nc_u32 v26, -2, v14
	s_wait_xcnt 0x0
	v_dual_add_nc_u32 v30, -1, v14 :: v_dual_add_nc_u32 v13, 8, v13
	s_delay_alu instid0(VALU_DEP_2) | instskip(NEXT) | instid1(VALU_DEP_2)
	v_lshl_add_u64 v[20:21], v[10:11], 3, s[8:9]
	v_cmp_ge_i32_e32 vcc_lo, v13, v12
	s_or_b32 s2, vcc_lo, s2
	s_wait_loadcnt 0x0
	v_subrev_nc_u32_e32 v15, s12, v15
	s_delay_alu instid0(VALU_DEP_1)
	v_lshl_add_u32 v10, v15, 1, v15
	s_clause 0x1
	global_load_b128 v[16:19], v[20:21], off
	global_load_b64 v[22:23], v26, s[8:9] scale_offset
	global_load_b64 v[24:25], v10, s[10:11] scale_offset
	v_add_nc_u32_e32 v15, -3, v14
	s_wait_xcnt 0x0
	v_dual_add_nc_u32 v31, 1, v10 :: v_dual_add_nc_u32 v10, 2, v10
	s_clause 0x1
	global_load_b64 v[20:21], v15, s[8:9] scale_offset
	global_load_b64 v[26:27], v30, s[8:9] scale_offset
	;; [unrolled: 1-line block ×5, first 2 shown]
	s_wait_xcnt 0x1
	v_add_nc_u32_e32 v14, 48, v14
	s_wait_loadcnt 0x5
	v_pk_fma_f32 v[0:1], v[16:17], v[24:25], v[0:1] op_sel_hi:[1,0,1]
	v_pk_fma_f32 v[8:9], v[22:23], v[24:25], v[8:9] op_sel_hi:[1,0,1]
	s_delay_alu instid0(VALU_DEP_2) | instskip(NEXT) | instid1(VALU_DEP_2)
	v_pk_fma_f32 v[0:1], v[16:17], v[24:25], v[0:1] op_sel:[1,1,0] op_sel_hi:[0,1,1] neg_lo:[1,0,0]
	v_pk_fma_f32 v[8:9], v[22:23], v[24:25], v[8:9] op_sel:[1,1,0] op_sel_hi:[0,1,1] neg_lo:[1,0,0]
	v_xor_b32_e32 v16, 0x80000000, v19
	v_mov_b32_e32 v17, v18
	s_wait_loadcnt 0x2
	v_pk_fma_f32 v[0:1], v[18:19], v[28:29], v[0:1] op_sel_hi:[1,0,1]
	v_pk_fma_f32 v[8:9], v[26:27], v[28:29], v[8:9] op_sel_hi:[1,0,1]
	s_delay_alu instid0(VALU_DEP_2) | instskip(NEXT) | instid1(VALU_DEP_2)
	v_pk_fma_f32 v[0:1], v[16:17], v[28:29], v[0:1] op_sel:[0,1,0]
	v_pk_fma_f32 v[8:9], v[26:27], v[28:29], v[8:9] op_sel:[1,1,0] op_sel_hi:[0,1,1] neg_lo:[1,0,0]
	s_wait_loadcnt 0x0
	s_delay_alu instid0(VALU_DEP_2) | instskip(NEXT) | instid1(VALU_DEP_2)
	v_pk_fma_f32 v[0:1], v[20:21], v[32:33], v[0:1] op_sel_hi:[1,0,1]
	v_pk_fma_f32 v[8:9], v[30:31], v[32:33], v[8:9] op_sel_hi:[1,0,1]
	s_delay_alu instid0(VALU_DEP_2) | instskip(NEXT) | instid1(VALU_DEP_2)
	v_pk_fma_f32 v[0:1], v[20:21], v[32:33], v[0:1] op_sel:[1,1,0] op_sel_hi:[0,1,1] neg_lo:[1,0,0]
	v_pk_fma_f32 v[8:9], v[30:31], v[32:33], v[8:9] op_sel:[1,1,0] op_sel_hi:[0,1,1] neg_lo:[1,0,0]
	s_and_not1_b32 exec_lo, exec_lo, s2
	s_cbranch_execnz .LBB158_11
; %bb.12:
	s_or_b32 exec_lo, exec_lo, s2
.LBB158_13:
	s_delay_alu instid0(SALU_CYCLE_1)
	s_or_b32 exec_lo, exec_lo, s3
.LBB158_14:
	v_mbcnt_lo_u32_b32 v10, -1, 0
	s_delay_alu instid0(VALU_DEP_1) | instskip(SKIP_1) | instid1(VALU_DEP_1)
	v_xor_b32_e32 v15, 2, v10
	v_xor_b32_e32 v11, 4, v10
	v_cmp_gt_i32_e32 vcc_lo, 32, v11
	v_cndmask_b32_e32 v11, v10, v11, vcc_lo
	s_delay_alu instid0(VALU_DEP_1)
	v_lshlrev_b32_e32 v11, 2, v11
	ds_bpermute_b32 v13, v11, v1
	s_wait_dscnt 0x0
	v_add_f32_e32 v1, v1, v13
	ds_bpermute_b32 v12, v11, v0
	ds_bpermute_b32 v14, v11, v8
	;; [unrolled: 1-line block ×3, first 2 shown]
	s_wait_dscnt 0x2
	v_add_f32_e32 v0, v0, v12
	s_wait_dscnt 0x0
	v_dual_add_f32 v12, v8, v14 :: v_dual_add_f32 v9, v9, v11
	v_cmp_gt_i32_e32 vcc_lo, 32, v15
	v_cndmask_b32_e32 v15, v10, v15, vcc_lo
	s_delay_alu instid0(VALU_DEP_1)
	v_lshlrev_b32_e32 v15, 2, v15
	ds_bpermute_b32 v8, v15, v0
	ds_bpermute_b32 v11, v15, v1
	ds_bpermute_b32 v13, v15, v12
	ds_bpermute_b32 v14, v15, v9
	s_wait_dscnt 0x3
	v_dual_add_f32 v0, v0, v8 :: v_dual_bitop2_b32 v15, 1, v10 bitop3:0x14
	s_delay_alu instid0(VALU_DEP_1)
	v_cmp_gt_i32_e32 vcc_lo, 32, v15
	s_wait_dscnt 0x1
	v_dual_add_f32 v8, v1, v11 :: v_dual_add_f32 v1, v12, v13
	s_wait_dscnt 0x0
	v_dual_add_f32 v9, v9, v14 :: v_dual_cndmask_b32 v10, v10, v15
	v_cmp_eq_u32_e32 vcc_lo, 7, v7
	s_delay_alu instid0(VALU_DEP_2)
	v_lshlrev_b32_e32 v15, 2, v10
	ds_bpermute_b32 v12, v15, v0
	ds_bpermute_b32 v13, v15, v8
	;; [unrolled: 1-line block ×4, first 2 shown]
	s_and_b32 exec_lo, exec_lo, vcc_lo
	s_cbranch_execz .LBB158_19
; %bb.15:
	s_load_b64 s[2:3], s[0:1], 0x38
	v_cmp_eq_f32_e32 vcc_lo, 0, v4
	s_wait_xcnt 0x0
	v_cmp_eq_f32_e64 s0, 0, v5
	s_wait_dscnt 0x3
	v_add_f32_e32 v0, v0, v12
	s_wait_dscnt 0x1
	v_dual_add_f32 v12, v8, v13 :: v_dual_add_f32 v8, v1, v10
	s_wait_dscnt 0x0
	v_add_f32_e32 v10, v9, v11
	s_and_b32 s0, vcc_lo, s0
	s_delay_alu instid0(SALU_CYCLE_1) | instskip(NEXT) | instid1(SALU_CYCLE_1)
	s_and_saveexec_b32 s1, s0
	s_xor_b32 s0, exec_lo, s1
	s_cbranch_execz .LBB158_17
; %bb.16:
	v_xor_b32_e32 v4, 0x80000000, v3
	v_dual_mov_b32 v5, v2 :: v_dual_lshlrev_b32 v6, 1, v6
	s_delay_alu instid0(VALU_DEP_1) | instskip(NEXT) | instid1(VALU_DEP_2)
	v_ashrrev_i32_e32 v7, 31, v6
	v_pk_mul_f32 v[12:13], v[12:13], v[4:5] op_sel_hi:[0,1]
	v_pk_mul_f32 v[4:5], v[10:11], v[4:5] op_sel_hi:[0,1]
                                        ; implicit-def: $vgpr10
	s_wait_kmcnt 0x0
	s_delay_alu instid0(VALU_DEP_3) | instskip(NEXT) | instid1(VALU_DEP_3)
	v_lshl_add_u64 v[6:7], v[6:7], 3, s[2:3]
	v_pk_fma_f32 v[0:1], v[2:3], v[0:1], v[12:13] op_sel_hi:[1,0,1]
	s_delay_alu instid0(VALU_DEP_3)
	v_pk_fma_f32 v[2:3], v[2:3], v[8:9], v[4:5] op_sel_hi:[1,0,1]
                                        ; implicit-def: $vgpr4_vgpr5
                                        ; implicit-def: $vgpr12
                                        ; implicit-def: $vgpr8
	global_store_b128 v[6:7], v[0:3], off
                                        ; implicit-def: $vgpr6
                                        ; implicit-def: $vgpr2_vgpr3
                                        ; implicit-def: $vgpr0
.LBB158_17:
	s_wait_xcnt 0x0
	s_and_not1_saveexec_b32 s0, s0
	s_cbranch_execz .LBB158_19
; %bb.18:
	v_dual_mov_b32 v19, v2 :: v_dual_lshlrev_b32 v6, 1, v6
	v_xor_b32_e32 v18, 0x80000000, v3
	s_delay_alu instid0(VALU_DEP_2) | instskip(NEXT) | instid1(VALU_DEP_2)
	v_ashrrev_i32_e32 v7, 31, v6
	v_pk_mul_f32 v[12:13], v[12:13], v[18:19] op_sel_hi:[0,1]
	v_pk_mul_f32 v[10:11], v[10:11], v[18:19] op_sel_hi:[0,1]
	s_delay_alu instid0(VALU_DEP_2) | instskip(NEXT) | instid1(VALU_DEP_2)
	v_pk_fma_f32 v[0:1], v[2:3], v[0:1], v[12:13] op_sel_hi:[1,0,1]
	v_pk_fma_f32 v[2:3], v[2:3], v[8:9], v[10:11] op_sel_hi:[1,0,1]
	v_mov_b32_e32 v9, v4
	s_wait_kmcnt 0x0
	v_lshl_add_u64 v[6:7], v[6:7], 3, s[2:3]
	v_xor_b32_e32 v8, 0x80000000, v5
	global_load_b128 v[14:17], v[6:7], off
	s_wait_loadcnt 0x0
	v_pk_fma_f32 v[0:1], v[4:5], v[14:15], v[0:1] op_sel_hi:[1,0,1]
	v_pk_fma_f32 v[2:3], v[4:5], v[16:17], v[2:3] op_sel_hi:[1,0,1]
	v_mov_b32_e32 v4, v17
	s_delay_alu instid0(VALU_DEP_3) | instskip(NEXT) | instid1(VALU_DEP_2)
	v_pk_fma_f32 v[0:1], v[8:9], v[14:15], v[0:1] op_sel:[0,1,0]
	v_pk_fma_f32 v[2:3], v[8:9], v[4:5], v[2:3] op_sel_hi:[1,0,1]
	global_store_b128 v[6:7], v[0:3], off
.LBB158_19:
	s_endpgm
	.section	.rodata,"a",@progbits
	.p2align	6, 0x0
	.amdhsa_kernel _ZN9rocsparseL19gebsrmvn_2xn_kernelILj128ELj3ELj8E21rocsparse_complex_numIfEEEvi20rocsparse_direction_NS_24const_host_device_scalarIT2_EEPKiS8_PKS5_SA_S6_PS5_21rocsparse_index_base_b
		.amdhsa_group_segment_fixed_size 0
		.amdhsa_private_segment_fixed_size 0
		.amdhsa_kernarg_size 72
		.amdhsa_user_sgpr_count 2
		.amdhsa_user_sgpr_dispatch_ptr 0
		.amdhsa_user_sgpr_queue_ptr 0
		.amdhsa_user_sgpr_kernarg_segment_ptr 1
		.amdhsa_user_sgpr_dispatch_id 0
		.amdhsa_user_sgpr_kernarg_preload_length 0
		.amdhsa_user_sgpr_kernarg_preload_offset 0
		.amdhsa_user_sgpr_private_segment_size 0
		.amdhsa_wavefront_size32 1
		.amdhsa_uses_dynamic_stack 0
		.amdhsa_enable_private_segment 0
		.amdhsa_system_sgpr_workgroup_id_x 1
		.amdhsa_system_sgpr_workgroup_id_y 0
		.amdhsa_system_sgpr_workgroup_id_z 0
		.amdhsa_system_sgpr_workgroup_info 0
		.amdhsa_system_vgpr_workitem_id 0
		.amdhsa_next_free_vgpr 36
		.amdhsa_next_free_sgpr 14
		.amdhsa_named_barrier_count 0
		.amdhsa_reserve_vcc 1
		.amdhsa_float_round_mode_32 0
		.amdhsa_float_round_mode_16_64 0
		.amdhsa_float_denorm_mode_32 3
		.amdhsa_float_denorm_mode_16_64 3
		.amdhsa_fp16_overflow 0
		.amdhsa_memory_ordered 1
		.amdhsa_forward_progress 1
		.amdhsa_inst_pref_size 14
		.amdhsa_round_robin_scheduling 0
		.amdhsa_exception_fp_ieee_invalid_op 0
		.amdhsa_exception_fp_denorm_src 0
		.amdhsa_exception_fp_ieee_div_zero 0
		.amdhsa_exception_fp_ieee_overflow 0
		.amdhsa_exception_fp_ieee_underflow 0
		.amdhsa_exception_fp_ieee_inexact 0
		.amdhsa_exception_int_div_zero 0
	.end_amdhsa_kernel
	.section	.text._ZN9rocsparseL19gebsrmvn_2xn_kernelILj128ELj3ELj8E21rocsparse_complex_numIfEEEvi20rocsparse_direction_NS_24const_host_device_scalarIT2_EEPKiS8_PKS5_SA_S6_PS5_21rocsparse_index_base_b,"axG",@progbits,_ZN9rocsparseL19gebsrmvn_2xn_kernelILj128ELj3ELj8E21rocsparse_complex_numIfEEEvi20rocsparse_direction_NS_24const_host_device_scalarIT2_EEPKiS8_PKS5_SA_S6_PS5_21rocsparse_index_base_b,comdat
.Lfunc_end158:
	.size	_ZN9rocsparseL19gebsrmvn_2xn_kernelILj128ELj3ELj8E21rocsparse_complex_numIfEEEvi20rocsparse_direction_NS_24const_host_device_scalarIT2_EEPKiS8_PKS5_SA_S6_PS5_21rocsparse_index_base_b, .Lfunc_end158-_ZN9rocsparseL19gebsrmvn_2xn_kernelILj128ELj3ELj8E21rocsparse_complex_numIfEEEvi20rocsparse_direction_NS_24const_host_device_scalarIT2_EEPKiS8_PKS5_SA_S6_PS5_21rocsparse_index_base_b
                                        ; -- End function
	.set _ZN9rocsparseL19gebsrmvn_2xn_kernelILj128ELj3ELj8E21rocsparse_complex_numIfEEEvi20rocsparse_direction_NS_24const_host_device_scalarIT2_EEPKiS8_PKS5_SA_S6_PS5_21rocsparse_index_base_b.num_vgpr, 36
	.set _ZN9rocsparseL19gebsrmvn_2xn_kernelILj128ELj3ELj8E21rocsparse_complex_numIfEEEvi20rocsparse_direction_NS_24const_host_device_scalarIT2_EEPKiS8_PKS5_SA_S6_PS5_21rocsparse_index_base_b.num_agpr, 0
	.set _ZN9rocsparseL19gebsrmvn_2xn_kernelILj128ELj3ELj8E21rocsparse_complex_numIfEEEvi20rocsparse_direction_NS_24const_host_device_scalarIT2_EEPKiS8_PKS5_SA_S6_PS5_21rocsparse_index_base_b.numbered_sgpr, 14
	.set _ZN9rocsparseL19gebsrmvn_2xn_kernelILj128ELj3ELj8E21rocsparse_complex_numIfEEEvi20rocsparse_direction_NS_24const_host_device_scalarIT2_EEPKiS8_PKS5_SA_S6_PS5_21rocsparse_index_base_b.num_named_barrier, 0
	.set _ZN9rocsparseL19gebsrmvn_2xn_kernelILj128ELj3ELj8E21rocsparse_complex_numIfEEEvi20rocsparse_direction_NS_24const_host_device_scalarIT2_EEPKiS8_PKS5_SA_S6_PS5_21rocsparse_index_base_b.private_seg_size, 0
	.set _ZN9rocsparseL19gebsrmvn_2xn_kernelILj128ELj3ELj8E21rocsparse_complex_numIfEEEvi20rocsparse_direction_NS_24const_host_device_scalarIT2_EEPKiS8_PKS5_SA_S6_PS5_21rocsparse_index_base_b.uses_vcc, 1
	.set _ZN9rocsparseL19gebsrmvn_2xn_kernelILj128ELj3ELj8E21rocsparse_complex_numIfEEEvi20rocsparse_direction_NS_24const_host_device_scalarIT2_EEPKiS8_PKS5_SA_S6_PS5_21rocsparse_index_base_b.uses_flat_scratch, 1
	.set _ZN9rocsparseL19gebsrmvn_2xn_kernelILj128ELj3ELj8E21rocsparse_complex_numIfEEEvi20rocsparse_direction_NS_24const_host_device_scalarIT2_EEPKiS8_PKS5_SA_S6_PS5_21rocsparse_index_base_b.has_dyn_sized_stack, 0
	.set _ZN9rocsparseL19gebsrmvn_2xn_kernelILj128ELj3ELj8E21rocsparse_complex_numIfEEEvi20rocsparse_direction_NS_24const_host_device_scalarIT2_EEPKiS8_PKS5_SA_S6_PS5_21rocsparse_index_base_b.has_recursion, 0
	.set _ZN9rocsparseL19gebsrmvn_2xn_kernelILj128ELj3ELj8E21rocsparse_complex_numIfEEEvi20rocsparse_direction_NS_24const_host_device_scalarIT2_EEPKiS8_PKS5_SA_S6_PS5_21rocsparse_index_base_b.has_indirect_call, 0
	.section	.AMDGPU.csdata,"",@progbits
; Kernel info:
; codeLenInByte = 1780
; TotalNumSgprs: 16
; NumVgprs: 36
; ScratchSize: 0
; MemoryBound: 0
; FloatMode: 240
; IeeeMode: 1
; LDSByteSize: 0 bytes/workgroup (compile time only)
; SGPRBlocks: 0
; VGPRBlocks: 2
; NumSGPRsForWavesPerEU: 16
; NumVGPRsForWavesPerEU: 36
; NamedBarCnt: 0
; Occupancy: 16
; WaveLimiterHint : 1
; COMPUTE_PGM_RSRC2:SCRATCH_EN: 0
; COMPUTE_PGM_RSRC2:USER_SGPR: 2
; COMPUTE_PGM_RSRC2:TRAP_HANDLER: 0
; COMPUTE_PGM_RSRC2:TGID_X_EN: 1
; COMPUTE_PGM_RSRC2:TGID_Y_EN: 0
; COMPUTE_PGM_RSRC2:TGID_Z_EN: 0
; COMPUTE_PGM_RSRC2:TIDIG_COMP_CNT: 0
	.section	.text._ZN9rocsparseL19gebsrmvn_2xn_kernelILj128ELj3ELj16E21rocsparse_complex_numIfEEEvi20rocsparse_direction_NS_24const_host_device_scalarIT2_EEPKiS8_PKS5_SA_S6_PS5_21rocsparse_index_base_b,"axG",@progbits,_ZN9rocsparseL19gebsrmvn_2xn_kernelILj128ELj3ELj16E21rocsparse_complex_numIfEEEvi20rocsparse_direction_NS_24const_host_device_scalarIT2_EEPKiS8_PKS5_SA_S6_PS5_21rocsparse_index_base_b,comdat
	.globl	_ZN9rocsparseL19gebsrmvn_2xn_kernelILj128ELj3ELj16E21rocsparse_complex_numIfEEEvi20rocsparse_direction_NS_24const_host_device_scalarIT2_EEPKiS8_PKS5_SA_S6_PS5_21rocsparse_index_base_b ; -- Begin function _ZN9rocsparseL19gebsrmvn_2xn_kernelILj128ELj3ELj16E21rocsparse_complex_numIfEEEvi20rocsparse_direction_NS_24const_host_device_scalarIT2_EEPKiS8_PKS5_SA_S6_PS5_21rocsparse_index_base_b
	.p2align	8
	.type	_ZN9rocsparseL19gebsrmvn_2xn_kernelILj128ELj3ELj16E21rocsparse_complex_numIfEEEvi20rocsparse_direction_NS_24const_host_device_scalarIT2_EEPKiS8_PKS5_SA_S6_PS5_21rocsparse_index_base_b,@function
_ZN9rocsparseL19gebsrmvn_2xn_kernelILj128ELj3ELj16E21rocsparse_complex_numIfEEEvi20rocsparse_direction_NS_24const_host_device_scalarIT2_EEPKiS8_PKS5_SA_S6_PS5_21rocsparse_index_base_b: ; @_ZN9rocsparseL19gebsrmvn_2xn_kernelILj128ELj3ELj16E21rocsparse_complex_numIfEEEvi20rocsparse_direction_NS_24const_host_device_scalarIT2_EEPKiS8_PKS5_SA_S6_PS5_21rocsparse_index_base_b
; %bb.0:
	s_clause 0x2
	s_load_b64 s[12:13], s[0:1], 0x40
	s_load_b64 s[2:3], s[0:1], 0x8
	s_load_b64 s[4:5], s[0:1], 0x30
	v_mov_b32_e32 v1, 0
	s_add_nc_u64 s[6:7], s[0:1], 8
	s_add_nc_u64 s[8:9], s[0:1], 48
	s_wait_kmcnt 0x0
	s_bitcmp1_b32 s13, 0
	s_cselect_b32 s3, s7, s3
	s_cselect_b32 s2, s6, s2
	s_cselect_b32 s5, s9, s5
	s_cselect_b32 s4, s8, s4
	s_clause 0x1
	flat_load_b64 v[2:3], v1, s[2:3]
	flat_load_b64 v[4:5], v1, s[4:5]
	s_wait_loadcnt_dscnt 0x101
	v_cmp_eq_f32_e32 vcc_lo, 0, v2
	v_cmp_eq_f32_e64 s2, 0, v3
	s_wait_loadcnt_dscnt 0x0
	v_cmp_eq_f32_e64 s3, 1.0, v4
	v_cmp_eq_f32_e64 s4, 0, v5
	s_and_b32 s2, vcc_lo, s2
	s_and_b32 s3, s3, s4
	s_delay_alu instid0(SALU_CYCLE_1) | instskip(NEXT) | instid1(SALU_CYCLE_1)
	s_and_b32 s2, s2, s3
	s_xor_b32 s2, s2, -1
	s_delay_alu instid0(SALU_CYCLE_1)
	s_and_saveexec_b32 s3, s2
	s_cbranch_execz .LBB159_19
; %bb.1:
	s_load_b64 s[2:3], s[0:1], 0x0
	s_bfe_u32 s4, ttmp6, 0x4000c
	s_and_b32 s5, ttmp6, 15
	s_add_co_i32 s4, s4, 1
	s_getreg_b32 s6, hwreg(HW_REG_IB_STS2, 6, 4)
	s_mul_i32 s4, ttmp9, s4
	v_lshrrev_b32_e32 v1, 4, v0
	s_add_co_i32 s5, s5, s4
	s_cmp_eq_u32 s6, 0
	s_cselect_b32 s4, ttmp9, s5
	s_delay_alu instid0(VALU_DEP_1) | instid1(SALU_CYCLE_1)
	v_lshl_or_b32 v6, s4, 3, v1
	s_wait_kmcnt 0x0
	s_delay_alu instid0(VALU_DEP_1)
	v_cmp_gt_i32_e32 vcc_lo, s2, v6
	s_and_b32 exec_lo, exec_lo, vcc_lo
	s_cbranch_execz .LBB159_19
; %bb.2:
	s_load_b256 s[4:11], s[0:1], 0x10
	v_ashrrev_i32_e32 v7, 31, v6
	s_cmp_lg_u32 s3, 0
	s_wait_kmcnt 0x0
	s_delay_alu instid0(VALU_DEP_1)
	v_lshl_add_u64 v[8:9], v[6:7], 2, s[4:5]
	v_and_b32_e32 v7, 15, v0
	global_load_b64 v[8:9], v[8:9], off
	s_wait_loadcnt 0x0
	v_subrev_nc_u32_e32 v0, s12, v8
	v_subrev_nc_u32_e32 v12, s12, v9
	s_delay_alu instid0(VALU_DEP_2) | instskip(NEXT) | instid1(VALU_DEP_1)
	v_add_nc_u32_e32 v13, v0, v7
	v_cmp_lt_i32_e64 s2, v13, v12
	s_cbranch_scc0 .LBB159_8
; %bb.3:
	v_mov_b32_e32 v1, 0
	s_delay_alu instid0(VALU_DEP_1)
	v_dual_mov_b32 v0, v1 :: v_dual_mov_b32 v9, v1
	v_mov_b32_e32 v8, v1
	s_and_saveexec_b32 s3, s2
	s_cbranch_execz .LBB159_7
; %bb.4:
	v_mul_lo_u32 v10, v13, 6
	v_dual_mov_b32 v11, 0 :: v_dual_mov_b32 v14, v13
	s_mov_b32 s4, 0
	s_delay_alu instid0(VALU_DEP_1)
	v_dual_mov_b32 v8, v11 :: v_dual_mov_b32 v9, v11
	v_dual_mov_b32 v0, v11 :: v_dual_mov_b32 v1, v11
.LBB159_5:                              ; =>This Inner Loop Header: Depth=1
	global_load_b32 v15, v14, s[6:7] scale_offset
	v_lshl_add_u64 v[20:21], v[10:11], 3, s[8:9]
	v_dual_mov_b32 v23, v11 :: v_dual_add_nc_u32 v22, 2, v10
	s_delay_alu instid0(VALU_DEP_1) | instskip(SKIP_2) | instid1(VALU_DEP_1)
	v_lshl_add_u64 v[26:27], v[22:23], 3, s[8:9]
	s_wait_loadcnt 0x0
	v_subrev_nc_u32_e32 v15, s12, v15
	v_lshl_add_u32 v15, v15, 1, v15
	v_dual_mov_b32 v25, v11 :: v_dual_add_nc_u32 v24, 4, v10
	v_add_nc_u32_e32 v10, 0x60, v10
	global_load_b128 v[16:19], v[20:21], off
	global_load_b64 v[28:29], v15, s[10:11] scale_offset
	s_wait_xcnt 0x0
	v_dual_add_nc_u32 v32, 1, v15 :: v_dual_add_nc_u32 v15, 2, v15
	global_load_b128 v[20:23], v[26:27], off
	global_load_b64 v[30:31], v32, s[10:11] scale_offset
	s_wait_xcnt 0x0
	v_lshl_add_u64 v[32:33], v[24:25], 3, s[8:9]
	global_load_b128 v[24:27], v[32:33], off
	global_load_b64 v[34:35], v15, s[10:11] scale_offset
	v_add_nc_u32_e32 v14, 16, v14
	s_wait_loadcnt 0x5
	s_wait_xcnt 0x1
	v_xor_b32_e32 v32, 0x80000000, v19
	v_mov_b32_e32 v33, v18
	s_wait_loadcnt 0x4
	v_pk_fma_f32 v[0:1], v[16:17], v[28:29], v[0:1] op_sel_hi:[1,0,1]
	v_pk_fma_f32 v[8:9], v[18:19], v[28:29], v[8:9] op_sel_hi:[1,0,1]
	s_delay_alu instid0(VALU_DEP_2) | instskip(SKIP_2) | instid1(VALU_DEP_3)
	v_pk_fma_f32 v[0:1], v[16:17], v[28:29], v[0:1] op_sel:[1,1,0] op_sel_hi:[0,1,1] neg_lo:[1,0,0]
	s_wait_loadcnt 0x3
	v_mov_b32_e32 v17, v22
	v_pk_fma_f32 v[8:9], v[32:33], v[28:29], v[8:9] op_sel:[0,1,0]
	v_xor_b32_e32 v16, 0x80000000, v23
	s_wait_loadcnt 0x2
	v_pk_fma_f32 v[0:1], v[20:21], v[30:31], v[0:1] op_sel_hi:[1,0,1]
	s_delay_alu instid0(VALU_DEP_3) | instskip(NEXT) | instid1(VALU_DEP_2)
	v_pk_fma_f32 v[8:9], v[22:23], v[30:31], v[8:9] op_sel_hi:[1,0,1]
	v_pk_fma_f32 v[0:1], v[20:21], v[30:31], v[0:1] op_sel:[1,1,0] op_sel_hi:[0,1,1] neg_lo:[1,0,0]
	s_delay_alu instid0(VALU_DEP_2)
	v_pk_fma_f32 v[8:9], v[16:17], v[30:31], v[8:9] op_sel:[0,1,0]
	s_wait_loadcnt 0x1
	v_xor_b32_e32 v16, 0x80000000, v27
	v_mov_b32_e32 v17, v26
	s_wait_loadcnt 0x0
	v_pk_fma_f32 v[0:1], v[24:25], v[34:35], v[0:1] op_sel_hi:[1,0,1]
	v_cmp_ge_i32_e32 vcc_lo, v14, v12
	v_pk_fma_f32 v[8:9], v[26:27], v[34:35], v[8:9] op_sel_hi:[1,0,1]
	s_delay_alu instid0(VALU_DEP_3) | instskip(SKIP_1) | instid1(VALU_DEP_2)
	v_pk_fma_f32 v[0:1], v[24:25], v[34:35], v[0:1] op_sel:[1,1,0] op_sel_hi:[0,1,1] neg_lo:[1,0,0]
	s_or_b32 s4, vcc_lo, s4
	v_pk_fma_f32 v[8:9], v[16:17], v[34:35], v[8:9] op_sel:[0,1,0]
	s_and_not1_b32 exec_lo, exec_lo, s4
	s_cbranch_execnz .LBB159_5
; %bb.6:
	s_or_b32 exec_lo, exec_lo, s4
.LBB159_7:
	s_delay_alu instid0(SALU_CYCLE_1)
	s_or_b32 exec_lo, exec_lo, s3
	s_cbranch_execz .LBB159_9
	s_branch .LBB159_14
.LBB159_8:
                                        ; implicit-def: $vgpr1
                                        ; implicit-def: $vgpr9
.LBB159_9:
	v_mov_b32_e32 v1, 0
	s_delay_alu instid0(VALU_DEP_1)
	v_dual_mov_b32 v0, v1 :: v_dual_mov_b32 v9, v1
	v_mov_b32_e32 v8, v1
	s_and_saveexec_b32 s3, s2
	s_cbranch_execz .LBB159_13
; %bb.10:
	v_mad_u32 v14, v13, 6, 5
	v_mov_b32_e32 v11, 0
	s_mov_b32 s2, 0
	s_delay_alu instid0(VALU_DEP_1)
	v_dual_mov_b32 v8, v11 :: v_dual_mov_b32 v9, v11
	v_dual_mov_b32 v0, v11 :: v_dual_mov_b32 v1, v11
.LBB159_11:                             ; =>This Inner Loop Header: Depth=1
	global_load_b32 v15, v13, s[6:7] scale_offset
	v_dual_add_nc_u32 v10, -5, v14 :: v_dual_add_nc_u32 v26, -2, v14
	s_wait_xcnt 0x0
	v_dual_add_nc_u32 v30, -1, v14 :: v_dual_add_nc_u32 v13, 16, v13
	s_delay_alu instid0(VALU_DEP_2) | instskip(NEXT) | instid1(VALU_DEP_2)
	v_lshl_add_u64 v[20:21], v[10:11], 3, s[8:9]
	v_cmp_ge_i32_e32 vcc_lo, v13, v12
	s_or_b32 s2, vcc_lo, s2
	s_wait_loadcnt 0x0
	v_subrev_nc_u32_e32 v15, s12, v15
	s_delay_alu instid0(VALU_DEP_1)
	v_lshl_add_u32 v10, v15, 1, v15
	s_clause 0x1
	global_load_b128 v[16:19], v[20:21], off
	global_load_b64 v[22:23], v26, s[8:9] scale_offset
	global_load_b64 v[24:25], v10, s[10:11] scale_offset
	v_add_nc_u32_e32 v15, -3, v14
	s_wait_xcnt 0x0
	v_dual_add_nc_u32 v31, 1, v10 :: v_dual_add_nc_u32 v10, 2, v10
	s_clause 0x1
	global_load_b64 v[20:21], v15, s[8:9] scale_offset
	global_load_b64 v[26:27], v30, s[8:9] scale_offset
	;; [unrolled: 1-line block ×5, first 2 shown]
	s_wait_xcnt 0x1
	v_add_nc_u32_e32 v14, 0x60, v14
	s_wait_loadcnt 0x5
	v_pk_fma_f32 v[0:1], v[16:17], v[24:25], v[0:1] op_sel_hi:[1,0,1]
	v_pk_fma_f32 v[8:9], v[22:23], v[24:25], v[8:9] op_sel_hi:[1,0,1]
	s_delay_alu instid0(VALU_DEP_2) | instskip(NEXT) | instid1(VALU_DEP_2)
	v_pk_fma_f32 v[0:1], v[16:17], v[24:25], v[0:1] op_sel:[1,1,0] op_sel_hi:[0,1,1] neg_lo:[1,0,0]
	v_pk_fma_f32 v[8:9], v[22:23], v[24:25], v[8:9] op_sel:[1,1,0] op_sel_hi:[0,1,1] neg_lo:[1,0,0]
	v_xor_b32_e32 v16, 0x80000000, v19
	v_mov_b32_e32 v17, v18
	s_wait_loadcnt 0x2
	v_pk_fma_f32 v[0:1], v[18:19], v[28:29], v[0:1] op_sel_hi:[1,0,1]
	v_pk_fma_f32 v[8:9], v[26:27], v[28:29], v[8:9] op_sel_hi:[1,0,1]
	s_delay_alu instid0(VALU_DEP_2) | instskip(NEXT) | instid1(VALU_DEP_2)
	v_pk_fma_f32 v[0:1], v[16:17], v[28:29], v[0:1] op_sel:[0,1,0]
	v_pk_fma_f32 v[8:9], v[26:27], v[28:29], v[8:9] op_sel:[1,1,0] op_sel_hi:[0,1,1] neg_lo:[1,0,0]
	s_wait_loadcnt 0x0
	s_delay_alu instid0(VALU_DEP_2) | instskip(NEXT) | instid1(VALU_DEP_2)
	v_pk_fma_f32 v[0:1], v[20:21], v[32:33], v[0:1] op_sel_hi:[1,0,1]
	v_pk_fma_f32 v[8:9], v[30:31], v[32:33], v[8:9] op_sel_hi:[1,0,1]
	s_delay_alu instid0(VALU_DEP_2) | instskip(NEXT) | instid1(VALU_DEP_2)
	v_pk_fma_f32 v[0:1], v[20:21], v[32:33], v[0:1] op_sel:[1,1,0] op_sel_hi:[0,1,1] neg_lo:[1,0,0]
	v_pk_fma_f32 v[8:9], v[30:31], v[32:33], v[8:9] op_sel:[1,1,0] op_sel_hi:[0,1,1] neg_lo:[1,0,0]
	s_and_not1_b32 exec_lo, exec_lo, s2
	s_cbranch_execnz .LBB159_11
; %bb.12:
	s_or_b32 exec_lo, exec_lo, s2
.LBB159_13:
	s_delay_alu instid0(SALU_CYCLE_1)
	s_or_b32 exec_lo, exec_lo, s3
.LBB159_14:
	v_mbcnt_lo_u32_b32 v10, -1, 0
	s_delay_alu instid0(VALU_DEP_1) | instskip(SKIP_1) | instid1(VALU_DEP_1)
	v_xor_b32_e32 v15, 4, v10
	v_xor_b32_e32 v11, 8, v10
	v_cmp_gt_i32_e32 vcc_lo, 32, v11
	v_cndmask_b32_e32 v11, v10, v11, vcc_lo
	s_delay_alu instid0(VALU_DEP_1)
	v_lshlrev_b32_e32 v11, 2, v11
	ds_bpermute_b32 v13, v11, v1
	s_wait_dscnt 0x0
	v_add_f32_e32 v1, v1, v13
	ds_bpermute_b32 v12, v11, v0
	ds_bpermute_b32 v14, v11, v8
	ds_bpermute_b32 v11, v11, v9
	s_wait_dscnt 0x2
	v_add_f32_e32 v0, v0, v12
	s_wait_dscnt 0x0
	v_dual_add_f32 v8, v8, v14 :: v_dual_add_f32 v9, v9, v11
	v_cmp_gt_i32_e32 vcc_lo, 32, v15
	v_cndmask_b32_e32 v15, v10, v15, vcc_lo
	s_delay_alu instid0(VALU_DEP_1)
	v_lshlrev_b32_e32 v15, 2, v15
	ds_bpermute_b32 v11, v15, v0
	ds_bpermute_b32 v12, v15, v1
	;; [unrolled: 1-line block ×4, first 2 shown]
	s_wait_dscnt 0x3
	v_dual_add_f32 v0, v0, v11 :: v_dual_bitop2_b32 v15, 2, v10 bitop3:0x14
	s_delay_alu instid0(VALU_DEP_1)
	v_cmp_gt_i32_e32 vcc_lo, 32, v15
	s_wait_dscnt 0x2
	v_add_f32_e32 v1, v1, v12
	s_wait_dscnt 0x0
	v_dual_add_f32 v9, v9, v14 :: v_dual_add_f32 v11, v8, v13
	v_cndmask_b32_e32 v15, v10, v15, vcc_lo
	s_delay_alu instid0(VALU_DEP_1)
	v_lshlrev_b32_e32 v15, 2, v15
	ds_bpermute_b32 v8, v15, v0
	ds_bpermute_b32 v12, v15, v1
	;; [unrolled: 1-line block ×4, first 2 shown]
	s_wait_dscnt 0x3
	v_dual_add_f32 v0, v0, v8 :: v_dual_bitop2_b32 v15, 1, v10 bitop3:0x14
	s_delay_alu instid0(VALU_DEP_1)
	v_cmp_gt_i32_e32 vcc_lo, 32, v15
	s_wait_dscnt 0x2
	v_dual_add_f32 v8, v1, v12 :: v_dual_cndmask_b32 v10, v10, v15, vcc_lo
	s_wait_dscnt 0x0
	v_dual_add_f32 v1, v11, v13 :: v_dual_add_f32 v9, v9, v14
	v_cmp_eq_u32_e32 vcc_lo, 15, v7
	s_delay_alu instid0(VALU_DEP_3)
	v_lshlrev_b32_e32 v15, 2, v10
	ds_bpermute_b32 v12, v15, v0
	ds_bpermute_b32 v13, v15, v8
	;; [unrolled: 1-line block ×4, first 2 shown]
	s_and_b32 exec_lo, exec_lo, vcc_lo
	s_cbranch_execz .LBB159_19
; %bb.15:
	s_load_b64 s[2:3], s[0:1], 0x38
	v_cmp_eq_f32_e32 vcc_lo, 0, v4
	s_wait_xcnt 0x0
	v_cmp_eq_f32_e64 s0, 0, v5
	s_wait_dscnt 0x3
	v_add_f32_e32 v0, v0, v12
	s_wait_dscnt 0x1
	v_dual_add_f32 v12, v8, v13 :: v_dual_add_f32 v8, v1, v10
	s_wait_dscnt 0x0
	v_add_f32_e32 v10, v9, v11
	s_and_b32 s0, vcc_lo, s0
	s_delay_alu instid0(SALU_CYCLE_1) | instskip(NEXT) | instid1(SALU_CYCLE_1)
	s_and_saveexec_b32 s1, s0
	s_xor_b32 s0, exec_lo, s1
	s_cbranch_execz .LBB159_17
; %bb.16:
	v_xor_b32_e32 v4, 0x80000000, v3
	v_dual_mov_b32 v5, v2 :: v_dual_lshlrev_b32 v6, 1, v6
	s_delay_alu instid0(VALU_DEP_1) | instskip(NEXT) | instid1(VALU_DEP_2)
	v_ashrrev_i32_e32 v7, 31, v6
	v_pk_mul_f32 v[12:13], v[12:13], v[4:5] op_sel_hi:[0,1]
	v_pk_mul_f32 v[4:5], v[10:11], v[4:5] op_sel_hi:[0,1]
                                        ; implicit-def: $vgpr10
	s_wait_kmcnt 0x0
	s_delay_alu instid0(VALU_DEP_3) | instskip(NEXT) | instid1(VALU_DEP_3)
	v_lshl_add_u64 v[6:7], v[6:7], 3, s[2:3]
	v_pk_fma_f32 v[0:1], v[2:3], v[0:1], v[12:13] op_sel_hi:[1,0,1]
	s_delay_alu instid0(VALU_DEP_3)
	v_pk_fma_f32 v[2:3], v[2:3], v[8:9], v[4:5] op_sel_hi:[1,0,1]
                                        ; implicit-def: $vgpr4_vgpr5
                                        ; implicit-def: $vgpr12
                                        ; implicit-def: $vgpr8
	global_store_b128 v[6:7], v[0:3], off
                                        ; implicit-def: $vgpr6
                                        ; implicit-def: $vgpr2_vgpr3
                                        ; implicit-def: $vgpr0
.LBB159_17:
	s_wait_xcnt 0x0
	s_and_not1_saveexec_b32 s0, s0
	s_cbranch_execz .LBB159_19
; %bb.18:
	v_dual_mov_b32 v19, v2 :: v_dual_lshlrev_b32 v6, 1, v6
	v_xor_b32_e32 v18, 0x80000000, v3
	s_delay_alu instid0(VALU_DEP_2) | instskip(NEXT) | instid1(VALU_DEP_2)
	v_ashrrev_i32_e32 v7, 31, v6
	v_pk_mul_f32 v[12:13], v[12:13], v[18:19] op_sel_hi:[0,1]
	v_pk_mul_f32 v[10:11], v[10:11], v[18:19] op_sel_hi:[0,1]
	s_delay_alu instid0(VALU_DEP_2) | instskip(NEXT) | instid1(VALU_DEP_2)
	v_pk_fma_f32 v[0:1], v[2:3], v[0:1], v[12:13] op_sel_hi:[1,0,1]
	v_pk_fma_f32 v[2:3], v[2:3], v[8:9], v[10:11] op_sel_hi:[1,0,1]
	v_mov_b32_e32 v9, v4
	s_wait_kmcnt 0x0
	v_lshl_add_u64 v[6:7], v[6:7], 3, s[2:3]
	v_xor_b32_e32 v8, 0x80000000, v5
	global_load_b128 v[14:17], v[6:7], off
	s_wait_loadcnt 0x0
	v_pk_fma_f32 v[0:1], v[4:5], v[14:15], v[0:1] op_sel_hi:[1,0,1]
	v_pk_fma_f32 v[2:3], v[4:5], v[16:17], v[2:3] op_sel_hi:[1,0,1]
	v_mov_b32_e32 v4, v17
	s_delay_alu instid0(VALU_DEP_3) | instskip(NEXT) | instid1(VALU_DEP_2)
	v_pk_fma_f32 v[0:1], v[8:9], v[14:15], v[0:1] op_sel:[0,1,0]
	v_pk_fma_f32 v[2:3], v[8:9], v[4:5], v[2:3] op_sel_hi:[1,0,1]
	global_store_b128 v[6:7], v[0:3], off
.LBB159_19:
	s_endpgm
	.section	.rodata,"a",@progbits
	.p2align	6, 0x0
	.amdhsa_kernel _ZN9rocsparseL19gebsrmvn_2xn_kernelILj128ELj3ELj16E21rocsparse_complex_numIfEEEvi20rocsparse_direction_NS_24const_host_device_scalarIT2_EEPKiS8_PKS5_SA_S6_PS5_21rocsparse_index_base_b
		.amdhsa_group_segment_fixed_size 0
		.amdhsa_private_segment_fixed_size 0
		.amdhsa_kernarg_size 72
		.amdhsa_user_sgpr_count 2
		.amdhsa_user_sgpr_dispatch_ptr 0
		.amdhsa_user_sgpr_queue_ptr 0
		.amdhsa_user_sgpr_kernarg_segment_ptr 1
		.amdhsa_user_sgpr_dispatch_id 0
		.amdhsa_user_sgpr_kernarg_preload_length 0
		.amdhsa_user_sgpr_kernarg_preload_offset 0
		.amdhsa_user_sgpr_private_segment_size 0
		.amdhsa_wavefront_size32 1
		.amdhsa_uses_dynamic_stack 0
		.amdhsa_enable_private_segment 0
		.amdhsa_system_sgpr_workgroup_id_x 1
		.amdhsa_system_sgpr_workgroup_id_y 0
		.amdhsa_system_sgpr_workgroup_id_z 0
		.amdhsa_system_sgpr_workgroup_info 0
		.amdhsa_system_vgpr_workitem_id 0
		.amdhsa_next_free_vgpr 36
		.amdhsa_next_free_sgpr 14
		.amdhsa_named_barrier_count 0
		.amdhsa_reserve_vcc 1
		.amdhsa_float_round_mode_32 0
		.amdhsa_float_round_mode_16_64 0
		.amdhsa_float_denorm_mode_32 3
		.amdhsa_float_denorm_mode_16_64 3
		.amdhsa_fp16_overflow 0
		.amdhsa_memory_ordered 1
		.amdhsa_forward_progress 1
		.amdhsa_inst_pref_size 15
		.amdhsa_round_robin_scheduling 0
		.amdhsa_exception_fp_ieee_invalid_op 0
		.amdhsa_exception_fp_denorm_src 0
		.amdhsa_exception_fp_ieee_div_zero 0
		.amdhsa_exception_fp_ieee_overflow 0
		.amdhsa_exception_fp_ieee_underflow 0
		.amdhsa_exception_fp_ieee_inexact 0
		.amdhsa_exception_int_div_zero 0
	.end_amdhsa_kernel
	.section	.text._ZN9rocsparseL19gebsrmvn_2xn_kernelILj128ELj3ELj16E21rocsparse_complex_numIfEEEvi20rocsparse_direction_NS_24const_host_device_scalarIT2_EEPKiS8_PKS5_SA_S6_PS5_21rocsparse_index_base_b,"axG",@progbits,_ZN9rocsparseL19gebsrmvn_2xn_kernelILj128ELj3ELj16E21rocsparse_complex_numIfEEEvi20rocsparse_direction_NS_24const_host_device_scalarIT2_EEPKiS8_PKS5_SA_S6_PS5_21rocsparse_index_base_b,comdat
.Lfunc_end159:
	.size	_ZN9rocsparseL19gebsrmvn_2xn_kernelILj128ELj3ELj16E21rocsparse_complex_numIfEEEvi20rocsparse_direction_NS_24const_host_device_scalarIT2_EEPKiS8_PKS5_SA_S6_PS5_21rocsparse_index_base_b, .Lfunc_end159-_ZN9rocsparseL19gebsrmvn_2xn_kernelILj128ELj3ELj16E21rocsparse_complex_numIfEEEvi20rocsparse_direction_NS_24const_host_device_scalarIT2_EEPKiS8_PKS5_SA_S6_PS5_21rocsparse_index_base_b
                                        ; -- End function
	.set _ZN9rocsparseL19gebsrmvn_2xn_kernelILj128ELj3ELj16E21rocsparse_complex_numIfEEEvi20rocsparse_direction_NS_24const_host_device_scalarIT2_EEPKiS8_PKS5_SA_S6_PS5_21rocsparse_index_base_b.num_vgpr, 36
	.set _ZN9rocsparseL19gebsrmvn_2xn_kernelILj128ELj3ELj16E21rocsparse_complex_numIfEEEvi20rocsparse_direction_NS_24const_host_device_scalarIT2_EEPKiS8_PKS5_SA_S6_PS5_21rocsparse_index_base_b.num_agpr, 0
	.set _ZN9rocsparseL19gebsrmvn_2xn_kernelILj128ELj3ELj16E21rocsparse_complex_numIfEEEvi20rocsparse_direction_NS_24const_host_device_scalarIT2_EEPKiS8_PKS5_SA_S6_PS5_21rocsparse_index_base_b.numbered_sgpr, 14
	.set _ZN9rocsparseL19gebsrmvn_2xn_kernelILj128ELj3ELj16E21rocsparse_complex_numIfEEEvi20rocsparse_direction_NS_24const_host_device_scalarIT2_EEPKiS8_PKS5_SA_S6_PS5_21rocsparse_index_base_b.num_named_barrier, 0
	.set _ZN9rocsparseL19gebsrmvn_2xn_kernelILj128ELj3ELj16E21rocsparse_complex_numIfEEEvi20rocsparse_direction_NS_24const_host_device_scalarIT2_EEPKiS8_PKS5_SA_S6_PS5_21rocsparse_index_base_b.private_seg_size, 0
	.set _ZN9rocsparseL19gebsrmvn_2xn_kernelILj128ELj3ELj16E21rocsparse_complex_numIfEEEvi20rocsparse_direction_NS_24const_host_device_scalarIT2_EEPKiS8_PKS5_SA_S6_PS5_21rocsparse_index_base_b.uses_vcc, 1
	.set _ZN9rocsparseL19gebsrmvn_2xn_kernelILj128ELj3ELj16E21rocsparse_complex_numIfEEEvi20rocsparse_direction_NS_24const_host_device_scalarIT2_EEPKiS8_PKS5_SA_S6_PS5_21rocsparse_index_base_b.uses_flat_scratch, 1
	.set _ZN9rocsparseL19gebsrmvn_2xn_kernelILj128ELj3ELj16E21rocsparse_complex_numIfEEEvi20rocsparse_direction_NS_24const_host_device_scalarIT2_EEPKiS8_PKS5_SA_S6_PS5_21rocsparse_index_base_b.has_dyn_sized_stack, 0
	.set _ZN9rocsparseL19gebsrmvn_2xn_kernelILj128ELj3ELj16E21rocsparse_complex_numIfEEEvi20rocsparse_direction_NS_24const_host_device_scalarIT2_EEPKiS8_PKS5_SA_S6_PS5_21rocsparse_index_base_b.has_recursion, 0
	.set _ZN9rocsparseL19gebsrmvn_2xn_kernelILj128ELj3ELj16E21rocsparse_complex_numIfEEEvi20rocsparse_direction_NS_24const_host_device_scalarIT2_EEPKiS8_PKS5_SA_S6_PS5_21rocsparse_index_base_b.has_indirect_call, 0
	.section	.AMDGPU.csdata,"",@progbits
; Kernel info:
; codeLenInByte = 1888
; TotalNumSgprs: 16
; NumVgprs: 36
; ScratchSize: 0
; MemoryBound: 0
; FloatMode: 240
; IeeeMode: 1
; LDSByteSize: 0 bytes/workgroup (compile time only)
; SGPRBlocks: 0
; VGPRBlocks: 2
; NumSGPRsForWavesPerEU: 16
; NumVGPRsForWavesPerEU: 36
; NamedBarCnt: 0
; Occupancy: 16
; WaveLimiterHint : 1
; COMPUTE_PGM_RSRC2:SCRATCH_EN: 0
; COMPUTE_PGM_RSRC2:USER_SGPR: 2
; COMPUTE_PGM_RSRC2:TRAP_HANDLER: 0
; COMPUTE_PGM_RSRC2:TGID_X_EN: 1
; COMPUTE_PGM_RSRC2:TGID_Y_EN: 0
; COMPUTE_PGM_RSRC2:TGID_Z_EN: 0
; COMPUTE_PGM_RSRC2:TIDIG_COMP_CNT: 0
	.section	.text._ZN9rocsparseL19gebsrmvn_2xn_kernelILj128ELj3ELj32E21rocsparse_complex_numIfEEEvi20rocsparse_direction_NS_24const_host_device_scalarIT2_EEPKiS8_PKS5_SA_S6_PS5_21rocsparse_index_base_b,"axG",@progbits,_ZN9rocsparseL19gebsrmvn_2xn_kernelILj128ELj3ELj32E21rocsparse_complex_numIfEEEvi20rocsparse_direction_NS_24const_host_device_scalarIT2_EEPKiS8_PKS5_SA_S6_PS5_21rocsparse_index_base_b,comdat
	.globl	_ZN9rocsparseL19gebsrmvn_2xn_kernelILj128ELj3ELj32E21rocsparse_complex_numIfEEEvi20rocsparse_direction_NS_24const_host_device_scalarIT2_EEPKiS8_PKS5_SA_S6_PS5_21rocsparse_index_base_b ; -- Begin function _ZN9rocsparseL19gebsrmvn_2xn_kernelILj128ELj3ELj32E21rocsparse_complex_numIfEEEvi20rocsparse_direction_NS_24const_host_device_scalarIT2_EEPKiS8_PKS5_SA_S6_PS5_21rocsparse_index_base_b
	.p2align	8
	.type	_ZN9rocsparseL19gebsrmvn_2xn_kernelILj128ELj3ELj32E21rocsparse_complex_numIfEEEvi20rocsparse_direction_NS_24const_host_device_scalarIT2_EEPKiS8_PKS5_SA_S6_PS5_21rocsparse_index_base_b,@function
_ZN9rocsparseL19gebsrmvn_2xn_kernelILj128ELj3ELj32E21rocsparse_complex_numIfEEEvi20rocsparse_direction_NS_24const_host_device_scalarIT2_EEPKiS8_PKS5_SA_S6_PS5_21rocsparse_index_base_b: ; @_ZN9rocsparseL19gebsrmvn_2xn_kernelILj128ELj3ELj32E21rocsparse_complex_numIfEEEvi20rocsparse_direction_NS_24const_host_device_scalarIT2_EEPKiS8_PKS5_SA_S6_PS5_21rocsparse_index_base_b
; %bb.0:
	s_clause 0x2
	s_load_b64 s[12:13], s[0:1], 0x40
	s_load_b64 s[2:3], s[0:1], 0x8
	;; [unrolled: 1-line block ×3, first 2 shown]
	v_mov_b32_e32 v1, 0
	s_add_nc_u64 s[6:7], s[0:1], 8
	s_add_nc_u64 s[8:9], s[0:1], 48
	s_wait_kmcnt 0x0
	s_bitcmp1_b32 s13, 0
	s_cselect_b32 s3, s7, s3
	s_cselect_b32 s2, s6, s2
	;; [unrolled: 1-line block ×4, first 2 shown]
	s_clause 0x1
	flat_load_b64 v[2:3], v1, s[2:3]
	flat_load_b64 v[4:5], v1, s[4:5]
	s_wait_loadcnt_dscnt 0x101
	v_cmp_eq_f32_e32 vcc_lo, 0, v2
	v_cmp_eq_f32_e64 s2, 0, v3
	s_wait_loadcnt_dscnt 0x0
	v_cmp_eq_f32_e64 s3, 1.0, v4
	v_cmp_eq_f32_e64 s4, 0, v5
	s_and_b32 s2, vcc_lo, s2
	s_and_b32 s3, s3, s4
	s_delay_alu instid0(SALU_CYCLE_1) | instskip(NEXT) | instid1(SALU_CYCLE_1)
	s_and_b32 s2, s2, s3
	s_xor_b32 s2, s2, -1
	s_delay_alu instid0(SALU_CYCLE_1)
	s_and_saveexec_b32 s3, s2
	s_cbranch_execz .LBB160_19
; %bb.1:
	s_load_b64 s[2:3], s[0:1], 0x0
	s_bfe_u32 s4, ttmp6, 0x4000c
	s_and_b32 s5, ttmp6, 15
	s_add_co_i32 s4, s4, 1
	s_getreg_b32 s6, hwreg(HW_REG_IB_STS2, 6, 4)
	s_mul_i32 s4, ttmp9, s4
	v_lshrrev_b32_e32 v1, 5, v0
	s_add_co_i32 s5, s5, s4
	s_cmp_eq_u32 s6, 0
	s_cselect_b32 s4, ttmp9, s5
	s_delay_alu instid0(VALU_DEP_1) | instid1(SALU_CYCLE_1)
	v_lshl_or_b32 v6, s4, 2, v1
	s_wait_kmcnt 0x0
	s_delay_alu instid0(VALU_DEP_1)
	v_cmp_gt_i32_e32 vcc_lo, s2, v6
	s_and_b32 exec_lo, exec_lo, vcc_lo
	s_cbranch_execz .LBB160_19
; %bb.2:
	s_load_b256 s[4:11], s[0:1], 0x10
	v_ashrrev_i32_e32 v7, 31, v6
	s_cmp_lg_u32 s3, 0
	s_wait_kmcnt 0x0
	s_delay_alu instid0(VALU_DEP_1)
	v_lshl_add_u64 v[8:9], v[6:7], 2, s[4:5]
	v_and_b32_e32 v7, 31, v0
	global_load_b64 v[8:9], v[8:9], off
	s_wait_loadcnt 0x0
	v_subrev_nc_u32_e32 v0, s12, v8
	v_subrev_nc_u32_e32 v12, s12, v9
	s_delay_alu instid0(VALU_DEP_2) | instskip(NEXT) | instid1(VALU_DEP_1)
	v_add_nc_u32_e32 v13, v0, v7
	v_cmp_lt_i32_e64 s2, v13, v12
	s_cbranch_scc0 .LBB160_8
; %bb.3:
	v_mov_b32_e32 v1, 0
	s_delay_alu instid0(VALU_DEP_1)
	v_dual_mov_b32 v0, v1 :: v_dual_mov_b32 v9, v1
	v_mov_b32_e32 v8, v1
	s_and_saveexec_b32 s3, s2
	s_cbranch_execz .LBB160_7
; %bb.4:
	v_mul_lo_u32 v10, v13, 6
	v_dual_mov_b32 v11, 0 :: v_dual_mov_b32 v14, v13
	s_mov_b32 s4, 0
	s_delay_alu instid0(VALU_DEP_1)
	v_dual_mov_b32 v8, v11 :: v_dual_mov_b32 v9, v11
	v_dual_mov_b32 v0, v11 :: v_dual_mov_b32 v1, v11
.LBB160_5:                              ; =>This Inner Loop Header: Depth=1
	global_load_b32 v15, v14, s[6:7] scale_offset
	v_lshl_add_u64 v[20:21], v[10:11], 3, s[8:9]
	v_dual_mov_b32 v23, v11 :: v_dual_add_nc_u32 v22, 2, v10
	s_delay_alu instid0(VALU_DEP_1) | instskip(SKIP_2) | instid1(VALU_DEP_1)
	v_lshl_add_u64 v[26:27], v[22:23], 3, s[8:9]
	s_wait_loadcnt 0x0
	v_subrev_nc_u32_e32 v15, s12, v15
	v_lshl_add_u32 v15, v15, 1, v15
	v_dual_mov_b32 v25, v11 :: v_dual_add_nc_u32 v24, 4, v10
	v_add_nc_u32_e32 v10, 0xc0, v10
	global_load_b128 v[16:19], v[20:21], off
	global_load_b64 v[28:29], v15, s[10:11] scale_offset
	s_wait_xcnt 0x0
	v_dual_add_nc_u32 v32, 1, v15 :: v_dual_add_nc_u32 v15, 2, v15
	global_load_b128 v[20:23], v[26:27], off
	global_load_b64 v[30:31], v32, s[10:11] scale_offset
	s_wait_xcnt 0x0
	v_lshl_add_u64 v[32:33], v[24:25], 3, s[8:9]
	global_load_b128 v[24:27], v[32:33], off
	global_load_b64 v[34:35], v15, s[10:11] scale_offset
	v_add_nc_u32_e32 v14, 32, v14
	s_wait_loadcnt 0x5
	s_wait_xcnt 0x1
	v_xor_b32_e32 v32, 0x80000000, v19
	v_mov_b32_e32 v33, v18
	s_wait_loadcnt 0x4
	v_pk_fma_f32 v[0:1], v[16:17], v[28:29], v[0:1] op_sel_hi:[1,0,1]
	v_pk_fma_f32 v[8:9], v[18:19], v[28:29], v[8:9] op_sel_hi:[1,0,1]
	s_delay_alu instid0(VALU_DEP_2) | instskip(SKIP_2) | instid1(VALU_DEP_3)
	v_pk_fma_f32 v[0:1], v[16:17], v[28:29], v[0:1] op_sel:[1,1,0] op_sel_hi:[0,1,1] neg_lo:[1,0,0]
	s_wait_loadcnt 0x3
	v_mov_b32_e32 v17, v22
	v_pk_fma_f32 v[8:9], v[32:33], v[28:29], v[8:9] op_sel:[0,1,0]
	v_xor_b32_e32 v16, 0x80000000, v23
	s_wait_loadcnt 0x2
	v_pk_fma_f32 v[0:1], v[20:21], v[30:31], v[0:1] op_sel_hi:[1,0,1]
	s_delay_alu instid0(VALU_DEP_3) | instskip(NEXT) | instid1(VALU_DEP_2)
	v_pk_fma_f32 v[8:9], v[22:23], v[30:31], v[8:9] op_sel_hi:[1,0,1]
	v_pk_fma_f32 v[0:1], v[20:21], v[30:31], v[0:1] op_sel:[1,1,0] op_sel_hi:[0,1,1] neg_lo:[1,0,0]
	s_delay_alu instid0(VALU_DEP_2)
	v_pk_fma_f32 v[8:9], v[16:17], v[30:31], v[8:9] op_sel:[0,1,0]
	s_wait_loadcnt 0x1
	v_xor_b32_e32 v16, 0x80000000, v27
	v_mov_b32_e32 v17, v26
	s_wait_loadcnt 0x0
	v_pk_fma_f32 v[0:1], v[24:25], v[34:35], v[0:1] op_sel_hi:[1,0,1]
	v_cmp_ge_i32_e32 vcc_lo, v14, v12
	v_pk_fma_f32 v[8:9], v[26:27], v[34:35], v[8:9] op_sel_hi:[1,0,1]
	s_delay_alu instid0(VALU_DEP_3) | instskip(SKIP_1) | instid1(VALU_DEP_2)
	v_pk_fma_f32 v[0:1], v[24:25], v[34:35], v[0:1] op_sel:[1,1,0] op_sel_hi:[0,1,1] neg_lo:[1,0,0]
	s_or_b32 s4, vcc_lo, s4
	v_pk_fma_f32 v[8:9], v[16:17], v[34:35], v[8:9] op_sel:[0,1,0]
	s_and_not1_b32 exec_lo, exec_lo, s4
	s_cbranch_execnz .LBB160_5
; %bb.6:
	s_or_b32 exec_lo, exec_lo, s4
.LBB160_7:
	s_delay_alu instid0(SALU_CYCLE_1)
	s_or_b32 exec_lo, exec_lo, s3
	s_cbranch_execz .LBB160_9
	s_branch .LBB160_14
.LBB160_8:
                                        ; implicit-def: $vgpr1
                                        ; implicit-def: $vgpr9
.LBB160_9:
	v_mov_b32_e32 v1, 0
	s_delay_alu instid0(VALU_DEP_1)
	v_dual_mov_b32 v0, v1 :: v_dual_mov_b32 v9, v1
	v_mov_b32_e32 v8, v1
	s_and_saveexec_b32 s3, s2
	s_cbranch_execz .LBB160_13
; %bb.10:
	v_mad_u32 v14, v13, 6, 5
	v_mov_b32_e32 v11, 0
	s_mov_b32 s2, 0
	s_delay_alu instid0(VALU_DEP_1)
	v_dual_mov_b32 v8, v11 :: v_dual_mov_b32 v9, v11
	v_dual_mov_b32 v0, v11 :: v_dual_mov_b32 v1, v11
.LBB160_11:                             ; =>This Inner Loop Header: Depth=1
	global_load_b32 v15, v13, s[6:7] scale_offset
	v_dual_add_nc_u32 v10, -5, v14 :: v_dual_add_nc_u32 v26, -2, v14
	s_wait_xcnt 0x0
	v_dual_add_nc_u32 v30, -1, v14 :: v_dual_add_nc_u32 v13, 32, v13
	s_delay_alu instid0(VALU_DEP_2) | instskip(NEXT) | instid1(VALU_DEP_2)
	v_lshl_add_u64 v[20:21], v[10:11], 3, s[8:9]
	v_cmp_ge_i32_e32 vcc_lo, v13, v12
	s_or_b32 s2, vcc_lo, s2
	s_wait_loadcnt 0x0
	v_subrev_nc_u32_e32 v15, s12, v15
	s_delay_alu instid0(VALU_DEP_1)
	v_lshl_add_u32 v10, v15, 1, v15
	s_clause 0x1
	global_load_b128 v[16:19], v[20:21], off
	global_load_b64 v[22:23], v26, s[8:9] scale_offset
	global_load_b64 v[24:25], v10, s[10:11] scale_offset
	v_add_nc_u32_e32 v15, -3, v14
	s_wait_xcnt 0x0
	v_dual_add_nc_u32 v31, 1, v10 :: v_dual_add_nc_u32 v10, 2, v10
	s_clause 0x1
	global_load_b64 v[20:21], v15, s[8:9] scale_offset
	global_load_b64 v[26:27], v30, s[8:9] scale_offset
	;; [unrolled: 1-line block ×5, first 2 shown]
	s_wait_xcnt 0x1
	v_add_nc_u32_e32 v14, 0xc0, v14
	s_wait_loadcnt 0x5
	v_pk_fma_f32 v[0:1], v[16:17], v[24:25], v[0:1] op_sel_hi:[1,0,1]
	v_pk_fma_f32 v[8:9], v[22:23], v[24:25], v[8:9] op_sel_hi:[1,0,1]
	s_delay_alu instid0(VALU_DEP_2) | instskip(NEXT) | instid1(VALU_DEP_2)
	v_pk_fma_f32 v[0:1], v[16:17], v[24:25], v[0:1] op_sel:[1,1,0] op_sel_hi:[0,1,1] neg_lo:[1,0,0]
	v_pk_fma_f32 v[8:9], v[22:23], v[24:25], v[8:9] op_sel:[1,1,0] op_sel_hi:[0,1,1] neg_lo:[1,0,0]
	v_xor_b32_e32 v16, 0x80000000, v19
	v_mov_b32_e32 v17, v18
	s_wait_loadcnt 0x2
	v_pk_fma_f32 v[0:1], v[18:19], v[28:29], v[0:1] op_sel_hi:[1,0,1]
	v_pk_fma_f32 v[8:9], v[26:27], v[28:29], v[8:9] op_sel_hi:[1,0,1]
	s_delay_alu instid0(VALU_DEP_2) | instskip(NEXT) | instid1(VALU_DEP_2)
	v_pk_fma_f32 v[0:1], v[16:17], v[28:29], v[0:1] op_sel:[0,1,0]
	v_pk_fma_f32 v[8:9], v[26:27], v[28:29], v[8:9] op_sel:[1,1,0] op_sel_hi:[0,1,1] neg_lo:[1,0,0]
	s_wait_loadcnt 0x0
	s_delay_alu instid0(VALU_DEP_2) | instskip(NEXT) | instid1(VALU_DEP_2)
	v_pk_fma_f32 v[0:1], v[20:21], v[32:33], v[0:1] op_sel_hi:[1,0,1]
	v_pk_fma_f32 v[8:9], v[30:31], v[32:33], v[8:9] op_sel_hi:[1,0,1]
	s_delay_alu instid0(VALU_DEP_2) | instskip(NEXT) | instid1(VALU_DEP_2)
	v_pk_fma_f32 v[0:1], v[20:21], v[32:33], v[0:1] op_sel:[1,1,0] op_sel_hi:[0,1,1] neg_lo:[1,0,0]
	v_pk_fma_f32 v[8:9], v[30:31], v[32:33], v[8:9] op_sel:[1,1,0] op_sel_hi:[0,1,1] neg_lo:[1,0,0]
	s_and_not1_b32 exec_lo, exec_lo, s2
	s_cbranch_execnz .LBB160_11
; %bb.12:
	s_or_b32 exec_lo, exec_lo, s2
.LBB160_13:
	s_delay_alu instid0(SALU_CYCLE_1)
	s_or_b32 exec_lo, exec_lo, s3
.LBB160_14:
	v_mbcnt_lo_u32_b32 v10, -1, 0
	s_delay_alu instid0(VALU_DEP_1) | instskip(SKIP_1) | instid1(VALU_DEP_1)
	v_xor_b32_e32 v15, 8, v10
	v_xor_b32_e32 v11, 16, v10
	v_cmp_gt_i32_e32 vcc_lo, 32, v11
	v_cndmask_b32_e32 v11, v10, v11, vcc_lo
	s_delay_alu instid0(VALU_DEP_1)
	v_lshlrev_b32_e32 v11, 2, v11
	ds_bpermute_b32 v13, v11, v1
	s_wait_dscnt 0x0
	v_add_f32_e32 v1, v1, v13
	ds_bpermute_b32 v12, v11, v0
	ds_bpermute_b32 v14, v11, v8
	;; [unrolled: 1-line block ×3, first 2 shown]
	s_wait_dscnt 0x2
	v_add_f32_e32 v0, v0, v12
	s_wait_dscnt 0x0
	v_dual_add_f32 v8, v8, v14 :: v_dual_add_f32 v9, v9, v11
	v_cmp_gt_i32_e32 vcc_lo, 32, v15
	v_cndmask_b32_e32 v15, v10, v15, vcc_lo
	s_delay_alu instid0(VALU_DEP_1)
	v_lshlrev_b32_e32 v15, 2, v15
	ds_bpermute_b32 v11, v15, v0
	ds_bpermute_b32 v12, v15, v1
	;; [unrolled: 1-line block ×4, first 2 shown]
	s_wait_dscnt 0x3
	v_dual_add_f32 v0, v0, v11 :: v_dual_bitop2_b32 v15, 4, v10 bitop3:0x14
	s_delay_alu instid0(VALU_DEP_1)
	v_cmp_gt_i32_e32 vcc_lo, 32, v15
	s_wait_dscnt 0x2
	v_add_f32_e32 v1, v1, v12
	s_wait_dscnt 0x0
	v_dual_add_f32 v9, v9, v14 :: v_dual_add_f32 v8, v8, v13
	v_cndmask_b32_e32 v15, v10, v15, vcc_lo
	s_delay_alu instid0(VALU_DEP_1)
	v_lshlrev_b32_e32 v15, 2, v15
	ds_bpermute_b32 v11, v15, v0
	ds_bpermute_b32 v12, v15, v1
	ds_bpermute_b32 v13, v15, v8
	ds_bpermute_b32 v14, v15, v9
	s_wait_dscnt 0x3
	v_dual_add_f32 v0, v0, v11 :: v_dual_bitop2_b32 v15, 2, v10 bitop3:0x14
	s_delay_alu instid0(VALU_DEP_1) | instskip(SKIP_4) | instid1(VALU_DEP_2)
	v_cmp_gt_i32_e32 vcc_lo, 32, v15
	s_wait_dscnt 0x2
	v_dual_add_f32 v1, v1, v12 :: v_dual_cndmask_b32 v15, v10, v15, vcc_lo
	s_wait_dscnt 0x0
	v_dual_add_f32 v11, v8, v13 :: v_dual_add_f32 v9, v9, v14
	v_lshlrev_b32_e32 v15, 2, v15
	ds_bpermute_b32 v8, v15, v0
	ds_bpermute_b32 v12, v15, v1
	;; [unrolled: 1-line block ×4, first 2 shown]
	s_wait_dscnt 0x3
	v_dual_add_f32 v0, v0, v8 :: v_dual_bitop2_b32 v15, 1, v10 bitop3:0x14
	s_delay_alu instid0(VALU_DEP_1)
	v_cmp_gt_i32_e32 vcc_lo, 32, v15
	s_wait_dscnt 0x1
	v_dual_add_f32 v8, v1, v12 :: v_dual_add_f32 v1, v11, v13
	s_wait_dscnt 0x0
	v_dual_add_f32 v9, v9, v14 :: v_dual_cndmask_b32 v10, v10, v15
	v_cmp_eq_u32_e32 vcc_lo, 31, v7
	s_delay_alu instid0(VALU_DEP_2)
	v_lshlrev_b32_e32 v15, 2, v10
	ds_bpermute_b32 v12, v15, v0
	ds_bpermute_b32 v13, v15, v8
	;; [unrolled: 1-line block ×4, first 2 shown]
	s_and_b32 exec_lo, exec_lo, vcc_lo
	s_cbranch_execz .LBB160_19
; %bb.15:
	s_load_b64 s[2:3], s[0:1], 0x38
	v_cmp_eq_f32_e32 vcc_lo, 0, v4
	s_wait_xcnt 0x0
	v_cmp_eq_f32_e64 s0, 0, v5
	s_wait_dscnt 0x3
	v_add_f32_e32 v0, v0, v12
	s_wait_dscnt 0x1
	v_dual_add_f32 v12, v8, v13 :: v_dual_add_f32 v8, v1, v10
	s_wait_dscnt 0x0
	v_add_f32_e32 v10, v9, v11
	s_and_b32 s0, vcc_lo, s0
	s_delay_alu instid0(SALU_CYCLE_1) | instskip(NEXT) | instid1(SALU_CYCLE_1)
	s_and_saveexec_b32 s1, s0
	s_xor_b32 s0, exec_lo, s1
	s_cbranch_execz .LBB160_17
; %bb.16:
	v_xor_b32_e32 v4, 0x80000000, v3
	v_dual_mov_b32 v5, v2 :: v_dual_lshlrev_b32 v6, 1, v6
	s_delay_alu instid0(VALU_DEP_1) | instskip(NEXT) | instid1(VALU_DEP_2)
	v_ashrrev_i32_e32 v7, 31, v6
	v_pk_mul_f32 v[12:13], v[12:13], v[4:5] op_sel_hi:[0,1]
	v_pk_mul_f32 v[4:5], v[10:11], v[4:5] op_sel_hi:[0,1]
                                        ; implicit-def: $vgpr10
	s_wait_kmcnt 0x0
	s_delay_alu instid0(VALU_DEP_3) | instskip(NEXT) | instid1(VALU_DEP_3)
	v_lshl_add_u64 v[6:7], v[6:7], 3, s[2:3]
	v_pk_fma_f32 v[0:1], v[2:3], v[0:1], v[12:13] op_sel_hi:[1,0,1]
	s_delay_alu instid0(VALU_DEP_3)
	v_pk_fma_f32 v[2:3], v[2:3], v[8:9], v[4:5] op_sel_hi:[1,0,1]
                                        ; implicit-def: $vgpr4_vgpr5
                                        ; implicit-def: $vgpr12
                                        ; implicit-def: $vgpr8
	global_store_b128 v[6:7], v[0:3], off
                                        ; implicit-def: $vgpr6
                                        ; implicit-def: $vgpr2_vgpr3
                                        ; implicit-def: $vgpr0
.LBB160_17:
	s_wait_xcnt 0x0
	s_and_not1_saveexec_b32 s0, s0
	s_cbranch_execz .LBB160_19
; %bb.18:
	v_dual_mov_b32 v19, v2 :: v_dual_lshlrev_b32 v6, 1, v6
	v_xor_b32_e32 v18, 0x80000000, v3
	s_delay_alu instid0(VALU_DEP_2) | instskip(NEXT) | instid1(VALU_DEP_2)
	v_ashrrev_i32_e32 v7, 31, v6
	v_pk_mul_f32 v[12:13], v[12:13], v[18:19] op_sel_hi:[0,1]
	v_pk_mul_f32 v[10:11], v[10:11], v[18:19] op_sel_hi:[0,1]
	s_delay_alu instid0(VALU_DEP_2) | instskip(NEXT) | instid1(VALU_DEP_2)
	v_pk_fma_f32 v[0:1], v[2:3], v[0:1], v[12:13] op_sel_hi:[1,0,1]
	v_pk_fma_f32 v[2:3], v[2:3], v[8:9], v[10:11] op_sel_hi:[1,0,1]
	v_mov_b32_e32 v9, v4
	s_wait_kmcnt 0x0
	v_lshl_add_u64 v[6:7], v[6:7], 3, s[2:3]
	v_xor_b32_e32 v8, 0x80000000, v5
	global_load_b128 v[14:17], v[6:7], off
	s_wait_loadcnt 0x0
	v_pk_fma_f32 v[0:1], v[4:5], v[14:15], v[0:1] op_sel_hi:[1,0,1]
	v_pk_fma_f32 v[2:3], v[4:5], v[16:17], v[2:3] op_sel_hi:[1,0,1]
	v_mov_b32_e32 v4, v17
	s_delay_alu instid0(VALU_DEP_3) | instskip(NEXT) | instid1(VALU_DEP_2)
	v_pk_fma_f32 v[0:1], v[8:9], v[14:15], v[0:1] op_sel:[0,1,0]
	v_pk_fma_f32 v[2:3], v[8:9], v[4:5], v[2:3] op_sel_hi:[1,0,1]
	global_store_b128 v[6:7], v[0:3], off
.LBB160_19:
	s_endpgm
	.section	.rodata,"a",@progbits
	.p2align	6, 0x0
	.amdhsa_kernel _ZN9rocsparseL19gebsrmvn_2xn_kernelILj128ELj3ELj32E21rocsparse_complex_numIfEEEvi20rocsparse_direction_NS_24const_host_device_scalarIT2_EEPKiS8_PKS5_SA_S6_PS5_21rocsparse_index_base_b
		.amdhsa_group_segment_fixed_size 0
		.amdhsa_private_segment_fixed_size 0
		.amdhsa_kernarg_size 72
		.amdhsa_user_sgpr_count 2
		.amdhsa_user_sgpr_dispatch_ptr 0
		.amdhsa_user_sgpr_queue_ptr 0
		.amdhsa_user_sgpr_kernarg_segment_ptr 1
		.amdhsa_user_sgpr_dispatch_id 0
		.amdhsa_user_sgpr_kernarg_preload_length 0
		.amdhsa_user_sgpr_kernarg_preload_offset 0
		.amdhsa_user_sgpr_private_segment_size 0
		.amdhsa_wavefront_size32 1
		.amdhsa_uses_dynamic_stack 0
		.amdhsa_enable_private_segment 0
		.amdhsa_system_sgpr_workgroup_id_x 1
		.amdhsa_system_sgpr_workgroup_id_y 0
		.amdhsa_system_sgpr_workgroup_id_z 0
		.amdhsa_system_sgpr_workgroup_info 0
		.amdhsa_system_vgpr_workitem_id 0
		.amdhsa_next_free_vgpr 36
		.amdhsa_next_free_sgpr 14
		.amdhsa_named_barrier_count 0
		.amdhsa_reserve_vcc 1
		.amdhsa_float_round_mode_32 0
		.amdhsa_float_round_mode_16_64 0
		.amdhsa_float_denorm_mode_32 3
		.amdhsa_float_denorm_mode_16_64 3
		.amdhsa_fp16_overflow 0
		.amdhsa_memory_ordered 1
		.amdhsa_forward_progress 1
		.amdhsa_inst_pref_size 16
		.amdhsa_round_robin_scheduling 0
		.amdhsa_exception_fp_ieee_invalid_op 0
		.amdhsa_exception_fp_denorm_src 0
		.amdhsa_exception_fp_ieee_div_zero 0
		.amdhsa_exception_fp_ieee_overflow 0
		.amdhsa_exception_fp_ieee_underflow 0
		.amdhsa_exception_fp_ieee_inexact 0
		.amdhsa_exception_int_div_zero 0
	.end_amdhsa_kernel
	.section	.text._ZN9rocsparseL19gebsrmvn_2xn_kernelILj128ELj3ELj32E21rocsparse_complex_numIfEEEvi20rocsparse_direction_NS_24const_host_device_scalarIT2_EEPKiS8_PKS5_SA_S6_PS5_21rocsparse_index_base_b,"axG",@progbits,_ZN9rocsparseL19gebsrmvn_2xn_kernelILj128ELj3ELj32E21rocsparse_complex_numIfEEEvi20rocsparse_direction_NS_24const_host_device_scalarIT2_EEPKiS8_PKS5_SA_S6_PS5_21rocsparse_index_base_b,comdat
.Lfunc_end160:
	.size	_ZN9rocsparseL19gebsrmvn_2xn_kernelILj128ELj3ELj32E21rocsparse_complex_numIfEEEvi20rocsparse_direction_NS_24const_host_device_scalarIT2_EEPKiS8_PKS5_SA_S6_PS5_21rocsparse_index_base_b, .Lfunc_end160-_ZN9rocsparseL19gebsrmvn_2xn_kernelILj128ELj3ELj32E21rocsparse_complex_numIfEEEvi20rocsparse_direction_NS_24const_host_device_scalarIT2_EEPKiS8_PKS5_SA_S6_PS5_21rocsparse_index_base_b
                                        ; -- End function
	.set _ZN9rocsparseL19gebsrmvn_2xn_kernelILj128ELj3ELj32E21rocsparse_complex_numIfEEEvi20rocsparse_direction_NS_24const_host_device_scalarIT2_EEPKiS8_PKS5_SA_S6_PS5_21rocsparse_index_base_b.num_vgpr, 36
	.set _ZN9rocsparseL19gebsrmvn_2xn_kernelILj128ELj3ELj32E21rocsparse_complex_numIfEEEvi20rocsparse_direction_NS_24const_host_device_scalarIT2_EEPKiS8_PKS5_SA_S6_PS5_21rocsparse_index_base_b.num_agpr, 0
	.set _ZN9rocsparseL19gebsrmvn_2xn_kernelILj128ELj3ELj32E21rocsparse_complex_numIfEEEvi20rocsparse_direction_NS_24const_host_device_scalarIT2_EEPKiS8_PKS5_SA_S6_PS5_21rocsparse_index_base_b.numbered_sgpr, 14
	.set _ZN9rocsparseL19gebsrmvn_2xn_kernelILj128ELj3ELj32E21rocsparse_complex_numIfEEEvi20rocsparse_direction_NS_24const_host_device_scalarIT2_EEPKiS8_PKS5_SA_S6_PS5_21rocsparse_index_base_b.num_named_barrier, 0
	.set _ZN9rocsparseL19gebsrmvn_2xn_kernelILj128ELj3ELj32E21rocsparse_complex_numIfEEEvi20rocsparse_direction_NS_24const_host_device_scalarIT2_EEPKiS8_PKS5_SA_S6_PS5_21rocsparse_index_base_b.private_seg_size, 0
	.set _ZN9rocsparseL19gebsrmvn_2xn_kernelILj128ELj3ELj32E21rocsparse_complex_numIfEEEvi20rocsparse_direction_NS_24const_host_device_scalarIT2_EEPKiS8_PKS5_SA_S6_PS5_21rocsparse_index_base_b.uses_vcc, 1
	.set _ZN9rocsparseL19gebsrmvn_2xn_kernelILj128ELj3ELj32E21rocsparse_complex_numIfEEEvi20rocsparse_direction_NS_24const_host_device_scalarIT2_EEPKiS8_PKS5_SA_S6_PS5_21rocsparse_index_base_b.uses_flat_scratch, 1
	.set _ZN9rocsparseL19gebsrmvn_2xn_kernelILj128ELj3ELj32E21rocsparse_complex_numIfEEEvi20rocsparse_direction_NS_24const_host_device_scalarIT2_EEPKiS8_PKS5_SA_S6_PS5_21rocsparse_index_base_b.has_dyn_sized_stack, 0
	.set _ZN9rocsparseL19gebsrmvn_2xn_kernelILj128ELj3ELj32E21rocsparse_complex_numIfEEEvi20rocsparse_direction_NS_24const_host_device_scalarIT2_EEPKiS8_PKS5_SA_S6_PS5_21rocsparse_index_base_b.has_recursion, 0
	.set _ZN9rocsparseL19gebsrmvn_2xn_kernelILj128ELj3ELj32E21rocsparse_complex_numIfEEEvi20rocsparse_direction_NS_24const_host_device_scalarIT2_EEPKiS8_PKS5_SA_S6_PS5_21rocsparse_index_base_b.has_indirect_call, 0
	.section	.AMDGPU.csdata,"",@progbits
; Kernel info:
; codeLenInByte = 1968
; TotalNumSgprs: 16
; NumVgprs: 36
; ScratchSize: 0
; MemoryBound: 0
; FloatMode: 240
; IeeeMode: 1
; LDSByteSize: 0 bytes/workgroup (compile time only)
; SGPRBlocks: 0
; VGPRBlocks: 2
; NumSGPRsForWavesPerEU: 16
; NumVGPRsForWavesPerEU: 36
; NamedBarCnt: 0
; Occupancy: 16
; WaveLimiterHint : 1
; COMPUTE_PGM_RSRC2:SCRATCH_EN: 0
; COMPUTE_PGM_RSRC2:USER_SGPR: 2
; COMPUTE_PGM_RSRC2:TRAP_HANDLER: 0
; COMPUTE_PGM_RSRC2:TGID_X_EN: 1
; COMPUTE_PGM_RSRC2:TGID_Y_EN: 0
; COMPUTE_PGM_RSRC2:TGID_Z_EN: 0
; COMPUTE_PGM_RSRC2:TIDIG_COMP_CNT: 0
	.section	.text._ZN9rocsparseL19gebsrmvn_2xn_kernelILj128ELj3ELj64E21rocsparse_complex_numIfEEEvi20rocsparse_direction_NS_24const_host_device_scalarIT2_EEPKiS8_PKS5_SA_S6_PS5_21rocsparse_index_base_b,"axG",@progbits,_ZN9rocsparseL19gebsrmvn_2xn_kernelILj128ELj3ELj64E21rocsparse_complex_numIfEEEvi20rocsparse_direction_NS_24const_host_device_scalarIT2_EEPKiS8_PKS5_SA_S6_PS5_21rocsparse_index_base_b,comdat
	.globl	_ZN9rocsparseL19gebsrmvn_2xn_kernelILj128ELj3ELj64E21rocsparse_complex_numIfEEEvi20rocsparse_direction_NS_24const_host_device_scalarIT2_EEPKiS8_PKS5_SA_S6_PS5_21rocsparse_index_base_b ; -- Begin function _ZN9rocsparseL19gebsrmvn_2xn_kernelILj128ELj3ELj64E21rocsparse_complex_numIfEEEvi20rocsparse_direction_NS_24const_host_device_scalarIT2_EEPKiS8_PKS5_SA_S6_PS5_21rocsparse_index_base_b
	.p2align	8
	.type	_ZN9rocsparseL19gebsrmvn_2xn_kernelILj128ELj3ELj64E21rocsparse_complex_numIfEEEvi20rocsparse_direction_NS_24const_host_device_scalarIT2_EEPKiS8_PKS5_SA_S6_PS5_21rocsparse_index_base_b,@function
_ZN9rocsparseL19gebsrmvn_2xn_kernelILj128ELj3ELj64E21rocsparse_complex_numIfEEEvi20rocsparse_direction_NS_24const_host_device_scalarIT2_EEPKiS8_PKS5_SA_S6_PS5_21rocsparse_index_base_b: ; @_ZN9rocsparseL19gebsrmvn_2xn_kernelILj128ELj3ELj64E21rocsparse_complex_numIfEEEvi20rocsparse_direction_NS_24const_host_device_scalarIT2_EEPKiS8_PKS5_SA_S6_PS5_21rocsparse_index_base_b
; %bb.0:
	s_clause 0x2
	s_load_b64 s[12:13], s[0:1], 0x40
	s_load_b64 s[2:3], s[0:1], 0x8
	s_load_b64 s[4:5], s[0:1], 0x30
	v_mov_b32_e32 v1, 0
	s_add_nc_u64 s[6:7], s[0:1], 8
	s_add_nc_u64 s[8:9], s[0:1], 48
	s_wait_kmcnt 0x0
	s_bitcmp1_b32 s13, 0
	s_cselect_b32 s3, s7, s3
	s_cselect_b32 s2, s6, s2
	;; [unrolled: 1-line block ×4, first 2 shown]
	s_clause 0x1
	flat_load_b64 v[2:3], v1, s[2:3]
	flat_load_b64 v[4:5], v1, s[4:5]
	s_wait_loadcnt_dscnt 0x101
	v_cmp_eq_f32_e32 vcc_lo, 0, v2
	v_cmp_eq_f32_e64 s2, 0, v3
	s_wait_loadcnt_dscnt 0x0
	v_cmp_eq_f32_e64 s3, 1.0, v4
	v_cmp_eq_f32_e64 s4, 0, v5
	s_and_b32 s2, vcc_lo, s2
	s_and_b32 s3, s3, s4
	s_delay_alu instid0(SALU_CYCLE_1) | instskip(NEXT) | instid1(SALU_CYCLE_1)
	s_and_b32 s2, s2, s3
	s_xor_b32 s2, s2, -1
	s_delay_alu instid0(SALU_CYCLE_1)
	s_and_saveexec_b32 s3, s2
	s_cbranch_execz .LBB161_19
; %bb.1:
	s_load_b64 s[2:3], s[0:1], 0x0
	s_bfe_u32 s4, ttmp6, 0x4000c
	s_and_b32 s5, ttmp6, 15
	s_add_co_i32 s4, s4, 1
	s_getreg_b32 s6, hwreg(HW_REG_IB_STS2, 6, 4)
	s_mul_i32 s4, ttmp9, s4
	v_lshrrev_b32_e32 v1, 6, v0
	s_add_co_i32 s5, s5, s4
	s_cmp_eq_u32 s6, 0
	s_cselect_b32 s4, ttmp9, s5
	s_delay_alu instid0(VALU_DEP_1) | instid1(SALU_CYCLE_1)
	v_lshl_or_b32 v6, s4, 1, v1
	s_wait_kmcnt 0x0
	s_delay_alu instid0(VALU_DEP_1)
	v_cmp_gt_i32_e32 vcc_lo, s2, v6
	s_and_b32 exec_lo, exec_lo, vcc_lo
	s_cbranch_execz .LBB161_19
; %bb.2:
	s_load_b256 s[4:11], s[0:1], 0x10
	v_ashrrev_i32_e32 v7, 31, v6
	s_cmp_lg_u32 s3, 0
	s_wait_kmcnt 0x0
	s_delay_alu instid0(VALU_DEP_1)
	v_lshl_add_u64 v[8:9], v[6:7], 2, s[4:5]
	v_and_b32_e32 v7, 63, v0
	global_load_b64 v[8:9], v[8:9], off
	s_wait_loadcnt 0x0
	v_subrev_nc_u32_e32 v0, s12, v8
	v_subrev_nc_u32_e32 v12, s12, v9
	s_delay_alu instid0(VALU_DEP_2) | instskip(NEXT) | instid1(VALU_DEP_1)
	v_add_nc_u32_e32 v13, v0, v7
	v_cmp_lt_i32_e64 s2, v13, v12
	s_cbranch_scc0 .LBB161_8
; %bb.3:
	v_mov_b32_e32 v1, 0
	s_delay_alu instid0(VALU_DEP_1)
	v_dual_mov_b32 v0, v1 :: v_dual_mov_b32 v9, v1
	v_mov_b32_e32 v8, v1
	s_and_saveexec_b32 s3, s2
	s_cbranch_execz .LBB161_7
; %bb.4:
	v_mul_lo_u32 v10, v13, 6
	v_dual_mov_b32 v11, 0 :: v_dual_mov_b32 v14, v13
	s_mov_b32 s4, 0
	s_delay_alu instid0(VALU_DEP_1)
	v_dual_mov_b32 v8, v11 :: v_dual_mov_b32 v9, v11
	v_dual_mov_b32 v0, v11 :: v_dual_mov_b32 v1, v11
.LBB161_5:                              ; =>This Inner Loop Header: Depth=1
	global_load_b32 v15, v14, s[6:7] scale_offset
	v_lshl_add_u64 v[20:21], v[10:11], 3, s[8:9]
	v_dual_mov_b32 v23, v11 :: v_dual_add_nc_u32 v22, 2, v10
	s_delay_alu instid0(VALU_DEP_1) | instskip(SKIP_2) | instid1(VALU_DEP_1)
	v_lshl_add_u64 v[26:27], v[22:23], 3, s[8:9]
	s_wait_loadcnt 0x0
	v_subrev_nc_u32_e32 v15, s12, v15
	v_lshl_add_u32 v15, v15, 1, v15
	v_dual_mov_b32 v25, v11 :: v_dual_add_nc_u32 v24, 4, v10
	v_add_nc_u32_e32 v10, 0x180, v10
	global_load_b128 v[16:19], v[20:21], off
	global_load_b64 v[28:29], v15, s[10:11] scale_offset
	s_wait_xcnt 0x0
	v_dual_add_nc_u32 v32, 1, v15 :: v_dual_add_nc_u32 v15, 2, v15
	global_load_b128 v[20:23], v[26:27], off
	global_load_b64 v[30:31], v32, s[10:11] scale_offset
	s_wait_xcnt 0x0
	v_lshl_add_u64 v[32:33], v[24:25], 3, s[8:9]
	global_load_b128 v[24:27], v[32:33], off
	global_load_b64 v[34:35], v15, s[10:11] scale_offset
	v_add_nc_u32_e32 v14, 64, v14
	s_wait_loadcnt 0x5
	s_wait_xcnt 0x1
	v_xor_b32_e32 v32, 0x80000000, v19
	v_mov_b32_e32 v33, v18
	s_wait_loadcnt 0x4
	v_pk_fma_f32 v[0:1], v[16:17], v[28:29], v[0:1] op_sel_hi:[1,0,1]
	v_pk_fma_f32 v[8:9], v[18:19], v[28:29], v[8:9] op_sel_hi:[1,0,1]
	s_delay_alu instid0(VALU_DEP_2) | instskip(SKIP_2) | instid1(VALU_DEP_3)
	v_pk_fma_f32 v[0:1], v[16:17], v[28:29], v[0:1] op_sel:[1,1,0] op_sel_hi:[0,1,1] neg_lo:[1,0,0]
	s_wait_loadcnt 0x3
	v_mov_b32_e32 v17, v22
	v_pk_fma_f32 v[8:9], v[32:33], v[28:29], v[8:9] op_sel:[0,1,0]
	v_xor_b32_e32 v16, 0x80000000, v23
	s_wait_loadcnt 0x2
	v_pk_fma_f32 v[0:1], v[20:21], v[30:31], v[0:1] op_sel_hi:[1,0,1]
	s_delay_alu instid0(VALU_DEP_3) | instskip(NEXT) | instid1(VALU_DEP_2)
	v_pk_fma_f32 v[8:9], v[22:23], v[30:31], v[8:9] op_sel_hi:[1,0,1]
	v_pk_fma_f32 v[0:1], v[20:21], v[30:31], v[0:1] op_sel:[1,1,0] op_sel_hi:[0,1,1] neg_lo:[1,0,0]
	s_delay_alu instid0(VALU_DEP_2)
	v_pk_fma_f32 v[8:9], v[16:17], v[30:31], v[8:9] op_sel:[0,1,0]
	s_wait_loadcnt 0x1
	v_xor_b32_e32 v16, 0x80000000, v27
	v_mov_b32_e32 v17, v26
	s_wait_loadcnt 0x0
	v_pk_fma_f32 v[0:1], v[24:25], v[34:35], v[0:1] op_sel_hi:[1,0,1]
	v_cmp_ge_i32_e32 vcc_lo, v14, v12
	v_pk_fma_f32 v[8:9], v[26:27], v[34:35], v[8:9] op_sel_hi:[1,0,1]
	s_delay_alu instid0(VALU_DEP_3) | instskip(SKIP_1) | instid1(VALU_DEP_2)
	v_pk_fma_f32 v[0:1], v[24:25], v[34:35], v[0:1] op_sel:[1,1,0] op_sel_hi:[0,1,1] neg_lo:[1,0,0]
	s_or_b32 s4, vcc_lo, s4
	v_pk_fma_f32 v[8:9], v[16:17], v[34:35], v[8:9] op_sel:[0,1,0]
	s_and_not1_b32 exec_lo, exec_lo, s4
	s_cbranch_execnz .LBB161_5
; %bb.6:
	s_or_b32 exec_lo, exec_lo, s4
.LBB161_7:
	s_delay_alu instid0(SALU_CYCLE_1)
	s_or_b32 exec_lo, exec_lo, s3
	s_cbranch_execz .LBB161_9
	s_branch .LBB161_14
.LBB161_8:
                                        ; implicit-def: $vgpr1
                                        ; implicit-def: $vgpr9
.LBB161_9:
	v_mov_b32_e32 v1, 0
	s_delay_alu instid0(VALU_DEP_1)
	v_dual_mov_b32 v0, v1 :: v_dual_mov_b32 v9, v1
	v_mov_b32_e32 v8, v1
	s_and_saveexec_b32 s3, s2
	s_cbranch_execz .LBB161_13
; %bb.10:
	v_mad_u32 v14, v13, 6, 5
	v_mov_b32_e32 v11, 0
	s_mov_b32 s2, 0
	s_delay_alu instid0(VALU_DEP_1)
	v_dual_mov_b32 v8, v11 :: v_dual_mov_b32 v9, v11
	v_dual_mov_b32 v0, v11 :: v_dual_mov_b32 v1, v11
.LBB161_11:                             ; =>This Inner Loop Header: Depth=1
	global_load_b32 v15, v13, s[6:7] scale_offset
	v_dual_add_nc_u32 v10, -5, v14 :: v_dual_add_nc_u32 v26, -2, v14
	s_wait_xcnt 0x0
	v_dual_add_nc_u32 v30, -1, v14 :: v_dual_add_nc_u32 v13, 64, v13
	s_delay_alu instid0(VALU_DEP_2) | instskip(NEXT) | instid1(VALU_DEP_2)
	v_lshl_add_u64 v[20:21], v[10:11], 3, s[8:9]
	v_cmp_ge_i32_e32 vcc_lo, v13, v12
	s_or_b32 s2, vcc_lo, s2
	s_wait_loadcnt 0x0
	v_subrev_nc_u32_e32 v15, s12, v15
	s_delay_alu instid0(VALU_DEP_1)
	v_lshl_add_u32 v10, v15, 1, v15
	s_clause 0x1
	global_load_b128 v[16:19], v[20:21], off
	global_load_b64 v[22:23], v26, s[8:9] scale_offset
	global_load_b64 v[24:25], v10, s[10:11] scale_offset
	v_add_nc_u32_e32 v15, -3, v14
	s_wait_xcnt 0x0
	v_dual_add_nc_u32 v31, 1, v10 :: v_dual_add_nc_u32 v10, 2, v10
	s_clause 0x1
	global_load_b64 v[20:21], v15, s[8:9] scale_offset
	global_load_b64 v[26:27], v30, s[8:9] scale_offset
	;; [unrolled: 1-line block ×5, first 2 shown]
	s_wait_xcnt 0x1
	v_add_nc_u32_e32 v14, 0x180, v14
	s_wait_loadcnt 0x5
	v_pk_fma_f32 v[0:1], v[16:17], v[24:25], v[0:1] op_sel_hi:[1,0,1]
	v_pk_fma_f32 v[8:9], v[22:23], v[24:25], v[8:9] op_sel_hi:[1,0,1]
	s_delay_alu instid0(VALU_DEP_2) | instskip(NEXT) | instid1(VALU_DEP_2)
	v_pk_fma_f32 v[0:1], v[16:17], v[24:25], v[0:1] op_sel:[1,1,0] op_sel_hi:[0,1,1] neg_lo:[1,0,0]
	v_pk_fma_f32 v[8:9], v[22:23], v[24:25], v[8:9] op_sel:[1,1,0] op_sel_hi:[0,1,1] neg_lo:[1,0,0]
	v_xor_b32_e32 v16, 0x80000000, v19
	v_mov_b32_e32 v17, v18
	s_wait_loadcnt 0x2
	v_pk_fma_f32 v[0:1], v[18:19], v[28:29], v[0:1] op_sel_hi:[1,0,1]
	v_pk_fma_f32 v[8:9], v[26:27], v[28:29], v[8:9] op_sel_hi:[1,0,1]
	s_delay_alu instid0(VALU_DEP_2) | instskip(NEXT) | instid1(VALU_DEP_2)
	v_pk_fma_f32 v[0:1], v[16:17], v[28:29], v[0:1] op_sel:[0,1,0]
	v_pk_fma_f32 v[8:9], v[26:27], v[28:29], v[8:9] op_sel:[1,1,0] op_sel_hi:[0,1,1] neg_lo:[1,0,0]
	s_wait_loadcnt 0x0
	s_delay_alu instid0(VALU_DEP_2) | instskip(NEXT) | instid1(VALU_DEP_2)
	v_pk_fma_f32 v[0:1], v[20:21], v[32:33], v[0:1] op_sel_hi:[1,0,1]
	v_pk_fma_f32 v[8:9], v[30:31], v[32:33], v[8:9] op_sel_hi:[1,0,1]
	s_delay_alu instid0(VALU_DEP_2) | instskip(NEXT) | instid1(VALU_DEP_2)
	v_pk_fma_f32 v[0:1], v[20:21], v[32:33], v[0:1] op_sel:[1,1,0] op_sel_hi:[0,1,1] neg_lo:[1,0,0]
	v_pk_fma_f32 v[8:9], v[30:31], v[32:33], v[8:9] op_sel:[1,1,0] op_sel_hi:[0,1,1] neg_lo:[1,0,0]
	s_and_not1_b32 exec_lo, exec_lo, s2
	s_cbranch_execnz .LBB161_11
; %bb.12:
	s_or_b32 exec_lo, exec_lo, s2
.LBB161_13:
	s_delay_alu instid0(SALU_CYCLE_1)
	s_or_b32 exec_lo, exec_lo, s3
.LBB161_14:
	v_mbcnt_lo_u32_b32 v10, -1, 0
	s_delay_alu instid0(VALU_DEP_1) | instskip(SKIP_1) | instid1(VALU_DEP_1)
	v_xor_b32_e32 v15, 16, v10
	v_or_b32_e32 v11, 32, v10
	v_cmp_gt_i32_e32 vcc_lo, 32, v11
	v_cndmask_b32_e32 v11, v10, v11, vcc_lo
	s_delay_alu instid0(VALU_DEP_1)
	v_lshlrev_b32_e32 v11, 2, v11
	ds_bpermute_b32 v13, v11, v1
	s_wait_dscnt 0x0
	v_add_f32_e32 v1, v1, v13
	ds_bpermute_b32 v12, v11, v0
	ds_bpermute_b32 v14, v11, v8
	;; [unrolled: 1-line block ×3, first 2 shown]
	s_wait_dscnt 0x2
	v_add_f32_e32 v0, v0, v12
	s_wait_dscnt 0x0
	v_dual_add_f32 v8, v8, v14 :: v_dual_add_f32 v9, v9, v11
	v_cmp_gt_i32_e32 vcc_lo, 32, v15
	v_cndmask_b32_e32 v15, v10, v15, vcc_lo
	s_delay_alu instid0(VALU_DEP_1)
	v_lshlrev_b32_e32 v15, 2, v15
	ds_bpermute_b32 v11, v15, v0
	ds_bpermute_b32 v12, v15, v1
	;; [unrolled: 1-line block ×4, first 2 shown]
	s_wait_dscnt 0x3
	v_dual_add_f32 v0, v0, v11 :: v_dual_bitop2_b32 v15, 8, v10 bitop3:0x14
	s_delay_alu instid0(VALU_DEP_1)
	v_cmp_gt_i32_e32 vcc_lo, 32, v15
	s_wait_dscnt 0x2
	v_add_f32_e32 v1, v1, v12
	s_wait_dscnt 0x0
	v_dual_add_f32 v9, v9, v14 :: v_dual_add_f32 v8, v8, v13
	v_cndmask_b32_e32 v15, v10, v15, vcc_lo
	s_delay_alu instid0(VALU_DEP_1)
	v_lshlrev_b32_e32 v15, 2, v15
	ds_bpermute_b32 v11, v15, v0
	ds_bpermute_b32 v12, v15, v1
	;; [unrolled: 1-line block ×4, first 2 shown]
	s_wait_dscnt 0x3
	v_dual_add_f32 v0, v0, v11 :: v_dual_bitop2_b32 v15, 4, v10 bitop3:0x14
	s_delay_alu instid0(VALU_DEP_1) | instskip(SKIP_4) | instid1(VALU_DEP_2)
	v_cmp_gt_i32_e32 vcc_lo, 32, v15
	s_wait_dscnt 0x2
	v_dual_add_f32 v1, v1, v12 :: v_dual_cndmask_b32 v15, v10, v15, vcc_lo
	s_wait_dscnt 0x0
	v_dual_add_f32 v8, v8, v13 :: v_dual_add_f32 v9, v9, v14
	v_lshlrev_b32_e32 v15, 2, v15
	ds_bpermute_b32 v11, v15, v0
	ds_bpermute_b32 v12, v15, v1
	;; [unrolled: 1-line block ×4, first 2 shown]
	s_wait_dscnt 0x3
	v_dual_add_f32 v0, v0, v11 :: v_dual_bitop2_b32 v15, 2, v10 bitop3:0x14
	s_delay_alu instid0(VALU_DEP_1) | instskip(SKIP_4) | instid1(VALU_DEP_1)
	v_cmp_gt_i32_e32 vcc_lo, 32, v15
	s_wait_dscnt 0x1
	v_dual_add_f32 v1, v1, v12 :: v_dual_add_f32 v11, v8, v13
	s_wait_dscnt 0x0
	v_dual_add_f32 v9, v9, v14 :: v_dual_cndmask_b32 v15, v10, v15, vcc_lo
	v_lshlrev_b32_e32 v15, 2, v15
	ds_bpermute_b32 v8, v15, v0
	ds_bpermute_b32 v12, v15, v1
	;; [unrolled: 1-line block ×4, first 2 shown]
	s_wait_dscnt 0x3
	v_dual_add_f32 v0, v0, v8 :: v_dual_bitop2_b32 v15, 1, v10 bitop3:0x14
	s_delay_alu instid0(VALU_DEP_1)
	v_cmp_gt_i32_e32 vcc_lo, 32, v15
	s_wait_dscnt 0x2
	v_dual_add_f32 v8, v1, v12 :: v_dual_cndmask_b32 v10, v10, v15, vcc_lo
	s_wait_dscnt 0x0
	v_dual_add_f32 v1, v11, v13 :: v_dual_add_f32 v9, v9, v14
	v_cmp_eq_u32_e32 vcc_lo, 63, v7
	s_delay_alu instid0(VALU_DEP_3)
	v_lshlrev_b32_e32 v15, 2, v10
	ds_bpermute_b32 v12, v15, v0
	ds_bpermute_b32 v13, v15, v8
	;; [unrolled: 1-line block ×4, first 2 shown]
	s_and_b32 exec_lo, exec_lo, vcc_lo
	s_cbranch_execz .LBB161_19
; %bb.15:
	s_load_b64 s[2:3], s[0:1], 0x38
	v_cmp_eq_f32_e32 vcc_lo, 0, v4
	s_wait_xcnt 0x0
	v_cmp_eq_f32_e64 s0, 0, v5
	s_wait_dscnt 0x3
	v_add_f32_e32 v0, v0, v12
	s_wait_dscnt 0x1
	v_dual_add_f32 v12, v8, v13 :: v_dual_add_f32 v8, v1, v10
	s_wait_dscnt 0x0
	v_add_f32_e32 v10, v9, v11
	s_and_b32 s0, vcc_lo, s0
	s_delay_alu instid0(SALU_CYCLE_1) | instskip(NEXT) | instid1(SALU_CYCLE_1)
	s_and_saveexec_b32 s1, s0
	s_xor_b32 s0, exec_lo, s1
	s_cbranch_execz .LBB161_17
; %bb.16:
	v_xor_b32_e32 v4, 0x80000000, v3
	v_dual_mov_b32 v5, v2 :: v_dual_lshlrev_b32 v6, 1, v6
	s_delay_alu instid0(VALU_DEP_1) | instskip(NEXT) | instid1(VALU_DEP_2)
	v_ashrrev_i32_e32 v7, 31, v6
	v_pk_mul_f32 v[12:13], v[12:13], v[4:5] op_sel_hi:[0,1]
	v_pk_mul_f32 v[4:5], v[10:11], v[4:5] op_sel_hi:[0,1]
                                        ; implicit-def: $vgpr10
	s_wait_kmcnt 0x0
	s_delay_alu instid0(VALU_DEP_3) | instskip(NEXT) | instid1(VALU_DEP_3)
	v_lshl_add_u64 v[6:7], v[6:7], 3, s[2:3]
	v_pk_fma_f32 v[0:1], v[2:3], v[0:1], v[12:13] op_sel_hi:[1,0,1]
	s_delay_alu instid0(VALU_DEP_3)
	v_pk_fma_f32 v[2:3], v[2:3], v[8:9], v[4:5] op_sel_hi:[1,0,1]
                                        ; implicit-def: $vgpr4_vgpr5
                                        ; implicit-def: $vgpr12
                                        ; implicit-def: $vgpr8
	global_store_b128 v[6:7], v[0:3], off
                                        ; implicit-def: $vgpr6
                                        ; implicit-def: $vgpr2_vgpr3
                                        ; implicit-def: $vgpr0
.LBB161_17:
	s_wait_xcnt 0x0
	s_and_not1_saveexec_b32 s0, s0
	s_cbranch_execz .LBB161_19
; %bb.18:
	v_dual_mov_b32 v19, v2 :: v_dual_lshlrev_b32 v6, 1, v6
	v_xor_b32_e32 v18, 0x80000000, v3
	s_delay_alu instid0(VALU_DEP_2) | instskip(NEXT) | instid1(VALU_DEP_2)
	v_ashrrev_i32_e32 v7, 31, v6
	v_pk_mul_f32 v[12:13], v[12:13], v[18:19] op_sel_hi:[0,1]
	v_pk_mul_f32 v[10:11], v[10:11], v[18:19] op_sel_hi:[0,1]
	s_delay_alu instid0(VALU_DEP_2) | instskip(NEXT) | instid1(VALU_DEP_2)
	v_pk_fma_f32 v[0:1], v[2:3], v[0:1], v[12:13] op_sel_hi:[1,0,1]
	v_pk_fma_f32 v[2:3], v[2:3], v[8:9], v[10:11] op_sel_hi:[1,0,1]
	v_mov_b32_e32 v9, v4
	s_wait_kmcnt 0x0
	v_lshl_add_u64 v[6:7], v[6:7], 3, s[2:3]
	v_xor_b32_e32 v8, 0x80000000, v5
	global_load_b128 v[14:17], v[6:7], off
	s_wait_loadcnt 0x0
	v_pk_fma_f32 v[0:1], v[4:5], v[14:15], v[0:1] op_sel_hi:[1,0,1]
	v_pk_fma_f32 v[2:3], v[4:5], v[16:17], v[2:3] op_sel_hi:[1,0,1]
	v_mov_b32_e32 v4, v17
	s_delay_alu instid0(VALU_DEP_3) | instskip(NEXT) | instid1(VALU_DEP_2)
	v_pk_fma_f32 v[0:1], v[8:9], v[14:15], v[0:1] op_sel:[0,1,0]
	v_pk_fma_f32 v[2:3], v[8:9], v[4:5], v[2:3] op_sel_hi:[1,0,1]
	global_store_b128 v[6:7], v[0:3], off
.LBB161_19:
	s_endpgm
	.section	.rodata,"a",@progbits
	.p2align	6, 0x0
	.amdhsa_kernel _ZN9rocsparseL19gebsrmvn_2xn_kernelILj128ELj3ELj64E21rocsparse_complex_numIfEEEvi20rocsparse_direction_NS_24const_host_device_scalarIT2_EEPKiS8_PKS5_SA_S6_PS5_21rocsparse_index_base_b
		.amdhsa_group_segment_fixed_size 0
		.amdhsa_private_segment_fixed_size 0
		.amdhsa_kernarg_size 72
		.amdhsa_user_sgpr_count 2
		.amdhsa_user_sgpr_dispatch_ptr 0
		.amdhsa_user_sgpr_queue_ptr 0
		.amdhsa_user_sgpr_kernarg_segment_ptr 1
		.amdhsa_user_sgpr_dispatch_id 0
		.amdhsa_user_sgpr_kernarg_preload_length 0
		.amdhsa_user_sgpr_kernarg_preload_offset 0
		.amdhsa_user_sgpr_private_segment_size 0
		.amdhsa_wavefront_size32 1
		.amdhsa_uses_dynamic_stack 0
		.amdhsa_enable_private_segment 0
		.amdhsa_system_sgpr_workgroup_id_x 1
		.amdhsa_system_sgpr_workgroup_id_y 0
		.amdhsa_system_sgpr_workgroup_id_z 0
		.amdhsa_system_sgpr_workgroup_info 0
		.amdhsa_system_vgpr_workitem_id 0
		.amdhsa_next_free_vgpr 36
		.amdhsa_next_free_sgpr 14
		.amdhsa_named_barrier_count 0
		.amdhsa_reserve_vcc 1
		.amdhsa_float_round_mode_32 0
		.amdhsa_float_round_mode_16_64 0
		.amdhsa_float_denorm_mode_32 3
		.amdhsa_float_denorm_mode_16_64 3
		.amdhsa_fp16_overflow 0
		.amdhsa_memory_ordered 1
		.amdhsa_forward_progress 1
		.amdhsa_inst_pref_size 17
		.amdhsa_round_robin_scheduling 0
		.amdhsa_exception_fp_ieee_invalid_op 0
		.amdhsa_exception_fp_denorm_src 0
		.amdhsa_exception_fp_ieee_div_zero 0
		.amdhsa_exception_fp_ieee_overflow 0
		.amdhsa_exception_fp_ieee_underflow 0
		.amdhsa_exception_fp_ieee_inexact 0
		.amdhsa_exception_int_div_zero 0
	.end_amdhsa_kernel
	.section	.text._ZN9rocsparseL19gebsrmvn_2xn_kernelILj128ELj3ELj64E21rocsparse_complex_numIfEEEvi20rocsparse_direction_NS_24const_host_device_scalarIT2_EEPKiS8_PKS5_SA_S6_PS5_21rocsparse_index_base_b,"axG",@progbits,_ZN9rocsparseL19gebsrmvn_2xn_kernelILj128ELj3ELj64E21rocsparse_complex_numIfEEEvi20rocsparse_direction_NS_24const_host_device_scalarIT2_EEPKiS8_PKS5_SA_S6_PS5_21rocsparse_index_base_b,comdat
.Lfunc_end161:
	.size	_ZN9rocsparseL19gebsrmvn_2xn_kernelILj128ELj3ELj64E21rocsparse_complex_numIfEEEvi20rocsparse_direction_NS_24const_host_device_scalarIT2_EEPKiS8_PKS5_SA_S6_PS5_21rocsparse_index_base_b, .Lfunc_end161-_ZN9rocsparseL19gebsrmvn_2xn_kernelILj128ELj3ELj64E21rocsparse_complex_numIfEEEvi20rocsparse_direction_NS_24const_host_device_scalarIT2_EEPKiS8_PKS5_SA_S6_PS5_21rocsparse_index_base_b
                                        ; -- End function
	.set _ZN9rocsparseL19gebsrmvn_2xn_kernelILj128ELj3ELj64E21rocsparse_complex_numIfEEEvi20rocsparse_direction_NS_24const_host_device_scalarIT2_EEPKiS8_PKS5_SA_S6_PS5_21rocsparse_index_base_b.num_vgpr, 36
	.set _ZN9rocsparseL19gebsrmvn_2xn_kernelILj128ELj3ELj64E21rocsparse_complex_numIfEEEvi20rocsparse_direction_NS_24const_host_device_scalarIT2_EEPKiS8_PKS5_SA_S6_PS5_21rocsparse_index_base_b.num_agpr, 0
	.set _ZN9rocsparseL19gebsrmvn_2xn_kernelILj128ELj3ELj64E21rocsparse_complex_numIfEEEvi20rocsparse_direction_NS_24const_host_device_scalarIT2_EEPKiS8_PKS5_SA_S6_PS5_21rocsparse_index_base_b.numbered_sgpr, 14
	.set _ZN9rocsparseL19gebsrmvn_2xn_kernelILj128ELj3ELj64E21rocsparse_complex_numIfEEEvi20rocsparse_direction_NS_24const_host_device_scalarIT2_EEPKiS8_PKS5_SA_S6_PS5_21rocsparse_index_base_b.num_named_barrier, 0
	.set _ZN9rocsparseL19gebsrmvn_2xn_kernelILj128ELj3ELj64E21rocsparse_complex_numIfEEEvi20rocsparse_direction_NS_24const_host_device_scalarIT2_EEPKiS8_PKS5_SA_S6_PS5_21rocsparse_index_base_b.private_seg_size, 0
	.set _ZN9rocsparseL19gebsrmvn_2xn_kernelILj128ELj3ELj64E21rocsparse_complex_numIfEEEvi20rocsparse_direction_NS_24const_host_device_scalarIT2_EEPKiS8_PKS5_SA_S6_PS5_21rocsparse_index_base_b.uses_vcc, 1
	.set _ZN9rocsparseL19gebsrmvn_2xn_kernelILj128ELj3ELj64E21rocsparse_complex_numIfEEEvi20rocsparse_direction_NS_24const_host_device_scalarIT2_EEPKiS8_PKS5_SA_S6_PS5_21rocsparse_index_base_b.uses_flat_scratch, 1
	.set _ZN9rocsparseL19gebsrmvn_2xn_kernelILj128ELj3ELj64E21rocsparse_complex_numIfEEEvi20rocsparse_direction_NS_24const_host_device_scalarIT2_EEPKiS8_PKS5_SA_S6_PS5_21rocsparse_index_base_b.has_dyn_sized_stack, 0
	.set _ZN9rocsparseL19gebsrmvn_2xn_kernelILj128ELj3ELj64E21rocsparse_complex_numIfEEEvi20rocsparse_direction_NS_24const_host_device_scalarIT2_EEPKiS8_PKS5_SA_S6_PS5_21rocsparse_index_base_b.has_recursion, 0
	.set _ZN9rocsparseL19gebsrmvn_2xn_kernelILj128ELj3ELj64E21rocsparse_complex_numIfEEEvi20rocsparse_direction_NS_24const_host_device_scalarIT2_EEPKiS8_PKS5_SA_S6_PS5_21rocsparse_index_base_b.has_indirect_call, 0
	.section	.AMDGPU.csdata,"",@progbits
; Kernel info:
; codeLenInByte = 2064
; TotalNumSgprs: 16
; NumVgprs: 36
; ScratchSize: 0
; MemoryBound: 0
; FloatMode: 240
; IeeeMode: 1
; LDSByteSize: 0 bytes/workgroup (compile time only)
; SGPRBlocks: 0
; VGPRBlocks: 2
; NumSGPRsForWavesPerEU: 16
; NumVGPRsForWavesPerEU: 36
; NamedBarCnt: 0
; Occupancy: 16
; WaveLimiterHint : 1
; COMPUTE_PGM_RSRC2:SCRATCH_EN: 0
; COMPUTE_PGM_RSRC2:USER_SGPR: 2
; COMPUTE_PGM_RSRC2:TRAP_HANDLER: 0
; COMPUTE_PGM_RSRC2:TGID_X_EN: 1
; COMPUTE_PGM_RSRC2:TGID_Y_EN: 0
; COMPUTE_PGM_RSRC2:TGID_Z_EN: 0
; COMPUTE_PGM_RSRC2:TIDIG_COMP_CNT: 0
	.section	.text._ZN9rocsparseL19gebsrmvn_2xn_kernelILj128ELj4ELj4E21rocsparse_complex_numIfEEEvi20rocsparse_direction_NS_24const_host_device_scalarIT2_EEPKiS8_PKS5_SA_S6_PS5_21rocsparse_index_base_b,"axG",@progbits,_ZN9rocsparseL19gebsrmvn_2xn_kernelILj128ELj4ELj4E21rocsparse_complex_numIfEEEvi20rocsparse_direction_NS_24const_host_device_scalarIT2_EEPKiS8_PKS5_SA_S6_PS5_21rocsparse_index_base_b,comdat
	.globl	_ZN9rocsparseL19gebsrmvn_2xn_kernelILj128ELj4ELj4E21rocsparse_complex_numIfEEEvi20rocsparse_direction_NS_24const_host_device_scalarIT2_EEPKiS8_PKS5_SA_S6_PS5_21rocsparse_index_base_b ; -- Begin function _ZN9rocsparseL19gebsrmvn_2xn_kernelILj128ELj4ELj4E21rocsparse_complex_numIfEEEvi20rocsparse_direction_NS_24const_host_device_scalarIT2_EEPKiS8_PKS5_SA_S6_PS5_21rocsparse_index_base_b
	.p2align	8
	.type	_ZN9rocsparseL19gebsrmvn_2xn_kernelILj128ELj4ELj4E21rocsparse_complex_numIfEEEvi20rocsparse_direction_NS_24const_host_device_scalarIT2_EEPKiS8_PKS5_SA_S6_PS5_21rocsparse_index_base_b,@function
_ZN9rocsparseL19gebsrmvn_2xn_kernelILj128ELj4ELj4E21rocsparse_complex_numIfEEEvi20rocsparse_direction_NS_24const_host_device_scalarIT2_EEPKiS8_PKS5_SA_S6_PS5_21rocsparse_index_base_b: ; @_ZN9rocsparseL19gebsrmvn_2xn_kernelILj128ELj4ELj4E21rocsparse_complex_numIfEEEvi20rocsparse_direction_NS_24const_host_device_scalarIT2_EEPKiS8_PKS5_SA_S6_PS5_21rocsparse_index_base_b
; %bb.0:
	s_clause 0x2
	s_load_b64 s[12:13], s[0:1], 0x40
	s_load_b64 s[2:3], s[0:1], 0x8
	;; [unrolled: 1-line block ×3, first 2 shown]
	v_mov_b32_e32 v1, 0
	s_add_nc_u64 s[6:7], s[0:1], 8
	s_add_nc_u64 s[8:9], s[0:1], 48
	s_wait_kmcnt 0x0
	s_bitcmp1_b32 s13, 0
	s_cselect_b32 s3, s7, s3
	s_cselect_b32 s2, s6, s2
	;; [unrolled: 1-line block ×4, first 2 shown]
	s_clause 0x1
	flat_load_b64 v[2:3], v1, s[2:3]
	flat_load_b64 v[4:5], v1, s[4:5]
	s_wait_loadcnt_dscnt 0x101
	v_cmp_eq_f32_e32 vcc_lo, 0, v2
	v_cmp_eq_f32_e64 s2, 0, v3
	s_wait_loadcnt_dscnt 0x0
	v_cmp_eq_f32_e64 s3, 1.0, v4
	v_cmp_eq_f32_e64 s4, 0, v5
	s_and_b32 s2, vcc_lo, s2
	s_and_b32 s3, s3, s4
	s_delay_alu instid0(SALU_CYCLE_1) | instskip(NEXT) | instid1(SALU_CYCLE_1)
	s_and_b32 s2, s2, s3
	s_xor_b32 s2, s2, -1
	s_delay_alu instid0(SALU_CYCLE_1)
	s_and_saveexec_b32 s3, s2
	s_cbranch_execz .LBB162_19
; %bb.1:
	s_load_b64 s[2:3], s[0:1], 0x0
	s_bfe_u32 s4, ttmp6, 0x4000c
	s_and_b32 s5, ttmp6, 15
	s_add_co_i32 s4, s4, 1
	s_getreg_b32 s6, hwreg(HW_REG_IB_STS2, 6, 4)
	s_mul_i32 s4, ttmp9, s4
	v_lshrrev_b32_e32 v1, 2, v0
	s_add_co_i32 s5, s5, s4
	s_cmp_eq_u32 s6, 0
	s_cselect_b32 s4, ttmp9, s5
	s_delay_alu instid0(VALU_DEP_1) | instid1(SALU_CYCLE_1)
	v_lshl_or_b32 v6, s4, 5, v1
	s_wait_kmcnt 0x0
	s_delay_alu instid0(VALU_DEP_1)
	v_cmp_gt_i32_e32 vcc_lo, s2, v6
	s_and_b32 exec_lo, exec_lo, vcc_lo
	s_cbranch_execz .LBB162_19
; %bb.2:
	s_load_b256 s[4:11], s[0:1], 0x10
	v_ashrrev_i32_e32 v7, 31, v6
	s_cmp_lg_u32 s3, 0
	s_wait_kmcnt 0x0
	s_delay_alu instid0(VALU_DEP_1)
	v_lshl_add_u64 v[8:9], v[6:7], 2, s[4:5]
	v_and_b32_e32 v7, 3, v0
	global_load_b64 v[8:9], v[8:9], off
	s_wait_loadcnt 0x0
	v_subrev_nc_u32_e32 v0, s12, v8
	v_subrev_nc_u32_e32 v12, s12, v9
	s_delay_alu instid0(VALU_DEP_2) | instskip(NEXT) | instid1(VALU_DEP_1)
	v_add_nc_u32_e32 v13, v0, v7
	v_cmp_lt_i32_e64 s2, v13, v12
	s_cbranch_scc0 .LBB162_8
; %bb.3:
	v_mov_b32_e32 v9, 0
	s_delay_alu instid0(VALU_DEP_1)
	v_dual_mov_b32 v8, v9 :: v_dual_mov_b32 v1, v9
	v_mov_b32_e32 v0, v9
	s_and_saveexec_b32 s3, s2
	s_cbranch_execz .LBB162_7
; %bb.4:
	v_dual_mov_b32 v11, 0 :: v_dual_lshlrev_b32 v10, 3, v13
	v_mov_b32_e32 v14, v13
	s_mov_b32 s4, 0
	s_delay_alu instid0(VALU_DEP_2)
	v_dual_mov_b32 v0, v11 :: v_dual_mov_b32 v1, v11
	v_dual_mov_b32 v8, v11 :: v_dual_mov_b32 v9, v11
.LBB162_5:                              ; =>This Inner Loop Header: Depth=1
	global_load_b32 v15, v14, s[6:7] scale_offset
	v_lshl_add_u64 v[40:41], v[10:11], 3, s[8:9]
	v_add_nc_u32_e32 v10, 32, v10
	s_wait_loadcnt 0x0
	v_subrev_nc_u32_e32 v15, s12, v15
	s_delay_alu instid0(VALU_DEP_1) | instskip(NEXT) | instid1(VALU_DEP_1)
	v_dual_mov_b32 v17, v11 :: v_dual_lshlrev_b32 v16, 2, v15
	v_lshl_add_u64 v[42:43], v[16:17], 3, s[10:11]
	s_clause 0x1
	global_load_b128 v[16:19], v[40:41], off
	global_load_b128 v[20:23], v[40:41], off offset:16
	s_clause 0x1
	global_load_b128 v[24:27], v[42:43], off
	global_load_b128 v[28:31], v[42:43], off offset:16
	s_clause 0x1
	global_load_b128 v[32:35], v[40:41], off offset:32
	global_load_b128 v[36:39], v[40:41], off offset:48
	v_add_nc_u32_e32 v14, 4, v14
	s_wait_loadcnt 0x5
	s_wait_xcnt 0x0
	v_xor_b32_e32 v40, 0x80000000, v19
	v_mov_b32_e32 v41, v18
	s_wait_loadcnt 0x3
	v_pk_fma_f32 v[8:9], v[16:17], v[24:25], v[8:9] op_sel_hi:[1,0,1]
	v_pk_fma_f32 v[0:1], v[18:19], v[24:25], v[0:1] op_sel_hi:[1,0,1]
	v_mov_b32_e32 v18, v27
	s_delay_alu instid0(VALU_DEP_3) | instskip(SKIP_1) | instid1(VALU_DEP_4)
	v_pk_fma_f32 v[8:9], v[16:17], v[24:25], v[8:9] op_sel:[1,1,0] op_sel_hi:[0,1,1] neg_lo:[1,0,0]
	v_mov_b32_e32 v17, v22
	v_pk_fma_f32 v[0:1], v[40:41], v[24:25], v[0:1] op_sel:[0,1,0]
	v_xor_b32_e32 v16, 0x80000000, v23
	s_delay_alu instid0(VALU_DEP_4) | instskip(NEXT) | instid1(VALU_DEP_3)
	v_pk_fma_f32 v[8:9], v[20:21], v[26:27], v[8:9] op_sel_hi:[1,0,1]
	v_pk_fma_f32 v[0:1], v[22:23], v[26:27], v[0:1] op_sel_hi:[1,0,1]
	s_delay_alu instid0(VALU_DEP_1)
	v_pk_fma_f32 v[0:1], v[16:17], v[18:19], v[0:1] op_sel_hi:[1,0,1]
	s_wait_loadcnt 0x1
	v_mov_b32_e32 v17, v34
	v_pk_fma_f32 v[8:9], v[20:21], v[18:19], v[8:9] op_sel:[1,0,0] op_sel_hi:[0,0,1] neg_lo:[1,0,0]
	v_xor_b32_e32 v16, 0x80000000, v35
	v_mov_b32_e32 v18, v31
	v_pk_fma_f32 v[0:1], v[34:35], v[28:29], v[0:1] op_sel_hi:[1,0,1]
	s_delay_alu instid0(VALU_DEP_4) | instskip(NEXT) | instid1(VALU_DEP_2)
	v_pk_fma_f32 v[8:9], v[32:33], v[28:29], v[8:9] op_sel_hi:[1,0,1]
	v_pk_fma_f32 v[0:1], v[16:17], v[28:29], v[0:1] op_sel:[0,1,0]
	s_wait_loadcnt 0x0
	v_xor_b32_e32 v16, 0x80000000, v39
	s_delay_alu instid0(VALU_DEP_3) | instskip(SKIP_3) | instid1(VALU_DEP_4)
	v_pk_fma_f32 v[8:9], v[32:33], v[28:29], v[8:9] op_sel:[1,1,0] op_sel_hi:[0,1,1] neg_lo:[1,0,0]
	v_mov_b32_e32 v17, v38
	v_cmp_ge_i32_e32 vcc_lo, v14, v12
	v_pk_fma_f32 v[0:1], v[38:39], v[30:31], v[0:1] op_sel_hi:[1,0,1]
	v_pk_fma_f32 v[8:9], v[36:37], v[30:31], v[8:9] op_sel_hi:[1,0,1]
	s_or_b32 s4, vcc_lo, s4
	s_delay_alu instid0(VALU_DEP_2) | instskip(NEXT) | instid1(VALU_DEP_2)
	v_pk_fma_f32 v[0:1], v[16:17], v[18:19], v[0:1] op_sel_hi:[1,0,1]
	v_pk_fma_f32 v[8:9], v[36:37], v[18:19], v[8:9] op_sel:[1,0,0] op_sel_hi:[0,0,1] neg_lo:[1,0,0]
	s_and_not1_b32 exec_lo, exec_lo, s4
	s_cbranch_execnz .LBB162_5
; %bb.6:
	s_or_b32 exec_lo, exec_lo, s4
.LBB162_7:
	s_delay_alu instid0(SALU_CYCLE_1)
	s_or_b32 exec_lo, exec_lo, s3
	s_cbranch_execz .LBB162_9
	s_branch .LBB162_14
.LBB162_8:
                                        ; implicit-def: $vgpr9
                                        ; implicit-def: $vgpr1
.LBB162_9:
	v_mov_b32_e32 v9, 0
	s_delay_alu instid0(VALU_DEP_1)
	v_dual_mov_b32 v8, v9 :: v_dual_mov_b32 v1, v9
	v_mov_b32_e32 v0, v9
	s_and_saveexec_b32 s3, s2
	s_cbranch_execz .LBB162_13
; %bb.10:
	v_dual_mov_b32 v11, 0 :: v_dual_lshlrev_b32 v10, 3, v13
	s_mov_b32 s2, 0
	s_delay_alu instid0(VALU_DEP_1)
	v_dual_mov_b32 v0, v11 :: v_dual_mov_b32 v1, v11
	v_dual_mov_b32 v8, v11 :: v_dual_mov_b32 v9, v11
.LBB162_11:                             ; =>This Inner Loop Header: Depth=1
	global_load_b32 v14, v13, s[6:7] scale_offset
	v_lshl_add_u64 v[38:39], v[10:11], 3, s[8:9]
	s_wait_xcnt 0x0
	v_dual_add_nc_u32 v13, 4, v13 :: v_dual_add_nc_u32 v10, 32, v10
	s_delay_alu instid0(VALU_DEP_1) | instskip(SKIP_3) | instid1(VALU_DEP_1)
	v_cmp_ge_i32_e32 vcc_lo, v13, v12
	s_or_b32 s2, vcc_lo, s2
	s_wait_loadcnt 0x0
	v_subrev_nc_u32_e32 v14, s12, v14
	v_dual_mov_b32 v19, v11 :: v_dual_lshlrev_b32 v18, 2, v14
	global_load_b128 v[14:17], v[38:39], off offset:48
	v_lshl_add_u64 v[40:41], v[18:19], 3, s[10:11]
	s_clause 0x2
	global_load_b128 v[18:21], v[38:39], off offset:32
	global_load_b128 v[22:25], v[38:39], off offset:16
	global_load_b128 v[26:29], v[38:39], off
	s_clause 0x1
	global_load_b128 v[30:33], v[40:41], off
	global_load_b128 v[34:37], v[40:41], off offset:16
	s_wait_loadcnt 0x2
	s_wait_xcnt 0x2
	v_xor_b32_e32 v38, 0x80000000, v29
	s_wait_loadcnt 0x1
	v_pk_fma_f32 v[8:9], v[26:27], v[30:31], v[8:9] op_sel_hi:[1,0,1]
	v_pk_fma_f32 v[0:1], v[18:19], v[30:31], v[0:1] op_sel_hi:[1,0,1]
	v_mov_b32_e32 v39, v28
	s_delay_alu instid0(VALU_DEP_3) | instskip(NEXT) | instid1(VALU_DEP_3)
	v_pk_fma_f32 v[8:9], v[26:27], v[30:31], v[8:9] op_sel:[1,1,0] op_sel_hi:[0,1,1] neg_lo:[1,0,0]
	v_pk_fma_f32 v[0:1], v[18:19], v[30:31], v[0:1] op_sel:[1,1,0] op_sel_hi:[0,1,1] neg_lo:[1,0,0]
	v_xor_b32_e32 v18, 0x80000000, v21
	v_dual_mov_b32 v19, v20 :: v_dual_mov_b32 v26, v33
	s_delay_alu instid0(VALU_DEP_4) | instskip(NEXT) | instid1(VALU_DEP_4)
	v_pk_fma_f32 v[8:9], v[28:29], v[32:33], v[8:9] op_sel_hi:[1,0,1]
	v_pk_fma_f32 v[0:1], v[20:21], v[32:33], v[0:1] op_sel_hi:[1,0,1]
	s_wait_loadcnt 0x0
	v_mov_b32_e32 v20, v37
	s_delay_alu instid0(VALU_DEP_3) | instskip(NEXT) | instid1(VALU_DEP_3)
	v_pk_fma_f32 v[8:9], v[38:39], v[26:27], v[8:9] op_sel_hi:[1,0,1]
	v_pk_fma_f32 v[0:1], v[18:19], v[26:27], v[0:1] op_sel_hi:[1,0,1]
	v_xor_b32_e32 v18, 0x80000000, v25
	v_mov_b32_e32 v19, v24
	s_delay_alu instid0(VALU_DEP_4) | instskip(NEXT) | instid1(VALU_DEP_4)
	v_pk_fma_f32 v[8:9], v[22:23], v[34:35], v[8:9] op_sel_hi:[1,0,1]
	v_pk_fma_f32 v[0:1], v[14:15], v[34:35], v[0:1] op_sel_hi:[1,0,1]
	s_delay_alu instid0(VALU_DEP_2) | instskip(NEXT) | instid1(VALU_DEP_2)
	v_pk_fma_f32 v[8:9], v[22:23], v[34:35], v[8:9] op_sel:[1,1,0] op_sel_hi:[0,1,1] neg_lo:[1,0,0]
	v_pk_fma_f32 v[0:1], v[14:15], v[34:35], v[0:1] op_sel:[1,1,0] op_sel_hi:[0,1,1] neg_lo:[1,0,0]
	v_xor_b32_e32 v14, 0x80000000, v17
	v_mov_b32_e32 v15, v16
	s_delay_alu instid0(VALU_DEP_4) | instskip(NEXT) | instid1(VALU_DEP_4)
	v_pk_fma_f32 v[8:9], v[24:25], v[36:37], v[8:9] op_sel_hi:[1,0,1]
	v_pk_fma_f32 v[0:1], v[16:17], v[36:37], v[0:1] op_sel_hi:[1,0,1]
	s_delay_alu instid0(VALU_DEP_2) | instskip(NEXT) | instid1(VALU_DEP_2)
	v_pk_fma_f32 v[8:9], v[18:19], v[20:21], v[8:9] op_sel_hi:[1,0,1]
	v_pk_fma_f32 v[0:1], v[14:15], v[20:21], v[0:1] op_sel_hi:[1,0,1]
	s_and_not1_b32 exec_lo, exec_lo, s2
	s_cbranch_execnz .LBB162_11
; %bb.12:
	s_or_b32 exec_lo, exec_lo, s2
.LBB162_13:
	s_delay_alu instid0(SALU_CYCLE_1)
	s_or_b32 exec_lo, exec_lo, s3
.LBB162_14:
	v_mbcnt_lo_u32_b32 v10, -1, 0
	s_delay_alu instid0(VALU_DEP_1) | instskip(SKIP_1) | instid1(VALU_DEP_1)
	v_xor_b32_e32 v15, 1, v10
	v_xor_b32_e32 v11, 2, v10
	v_cmp_gt_i32_e32 vcc_lo, 32, v11
	v_cndmask_b32_e32 v11, v10, v11, vcc_lo
	s_delay_alu instid0(VALU_DEP_4) | instskip(SKIP_2) | instid1(VALU_DEP_2)
	v_cmp_gt_i32_e32 vcc_lo, 32, v15
	v_cndmask_b32_e32 v10, v10, v15, vcc_lo
	v_cmp_eq_u32_e32 vcc_lo, 3, v7
	v_dual_lshlrev_b32 v15, 2, v10 :: v_dual_lshlrev_b32 v11, 2, v11
	ds_bpermute_b32 v12, v11, v8
	s_wait_dscnt 0x0
	v_add_f32_e32 v10, v8, v12
	ds_bpermute_b32 v13, v11, v9
	ds_bpermute_b32 v14, v11, v0
	ds_bpermute_b32 v11, v11, v1
	s_wait_dscnt 0x1
	v_dual_add_f32 v9, v9, v13 :: v_dual_add_f32 v8, v0, v14
	s_wait_dscnt 0x0
	v_add_f32_e32 v1, v1, v11
	ds_bpermute_b32 v0, v15, v10
	ds_bpermute_b32 v12, v15, v9
	;; [unrolled: 1-line block ×4, first 2 shown]
	s_and_b32 exec_lo, exec_lo, vcc_lo
	s_cbranch_execz .LBB162_19
; %bb.15:
	s_load_b64 s[2:3], s[0:1], 0x38
	v_cmp_eq_f32_e32 vcc_lo, 0, v4
	s_wait_xcnt 0x0
	v_cmp_eq_f32_e64 s0, 0, v5
	s_wait_dscnt 0x1
	v_dual_add_f32 v0, v10, v0 :: v_dual_add_f32 v8, v8, v11
	v_add_f32_e32 v12, v9, v12
	s_wait_dscnt 0x0
	v_add_f32_e32 v10, v1, v13
	s_and_b32 s0, vcc_lo, s0
	s_delay_alu instid0(SALU_CYCLE_1) | instskip(NEXT) | instid1(SALU_CYCLE_1)
	s_and_saveexec_b32 s1, s0
	s_xor_b32 s0, exec_lo, s1
	s_cbranch_execz .LBB162_17
; %bb.16:
	v_xor_b32_e32 v4, 0x80000000, v3
	v_dual_mov_b32 v5, v2 :: v_dual_lshlrev_b32 v6, 1, v6
	s_delay_alu instid0(VALU_DEP_1) | instskip(NEXT) | instid1(VALU_DEP_2)
	v_ashrrev_i32_e32 v7, 31, v6
	v_pk_mul_f32 v[12:13], v[12:13], v[4:5] op_sel_hi:[0,1]
	v_pk_mul_f32 v[4:5], v[10:11], v[4:5] op_sel_hi:[0,1]
                                        ; implicit-def: $vgpr10
	s_wait_kmcnt 0x0
	s_delay_alu instid0(VALU_DEP_3) | instskip(NEXT) | instid1(VALU_DEP_3)
	v_lshl_add_u64 v[6:7], v[6:7], 3, s[2:3]
	v_pk_fma_f32 v[0:1], v[2:3], v[0:1], v[12:13] op_sel_hi:[1,0,1]
	s_delay_alu instid0(VALU_DEP_3)
	v_pk_fma_f32 v[2:3], v[2:3], v[8:9], v[4:5] op_sel_hi:[1,0,1]
                                        ; implicit-def: $vgpr4_vgpr5
                                        ; implicit-def: $vgpr12
                                        ; implicit-def: $vgpr8
	global_store_b128 v[6:7], v[0:3], off
                                        ; implicit-def: $vgpr6
                                        ; implicit-def: $vgpr2_vgpr3
                                        ; implicit-def: $vgpr0
.LBB162_17:
	s_wait_xcnt 0x0
	s_and_not1_saveexec_b32 s0, s0
	s_cbranch_execz .LBB162_19
; %bb.18:
	v_dual_mov_b32 v19, v2 :: v_dual_lshlrev_b32 v6, 1, v6
	v_xor_b32_e32 v18, 0x80000000, v3
	s_delay_alu instid0(VALU_DEP_2) | instskip(NEXT) | instid1(VALU_DEP_2)
	v_ashrrev_i32_e32 v7, 31, v6
	v_pk_mul_f32 v[12:13], v[12:13], v[18:19] op_sel_hi:[0,1]
	v_pk_mul_f32 v[10:11], v[10:11], v[18:19] op_sel_hi:[0,1]
	s_delay_alu instid0(VALU_DEP_2) | instskip(NEXT) | instid1(VALU_DEP_2)
	v_pk_fma_f32 v[0:1], v[2:3], v[0:1], v[12:13] op_sel_hi:[1,0,1]
	v_pk_fma_f32 v[2:3], v[2:3], v[8:9], v[10:11] op_sel_hi:[1,0,1]
	v_mov_b32_e32 v9, v4
	s_wait_kmcnt 0x0
	v_lshl_add_u64 v[6:7], v[6:7], 3, s[2:3]
	v_xor_b32_e32 v8, 0x80000000, v5
	global_load_b128 v[14:17], v[6:7], off
	s_wait_loadcnt 0x0
	v_pk_fma_f32 v[0:1], v[4:5], v[14:15], v[0:1] op_sel_hi:[1,0,1]
	v_pk_fma_f32 v[2:3], v[4:5], v[16:17], v[2:3] op_sel_hi:[1,0,1]
	v_mov_b32_e32 v4, v17
	s_delay_alu instid0(VALU_DEP_3) | instskip(NEXT) | instid1(VALU_DEP_2)
	v_pk_fma_f32 v[0:1], v[8:9], v[14:15], v[0:1] op_sel:[0,1,0]
	v_pk_fma_f32 v[2:3], v[8:9], v[4:5], v[2:3] op_sel_hi:[1,0,1]
	global_store_b128 v[6:7], v[0:3], off
.LBB162_19:
	s_endpgm
	.section	.rodata,"a",@progbits
	.p2align	6, 0x0
	.amdhsa_kernel _ZN9rocsparseL19gebsrmvn_2xn_kernelILj128ELj4ELj4E21rocsparse_complex_numIfEEEvi20rocsparse_direction_NS_24const_host_device_scalarIT2_EEPKiS8_PKS5_SA_S6_PS5_21rocsparse_index_base_b
		.amdhsa_group_segment_fixed_size 0
		.amdhsa_private_segment_fixed_size 0
		.amdhsa_kernarg_size 72
		.amdhsa_user_sgpr_count 2
		.amdhsa_user_sgpr_dispatch_ptr 0
		.amdhsa_user_sgpr_queue_ptr 0
		.amdhsa_user_sgpr_kernarg_segment_ptr 1
		.amdhsa_user_sgpr_dispatch_id 0
		.amdhsa_user_sgpr_kernarg_preload_length 0
		.amdhsa_user_sgpr_kernarg_preload_offset 0
		.amdhsa_user_sgpr_private_segment_size 0
		.amdhsa_wavefront_size32 1
		.amdhsa_uses_dynamic_stack 0
		.amdhsa_enable_private_segment 0
		.amdhsa_system_sgpr_workgroup_id_x 1
		.amdhsa_system_sgpr_workgroup_id_y 0
		.amdhsa_system_sgpr_workgroup_id_z 0
		.amdhsa_system_sgpr_workgroup_info 0
		.amdhsa_system_vgpr_workitem_id 0
		.amdhsa_next_free_vgpr 44
		.amdhsa_next_free_sgpr 14
		.amdhsa_named_barrier_count 0
		.amdhsa_reserve_vcc 1
		.amdhsa_float_round_mode_32 0
		.amdhsa_float_round_mode_16_64 0
		.amdhsa_float_denorm_mode_32 3
		.amdhsa_float_denorm_mode_16_64 3
		.amdhsa_fp16_overflow 0
		.amdhsa_memory_ordered 1
		.amdhsa_forward_progress 1
		.amdhsa_inst_pref_size 14
		.amdhsa_round_robin_scheduling 0
		.amdhsa_exception_fp_ieee_invalid_op 0
		.amdhsa_exception_fp_denorm_src 0
		.amdhsa_exception_fp_ieee_div_zero 0
		.amdhsa_exception_fp_ieee_overflow 0
		.amdhsa_exception_fp_ieee_underflow 0
		.amdhsa_exception_fp_ieee_inexact 0
		.amdhsa_exception_int_div_zero 0
	.end_amdhsa_kernel
	.section	.text._ZN9rocsparseL19gebsrmvn_2xn_kernelILj128ELj4ELj4E21rocsparse_complex_numIfEEEvi20rocsparse_direction_NS_24const_host_device_scalarIT2_EEPKiS8_PKS5_SA_S6_PS5_21rocsparse_index_base_b,"axG",@progbits,_ZN9rocsparseL19gebsrmvn_2xn_kernelILj128ELj4ELj4E21rocsparse_complex_numIfEEEvi20rocsparse_direction_NS_24const_host_device_scalarIT2_EEPKiS8_PKS5_SA_S6_PS5_21rocsparse_index_base_b,comdat
.Lfunc_end162:
	.size	_ZN9rocsparseL19gebsrmvn_2xn_kernelILj128ELj4ELj4E21rocsparse_complex_numIfEEEvi20rocsparse_direction_NS_24const_host_device_scalarIT2_EEPKiS8_PKS5_SA_S6_PS5_21rocsparse_index_base_b, .Lfunc_end162-_ZN9rocsparseL19gebsrmvn_2xn_kernelILj128ELj4ELj4E21rocsparse_complex_numIfEEEvi20rocsparse_direction_NS_24const_host_device_scalarIT2_EEPKiS8_PKS5_SA_S6_PS5_21rocsparse_index_base_b
                                        ; -- End function
	.set _ZN9rocsparseL19gebsrmvn_2xn_kernelILj128ELj4ELj4E21rocsparse_complex_numIfEEEvi20rocsparse_direction_NS_24const_host_device_scalarIT2_EEPKiS8_PKS5_SA_S6_PS5_21rocsparse_index_base_b.num_vgpr, 44
	.set _ZN9rocsparseL19gebsrmvn_2xn_kernelILj128ELj4ELj4E21rocsparse_complex_numIfEEEvi20rocsparse_direction_NS_24const_host_device_scalarIT2_EEPKiS8_PKS5_SA_S6_PS5_21rocsparse_index_base_b.num_agpr, 0
	.set _ZN9rocsparseL19gebsrmvn_2xn_kernelILj128ELj4ELj4E21rocsparse_complex_numIfEEEvi20rocsparse_direction_NS_24const_host_device_scalarIT2_EEPKiS8_PKS5_SA_S6_PS5_21rocsparse_index_base_b.numbered_sgpr, 14
	.set _ZN9rocsparseL19gebsrmvn_2xn_kernelILj128ELj4ELj4E21rocsparse_complex_numIfEEEvi20rocsparse_direction_NS_24const_host_device_scalarIT2_EEPKiS8_PKS5_SA_S6_PS5_21rocsparse_index_base_b.num_named_barrier, 0
	.set _ZN9rocsparseL19gebsrmvn_2xn_kernelILj128ELj4ELj4E21rocsparse_complex_numIfEEEvi20rocsparse_direction_NS_24const_host_device_scalarIT2_EEPKiS8_PKS5_SA_S6_PS5_21rocsparse_index_base_b.private_seg_size, 0
	.set _ZN9rocsparseL19gebsrmvn_2xn_kernelILj128ELj4ELj4E21rocsparse_complex_numIfEEEvi20rocsparse_direction_NS_24const_host_device_scalarIT2_EEPKiS8_PKS5_SA_S6_PS5_21rocsparse_index_base_b.uses_vcc, 1
	.set _ZN9rocsparseL19gebsrmvn_2xn_kernelILj128ELj4ELj4E21rocsparse_complex_numIfEEEvi20rocsparse_direction_NS_24const_host_device_scalarIT2_EEPKiS8_PKS5_SA_S6_PS5_21rocsparse_index_base_b.uses_flat_scratch, 1
	.set _ZN9rocsparseL19gebsrmvn_2xn_kernelILj128ELj4ELj4E21rocsparse_complex_numIfEEEvi20rocsparse_direction_NS_24const_host_device_scalarIT2_EEPKiS8_PKS5_SA_S6_PS5_21rocsparse_index_base_b.has_dyn_sized_stack, 0
	.set _ZN9rocsparseL19gebsrmvn_2xn_kernelILj128ELj4ELj4E21rocsparse_complex_numIfEEEvi20rocsparse_direction_NS_24const_host_device_scalarIT2_EEPKiS8_PKS5_SA_S6_PS5_21rocsparse_index_base_b.has_recursion, 0
	.set _ZN9rocsparseL19gebsrmvn_2xn_kernelILj128ELj4ELj4E21rocsparse_complex_numIfEEEvi20rocsparse_direction_NS_24const_host_device_scalarIT2_EEPKiS8_PKS5_SA_S6_PS5_21rocsparse_index_base_b.has_indirect_call, 0
	.section	.AMDGPU.csdata,"",@progbits
; Kernel info:
; codeLenInByte = 1732
; TotalNumSgprs: 16
; NumVgprs: 44
; ScratchSize: 0
; MemoryBound: 0
; FloatMode: 240
; IeeeMode: 1
; LDSByteSize: 0 bytes/workgroup (compile time only)
; SGPRBlocks: 0
; VGPRBlocks: 2
; NumSGPRsForWavesPerEU: 16
; NumVGPRsForWavesPerEU: 44
; NamedBarCnt: 0
; Occupancy: 16
; WaveLimiterHint : 1
; COMPUTE_PGM_RSRC2:SCRATCH_EN: 0
; COMPUTE_PGM_RSRC2:USER_SGPR: 2
; COMPUTE_PGM_RSRC2:TRAP_HANDLER: 0
; COMPUTE_PGM_RSRC2:TGID_X_EN: 1
; COMPUTE_PGM_RSRC2:TGID_Y_EN: 0
; COMPUTE_PGM_RSRC2:TGID_Z_EN: 0
; COMPUTE_PGM_RSRC2:TIDIG_COMP_CNT: 0
	.section	.text._ZN9rocsparseL19gebsrmvn_2xn_kernelILj128ELj4ELj8E21rocsparse_complex_numIfEEEvi20rocsparse_direction_NS_24const_host_device_scalarIT2_EEPKiS8_PKS5_SA_S6_PS5_21rocsparse_index_base_b,"axG",@progbits,_ZN9rocsparseL19gebsrmvn_2xn_kernelILj128ELj4ELj8E21rocsparse_complex_numIfEEEvi20rocsparse_direction_NS_24const_host_device_scalarIT2_EEPKiS8_PKS5_SA_S6_PS5_21rocsparse_index_base_b,comdat
	.globl	_ZN9rocsparseL19gebsrmvn_2xn_kernelILj128ELj4ELj8E21rocsparse_complex_numIfEEEvi20rocsparse_direction_NS_24const_host_device_scalarIT2_EEPKiS8_PKS5_SA_S6_PS5_21rocsparse_index_base_b ; -- Begin function _ZN9rocsparseL19gebsrmvn_2xn_kernelILj128ELj4ELj8E21rocsparse_complex_numIfEEEvi20rocsparse_direction_NS_24const_host_device_scalarIT2_EEPKiS8_PKS5_SA_S6_PS5_21rocsparse_index_base_b
	.p2align	8
	.type	_ZN9rocsparseL19gebsrmvn_2xn_kernelILj128ELj4ELj8E21rocsparse_complex_numIfEEEvi20rocsparse_direction_NS_24const_host_device_scalarIT2_EEPKiS8_PKS5_SA_S6_PS5_21rocsparse_index_base_b,@function
_ZN9rocsparseL19gebsrmvn_2xn_kernelILj128ELj4ELj8E21rocsparse_complex_numIfEEEvi20rocsparse_direction_NS_24const_host_device_scalarIT2_EEPKiS8_PKS5_SA_S6_PS5_21rocsparse_index_base_b: ; @_ZN9rocsparseL19gebsrmvn_2xn_kernelILj128ELj4ELj8E21rocsparse_complex_numIfEEEvi20rocsparse_direction_NS_24const_host_device_scalarIT2_EEPKiS8_PKS5_SA_S6_PS5_21rocsparse_index_base_b
; %bb.0:
	s_clause 0x2
	s_load_b64 s[12:13], s[0:1], 0x40
	s_load_b64 s[2:3], s[0:1], 0x8
	;; [unrolled: 1-line block ×3, first 2 shown]
	v_mov_b32_e32 v1, 0
	s_add_nc_u64 s[6:7], s[0:1], 8
	s_add_nc_u64 s[8:9], s[0:1], 48
	s_wait_kmcnt 0x0
	s_bitcmp1_b32 s13, 0
	s_cselect_b32 s3, s7, s3
	s_cselect_b32 s2, s6, s2
	;; [unrolled: 1-line block ×4, first 2 shown]
	s_clause 0x1
	flat_load_b64 v[2:3], v1, s[2:3]
	flat_load_b64 v[4:5], v1, s[4:5]
	s_wait_loadcnt_dscnt 0x101
	v_cmp_eq_f32_e32 vcc_lo, 0, v2
	v_cmp_eq_f32_e64 s2, 0, v3
	s_wait_loadcnt_dscnt 0x0
	v_cmp_eq_f32_e64 s3, 1.0, v4
	v_cmp_eq_f32_e64 s4, 0, v5
	s_and_b32 s2, vcc_lo, s2
	s_and_b32 s3, s3, s4
	s_delay_alu instid0(SALU_CYCLE_1) | instskip(NEXT) | instid1(SALU_CYCLE_1)
	s_and_b32 s2, s2, s3
	s_xor_b32 s2, s2, -1
	s_delay_alu instid0(SALU_CYCLE_1)
	s_and_saveexec_b32 s3, s2
	s_cbranch_execz .LBB163_19
; %bb.1:
	s_load_b64 s[2:3], s[0:1], 0x0
	s_bfe_u32 s4, ttmp6, 0x4000c
	s_and_b32 s5, ttmp6, 15
	s_add_co_i32 s4, s4, 1
	s_getreg_b32 s6, hwreg(HW_REG_IB_STS2, 6, 4)
	s_mul_i32 s4, ttmp9, s4
	v_lshrrev_b32_e32 v1, 3, v0
	s_add_co_i32 s5, s5, s4
	s_cmp_eq_u32 s6, 0
	s_cselect_b32 s4, ttmp9, s5
	s_delay_alu instid0(VALU_DEP_1) | instid1(SALU_CYCLE_1)
	v_lshl_or_b32 v6, s4, 4, v1
	s_wait_kmcnt 0x0
	s_delay_alu instid0(VALU_DEP_1)
	v_cmp_gt_i32_e32 vcc_lo, s2, v6
	s_and_b32 exec_lo, exec_lo, vcc_lo
	s_cbranch_execz .LBB163_19
; %bb.2:
	s_load_b256 s[4:11], s[0:1], 0x10
	v_ashrrev_i32_e32 v7, 31, v6
	s_cmp_lg_u32 s3, 0
	s_wait_kmcnt 0x0
	s_delay_alu instid0(VALU_DEP_1)
	v_lshl_add_u64 v[8:9], v[6:7], 2, s[4:5]
	v_and_b32_e32 v7, 7, v0
	global_load_b64 v[8:9], v[8:9], off
	s_wait_loadcnt 0x0
	v_subrev_nc_u32_e32 v0, s12, v8
	v_subrev_nc_u32_e32 v12, s12, v9
	s_delay_alu instid0(VALU_DEP_2) | instskip(NEXT) | instid1(VALU_DEP_1)
	v_add_nc_u32_e32 v13, v0, v7
	v_cmp_lt_i32_e64 s2, v13, v12
	s_cbranch_scc0 .LBB163_8
; %bb.3:
	v_mov_b32_e32 v9, 0
	s_delay_alu instid0(VALU_DEP_1)
	v_dual_mov_b32 v8, v9 :: v_dual_mov_b32 v1, v9
	v_mov_b32_e32 v0, v9
	s_and_saveexec_b32 s3, s2
	s_cbranch_execz .LBB163_7
; %bb.4:
	v_dual_mov_b32 v11, 0 :: v_dual_lshlrev_b32 v10, 3, v13
	v_mov_b32_e32 v14, v13
	s_mov_b32 s4, 0
	s_delay_alu instid0(VALU_DEP_2)
	v_dual_mov_b32 v0, v11 :: v_dual_mov_b32 v1, v11
	v_dual_mov_b32 v8, v11 :: v_dual_mov_b32 v9, v11
.LBB163_5:                              ; =>This Inner Loop Header: Depth=1
	global_load_b32 v15, v14, s[6:7] scale_offset
	v_lshl_add_u64 v[40:41], v[10:11], 3, s[8:9]
	v_add_nc_u32_e32 v10, 64, v10
	s_wait_loadcnt 0x0
	v_subrev_nc_u32_e32 v15, s12, v15
	s_delay_alu instid0(VALU_DEP_1) | instskip(NEXT) | instid1(VALU_DEP_1)
	v_dual_mov_b32 v17, v11 :: v_dual_lshlrev_b32 v16, 2, v15
	v_lshl_add_u64 v[42:43], v[16:17], 3, s[10:11]
	s_clause 0x1
	global_load_b128 v[16:19], v[40:41], off
	global_load_b128 v[20:23], v[40:41], off offset:16
	s_clause 0x1
	global_load_b128 v[24:27], v[42:43], off
	global_load_b128 v[28:31], v[42:43], off offset:16
	s_clause 0x1
	global_load_b128 v[32:35], v[40:41], off offset:32
	global_load_b128 v[36:39], v[40:41], off offset:48
	v_add_nc_u32_e32 v14, 8, v14
	s_wait_loadcnt 0x5
	s_wait_xcnt 0x0
	v_xor_b32_e32 v40, 0x80000000, v19
	v_mov_b32_e32 v41, v18
	s_wait_loadcnt 0x3
	v_pk_fma_f32 v[8:9], v[16:17], v[24:25], v[8:9] op_sel_hi:[1,0,1]
	v_pk_fma_f32 v[0:1], v[18:19], v[24:25], v[0:1] op_sel_hi:[1,0,1]
	v_mov_b32_e32 v18, v27
	s_delay_alu instid0(VALU_DEP_3) | instskip(SKIP_1) | instid1(VALU_DEP_4)
	v_pk_fma_f32 v[8:9], v[16:17], v[24:25], v[8:9] op_sel:[1,1,0] op_sel_hi:[0,1,1] neg_lo:[1,0,0]
	v_mov_b32_e32 v17, v22
	v_pk_fma_f32 v[0:1], v[40:41], v[24:25], v[0:1] op_sel:[0,1,0]
	v_xor_b32_e32 v16, 0x80000000, v23
	s_delay_alu instid0(VALU_DEP_4) | instskip(NEXT) | instid1(VALU_DEP_3)
	v_pk_fma_f32 v[8:9], v[20:21], v[26:27], v[8:9] op_sel_hi:[1,0,1]
	v_pk_fma_f32 v[0:1], v[22:23], v[26:27], v[0:1] op_sel_hi:[1,0,1]
	s_delay_alu instid0(VALU_DEP_1)
	v_pk_fma_f32 v[0:1], v[16:17], v[18:19], v[0:1] op_sel_hi:[1,0,1]
	s_wait_loadcnt 0x1
	v_mov_b32_e32 v17, v34
	v_pk_fma_f32 v[8:9], v[20:21], v[18:19], v[8:9] op_sel:[1,0,0] op_sel_hi:[0,0,1] neg_lo:[1,0,0]
	v_xor_b32_e32 v16, 0x80000000, v35
	v_mov_b32_e32 v18, v31
	v_pk_fma_f32 v[0:1], v[34:35], v[28:29], v[0:1] op_sel_hi:[1,0,1]
	s_delay_alu instid0(VALU_DEP_4) | instskip(NEXT) | instid1(VALU_DEP_2)
	v_pk_fma_f32 v[8:9], v[32:33], v[28:29], v[8:9] op_sel_hi:[1,0,1]
	v_pk_fma_f32 v[0:1], v[16:17], v[28:29], v[0:1] op_sel:[0,1,0]
	s_wait_loadcnt 0x0
	v_xor_b32_e32 v16, 0x80000000, v39
	s_delay_alu instid0(VALU_DEP_3) | instskip(SKIP_3) | instid1(VALU_DEP_4)
	v_pk_fma_f32 v[8:9], v[32:33], v[28:29], v[8:9] op_sel:[1,1,0] op_sel_hi:[0,1,1] neg_lo:[1,0,0]
	v_mov_b32_e32 v17, v38
	v_cmp_ge_i32_e32 vcc_lo, v14, v12
	v_pk_fma_f32 v[0:1], v[38:39], v[30:31], v[0:1] op_sel_hi:[1,0,1]
	v_pk_fma_f32 v[8:9], v[36:37], v[30:31], v[8:9] op_sel_hi:[1,0,1]
	s_or_b32 s4, vcc_lo, s4
	s_delay_alu instid0(VALU_DEP_2) | instskip(NEXT) | instid1(VALU_DEP_2)
	v_pk_fma_f32 v[0:1], v[16:17], v[18:19], v[0:1] op_sel_hi:[1,0,1]
	v_pk_fma_f32 v[8:9], v[36:37], v[18:19], v[8:9] op_sel:[1,0,0] op_sel_hi:[0,0,1] neg_lo:[1,0,0]
	s_and_not1_b32 exec_lo, exec_lo, s4
	s_cbranch_execnz .LBB163_5
; %bb.6:
	s_or_b32 exec_lo, exec_lo, s4
.LBB163_7:
	s_delay_alu instid0(SALU_CYCLE_1)
	s_or_b32 exec_lo, exec_lo, s3
	s_cbranch_execz .LBB163_9
	s_branch .LBB163_14
.LBB163_8:
                                        ; implicit-def: $vgpr9
                                        ; implicit-def: $vgpr1
.LBB163_9:
	v_mov_b32_e32 v9, 0
	s_delay_alu instid0(VALU_DEP_1)
	v_dual_mov_b32 v8, v9 :: v_dual_mov_b32 v1, v9
	v_mov_b32_e32 v0, v9
	s_and_saveexec_b32 s3, s2
	s_cbranch_execz .LBB163_13
; %bb.10:
	v_dual_mov_b32 v11, 0 :: v_dual_lshlrev_b32 v10, 3, v13
	s_mov_b32 s2, 0
	s_delay_alu instid0(VALU_DEP_1)
	v_dual_mov_b32 v0, v11 :: v_dual_mov_b32 v1, v11
	v_dual_mov_b32 v8, v11 :: v_dual_mov_b32 v9, v11
.LBB163_11:                             ; =>This Inner Loop Header: Depth=1
	global_load_b32 v14, v13, s[6:7] scale_offset
	v_lshl_add_u64 v[38:39], v[10:11], 3, s[8:9]
	s_wait_xcnt 0x0
	v_dual_add_nc_u32 v13, 8, v13 :: v_dual_add_nc_u32 v10, 64, v10
	s_delay_alu instid0(VALU_DEP_1) | instskip(SKIP_3) | instid1(VALU_DEP_1)
	v_cmp_ge_i32_e32 vcc_lo, v13, v12
	s_or_b32 s2, vcc_lo, s2
	s_wait_loadcnt 0x0
	v_subrev_nc_u32_e32 v14, s12, v14
	v_dual_mov_b32 v19, v11 :: v_dual_lshlrev_b32 v18, 2, v14
	global_load_b128 v[14:17], v[38:39], off offset:48
	v_lshl_add_u64 v[40:41], v[18:19], 3, s[10:11]
	s_clause 0x2
	global_load_b128 v[18:21], v[38:39], off offset:32
	global_load_b128 v[22:25], v[38:39], off offset:16
	global_load_b128 v[26:29], v[38:39], off
	s_clause 0x1
	global_load_b128 v[30:33], v[40:41], off
	global_load_b128 v[34:37], v[40:41], off offset:16
	s_wait_loadcnt 0x2
	s_wait_xcnt 0x2
	v_xor_b32_e32 v38, 0x80000000, v29
	s_wait_loadcnt 0x1
	v_pk_fma_f32 v[8:9], v[26:27], v[30:31], v[8:9] op_sel_hi:[1,0,1]
	v_pk_fma_f32 v[0:1], v[18:19], v[30:31], v[0:1] op_sel_hi:[1,0,1]
	v_mov_b32_e32 v39, v28
	s_delay_alu instid0(VALU_DEP_3) | instskip(NEXT) | instid1(VALU_DEP_3)
	v_pk_fma_f32 v[8:9], v[26:27], v[30:31], v[8:9] op_sel:[1,1,0] op_sel_hi:[0,1,1] neg_lo:[1,0,0]
	v_pk_fma_f32 v[0:1], v[18:19], v[30:31], v[0:1] op_sel:[1,1,0] op_sel_hi:[0,1,1] neg_lo:[1,0,0]
	v_xor_b32_e32 v18, 0x80000000, v21
	v_dual_mov_b32 v19, v20 :: v_dual_mov_b32 v26, v33
	s_delay_alu instid0(VALU_DEP_4) | instskip(NEXT) | instid1(VALU_DEP_4)
	v_pk_fma_f32 v[8:9], v[28:29], v[32:33], v[8:9] op_sel_hi:[1,0,1]
	v_pk_fma_f32 v[0:1], v[20:21], v[32:33], v[0:1] op_sel_hi:[1,0,1]
	s_wait_loadcnt 0x0
	v_mov_b32_e32 v20, v37
	s_delay_alu instid0(VALU_DEP_3) | instskip(NEXT) | instid1(VALU_DEP_3)
	v_pk_fma_f32 v[8:9], v[38:39], v[26:27], v[8:9] op_sel_hi:[1,0,1]
	v_pk_fma_f32 v[0:1], v[18:19], v[26:27], v[0:1] op_sel_hi:[1,0,1]
	v_xor_b32_e32 v18, 0x80000000, v25
	v_mov_b32_e32 v19, v24
	s_delay_alu instid0(VALU_DEP_4) | instskip(NEXT) | instid1(VALU_DEP_4)
	v_pk_fma_f32 v[8:9], v[22:23], v[34:35], v[8:9] op_sel_hi:[1,0,1]
	v_pk_fma_f32 v[0:1], v[14:15], v[34:35], v[0:1] op_sel_hi:[1,0,1]
	s_delay_alu instid0(VALU_DEP_2) | instskip(NEXT) | instid1(VALU_DEP_2)
	v_pk_fma_f32 v[8:9], v[22:23], v[34:35], v[8:9] op_sel:[1,1,0] op_sel_hi:[0,1,1] neg_lo:[1,0,0]
	v_pk_fma_f32 v[0:1], v[14:15], v[34:35], v[0:1] op_sel:[1,1,0] op_sel_hi:[0,1,1] neg_lo:[1,0,0]
	v_xor_b32_e32 v14, 0x80000000, v17
	v_mov_b32_e32 v15, v16
	s_delay_alu instid0(VALU_DEP_4) | instskip(NEXT) | instid1(VALU_DEP_4)
	v_pk_fma_f32 v[8:9], v[24:25], v[36:37], v[8:9] op_sel_hi:[1,0,1]
	v_pk_fma_f32 v[0:1], v[16:17], v[36:37], v[0:1] op_sel_hi:[1,0,1]
	s_delay_alu instid0(VALU_DEP_2) | instskip(NEXT) | instid1(VALU_DEP_2)
	v_pk_fma_f32 v[8:9], v[18:19], v[20:21], v[8:9] op_sel_hi:[1,0,1]
	v_pk_fma_f32 v[0:1], v[14:15], v[20:21], v[0:1] op_sel_hi:[1,0,1]
	s_and_not1_b32 exec_lo, exec_lo, s2
	s_cbranch_execnz .LBB163_11
; %bb.12:
	s_or_b32 exec_lo, exec_lo, s2
.LBB163_13:
	s_delay_alu instid0(SALU_CYCLE_1)
	s_or_b32 exec_lo, exec_lo, s3
.LBB163_14:
	v_mbcnt_lo_u32_b32 v10, -1, 0
	s_delay_alu instid0(VALU_DEP_1) | instskip(SKIP_1) | instid1(VALU_DEP_1)
	v_xor_b32_e32 v15, 2, v10
	v_xor_b32_e32 v11, 4, v10
	v_cmp_gt_i32_e32 vcc_lo, 32, v11
	v_cndmask_b32_e32 v11, v10, v11, vcc_lo
	s_delay_alu instid0(VALU_DEP_1)
	v_lshlrev_b32_e32 v11, 2, v11
	ds_bpermute_b32 v13, v11, v9
	s_wait_dscnt 0x0
	v_add_f32_e32 v9, v9, v13
	ds_bpermute_b32 v12, v11, v8
	ds_bpermute_b32 v14, v11, v0
	;; [unrolled: 1-line block ×3, first 2 shown]
	s_wait_dscnt 0x2
	v_add_f32_e32 v8, v8, v12
	s_wait_dscnt 0x0
	v_dual_add_f32 v12, v0, v14 :: v_dual_add_f32 v11, v1, v11
	v_cmp_gt_i32_e32 vcc_lo, 32, v15
	v_cndmask_b32_e32 v15, v10, v15, vcc_lo
	s_delay_alu instid0(VALU_DEP_1)
	v_lshlrev_b32_e32 v15, 2, v15
	ds_bpermute_b32 v0, v15, v8
	ds_bpermute_b32 v1, v15, v9
	;; [unrolled: 1-line block ×4, first 2 shown]
	s_wait_dscnt 0x3
	v_dual_add_f32 v0, v8, v0 :: v_dual_bitop2_b32 v15, 1, v10 bitop3:0x14
	s_delay_alu instid0(VALU_DEP_1) | instskip(SKIP_4) | instid1(VALU_DEP_2)
	v_cmp_gt_i32_e32 vcc_lo, 32, v15
	s_wait_dscnt 0x0
	v_dual_add_f32 v8, v9, v1 :: v_dual_add_f32 v9, v11, v14
	v_dual_add_f32 v1, v12, v13 :: v_dual_cndmask_b32 v10, v10, v15
	v_cmp_eq_u32_e32 vcc_lo, 7, v7
	v_lshlrev_b32_e32 v15, 2, v10
	ds_bpermute_b32 v12, v15, v0
	ds_bpermute_b32 v13, v15, v8
	;; [unrolled: 1-line block ×4, first 2 shown]
	s_and_b32 exec_lo, exec_lo, vcc_lo
	s_cbranch_execz .LBB163_19
; %bb.15:
	s_load_b64 s[2:3], s[0:1], 0x38
	v_cmp_eq_f32_e32 vcc_lo, 0, v4
	s_wait_xcnt 0x0
	v_cmp_eq_f32_e64 s0, 0, v5
	s_wait_dscnt 0x3
	v_add_f32_e32 v0, v0, v12
	s_wait_dscnt 0x1
	v_dual_add_f32 v12, v8, v13 :: v_dual_add_f32 v8, v1, v10
	s_wait_dscnt 0x0
	v_add_f32_e32 v10, v9, v11
	s_and_b32 s0, vcc_lo, s0
	s_delay_alu instid0(SALU_CYCLE_1) | instskip(NEXT) | instid1(SALU_CYCLE_1)
	s_and_saveexec_b32 s1, s0
	s_xor_b32 s0, exec_lo, s1
	s_cbranch_execz .LBB163_17
; %bb.16:
	v_xor_b32_e32 v4, 0x80000000, v3
	v_dual_mov_b32 v5, v2 :: v_dual_lshlrev_b32 v6, 1, v6
	s_delay_alu instid0(VALU_DEP_1) | instskip(NEXT) | instid1(VALU_DEP_2)
	v_ashrrev_i32_e32 v7, 31, v6
	v_pk_mul_f32 v[12:13], v[12:13], v[4:5] op_sel_hi:[0,1]
	v_pk_mul_f32 v[4:5], v[10:11], v[4:5] op_sel_hi:[0,1]
                                        ; implicit-def: $vgpr10
	s_wait_kmcnt 0x0
	s_delay_alu instid0(VALU_DEP_3) | instskip(NEXT) | instid1(VALU_DEP_3)
	v_lshl_add_u64 v[6:7], v[6:7], 3, s[2:3]
	v_pk_fma_f32 v[0:1], v[2:3], v[0:1], v[12:13] op_sel_hi:[1,0,1]
	s_delay_alu instid0(VALU_DEP_3)
	v_pk_fma_f32 v[2:3], v[2:3], v[8:9], v[4:5] op_sel_hi:[1,0,1]
                                        ; implicit-def: $vgpr4_vgpr5
                                        ; implicit-def: $vgpr12
                                        ; implicit-def: $vgpr8
	global_store_b128 v[6:7], v[0:3], off
                                        ; implicit-def: $vgpr6
                                        ; implicit-def: $vgpr2_vgpr3
                                        ; implicit-def: $vgpr0
.LBB163_17:
	s_wait_xcnt 0x0
	s_and_not1_saveexec_b32 s0, s0
	s_cbranch_execz .LBB163_19
; %bb.18:
	v_dual_mov_b32 v19, v2 :: v_dual_lshlrev_b32 v6, 1, v6
	v_xor_b32_e32 v18, 0x80000000, v3
	s_delay_alu instid0(VALU_DEP_2) | instskip(NEXT) | instid1(VALU_DEP_2)
	v_ashrrev_i32_e32 v7, 31, v6
	v_pk_mul_f32 v[12:13], v[12:13], v[18:19] op_sel_hi:[0,1]
	v_pk_mul_f32 v[10:11], v[10:11], v[18:19] op_sel_hi:[0,1]
	s_delay_alu instid0(VALU_DEP_2) | instskip(NEXT) | instid1(VALU_DEP_2)
	v_pk_fma_f32 v[0:1], v[2:3], v[0:1], v[12:13] op_sel_hi:[1,0,1]
	v_pk_fma_f32 v[2:3], v[2:3], v[8:9], v[10:11] op_sel_hi:[1,0,1]
	v_mov_b32_e32 v9, v4
	s_wait_kmcnt 0x0
	v_lshl_add_u64 v[6:7], v[6:7], 3, s[2:3]
	v_xor_b32_e32 v8, 0x80000000, v5
	global_load_b128 v[14:17], v[6:7], off
	s_wait_loadcnt 0x0
	v_pk_fma_f32 v[0:1], v[4:5], v[14:15], v[0:1] op_sel_hi:[1,0,1]
	v_pk_fma_f32 v[2:3], v[4:5], v[16:17], v[2:3] op_sel_hi:[1,0,1]
	v_mov_b32_e32 v4, v17
	s_delay_alu instid0(VALU_DEP_3) | instskip(NEXT) | instid1(VALU_DEP_2)
	v_pk_fma_f32 v[0:1], v[8:9], v[14:15], v[0:1] op_sel:[0,1,0]
	v_pk_fma_f32 v[2:3], v[8:9], v[4:5], v[2:3] op_sel_hi:[1,0,1]
	global_store_b128 v[6:7], v[0:3], off
.LBB163_19:
	s_endpgm
	.section	.rodata,"a",@progbits
	.p2align	6, 0x0
	.amdhsa_kernel _ZN9rocsparseL19gebsrmvn_2xn_kernelILj128ELj4ELj8E21rocsparse_complex_numIfEEEvi20rocsparse_direction_NS_24const_host_device_scalarIT2_EEPKiS8_PKS5_SA_S6_PS5_21rocsparse_index_base_b
		.amdhsa_group_segment_fixed_size 0
		.amdhsa_private_segment_fixed_size 0
		.amdhsa_kernarg_size 72
		.amdhsa_user_sgpr_count 2
		.amdhsa_user_sgpr_dispatch_ptr 0
		.amdhsa_user_sgpr_queue_ptr 0
		.amdhsa_user_sgpr_kernarg_segment_ptr 1
		.amdhsa_user_sgpr_dispatch_id 0
		.amdhsa_user_sgpr_kernarg_preload_length 0
		.amdhsa_user_sgpr_kernarg_preload_offset 0
		.amdhsa_user_sgpr_private_segment_size 0
		.amdhsa_wavefront_size32 1
		.amdhsa_uses_dynamic_stack 0
		.amdhsa_enable_private_segment 0
		.amdhsa_system_sgpr_workgroup_id_x 1
		.amdhsa_system_sgpr_workgroup_id_y 0
		.amdhsa_system_sgpr_workgroup_id_z 0
		.amdhsa_system_sgpr_workgroup_info 0
		.amdhsa_system_vgpr_workitem_id 0
		.amdhsa_next_free_vgpr 44
		.amdhsa_next_free_sgpr 14
		.amdhsa_named_barrier_count 0
		.amdhsa_reserve_vcc 1
		.amdhsa_float_round_mode_32 0
		.amdhsa_float_round_mode_16_64 0
		.amdhsa_float_denorm_mode_32 3
		.amdhsa_float_denorm_mode_16_64 3
		.amdhsa_fp16_overflow 0
		.amdhsa_memory_ordered 1
		.amdhsa_forward_progress 1
		.amdhsa_inst_pref_size 15
		.amdhsa_round_robin_scheduling 0
		.amdhsa_exception_fp_ieee_invalid_op 0
		.amdhsa_exception_fp_denorm_src 0
		.amdhsa_exception_fp_ieee_div_zero 0
		.amdhsa_exception_fp_ieee_overflow 0
		.amdhsa_exception_fp_ieee_underflow 0
		.amdhsa_exception_fp_ieee_inexact 0
		.amdhsa_exception_int_div_zero 0
	.end_amdhsa_kernel
	.section	.text._ZN9rocsparseL19gebsrmvn_2xn_kernelILj128ELj4ELj8E21rocsparse_complex_numIfEEEvi20rocsparse_direction_NS_24const_host_device_scalarIT2_EEPKiS8_PKS5_SA_S6_PS5_21rocsparse_index_base_b,"axG",@progbits,_ZN9rocsparseL19gebsrmvn_2xn_kernelILj128ELj4ELj8E21rocsparse_complex_numIfEEEvi20rocsparse_direction_NS_24const_host_device_scalarIT2_EEPKiS8_PKS5_SA_S6_PS5_21rocsparse_index_base_b,comdat
.Lfunc_end163:
	.size	_ZN9rocsparseL19gebsrmvn_2xn_kernelILj128ELj4ELj8E21rocsparse_complex_numIfEEEvi20rocsparse_direction_NS_24const_host_device_scalarIT2_EEPKiS8_PKS5_SA_S6_PS5_21rocsparse_index_base_b, .Lfunc_end163-_ZN9rocsparseL19gebsrmvn_2xn_kernelILj128ELj4ELj8E21rocsparse_complex_numIfEEEvi20rocsparse_direction_NS_24const_host_device_scalarIT2_EEPKiS8_PKS5_SA_S6_PS5_21rocsparse_index_base_b
                                        ; -- End function
	.set _ZN9rocsparseL19gebsrmvn_2xn_kernelILj128ELj4ELj8E21rocsparse_complex_numIfEEEvi20rocsparse_direction_NS_24const_host_device_scalarIT2_EEPKiS8_PKS5_SA_S6_PS5_21rocsparse_index_base_b.num_vgpr, 44
	.set _ZN9rocsparseL19gebsrmvn_2xn_kernelILj128ELj4ELj8E21rocsparse_complex_numIfEEEvi20rocsparse_direction_NS_24const_host_device_scalarIT2_EEPKiS8_PKS5_SA_S6_PS5_21rocsparse_index_base_b.num_agpr, 0
	.set _ZN9rocsparseL19gebsrmvn_2xn_kernelILj128ELj4ELj8E21rocsparse_complex_numIfEEEvi20rocsparse_direction_NS_24const_host_device_scalarIT2_EEPKiS8_PKS5_SA_S6_PS5_21rocsparse_index_base_b.numbered_sgpr, 14
	.set _ZN9rocsparseL19gebsrmvn_2xn_kernelILj128ELj4ELj8E21rocsparse_complex_numIfEEEvi20rocsparse_direction_NS_24const_host_device_scalarIT2_EEPKiS8_PKS5_SA_S6_PS5_21rocsparse_index_base_b.num_named_barrier, 0
	.set _ZN9rocsparseL19gebsrmvn_2xn_kernelILj128ELj4ELj8E21rocsparse_complex_numIfEEEvi20rocsparse_direction_NS_24const_host_device_scalarIT2_EEPKiS8_PKS5_SA_S6_PS5_21rocsparse_index_base_b.private_seg_size, 0
	.set _ZN9rocsparseL19gebsrmvn_2xn_kernelILj128ELj4ELj8E21rocsparse_complex_numIfEEEvi20rocsparse_direction_NS_24const_host_device_scalarIT2_EEPKiS8_PKS5_SA_S6_PS5_21rocsparse_index_base_b.uses_vcc, 1
	.set _ZN9rocsparseL19gebsrmvn_2xn_kernelILj128ELj4ELj8E21rocsparse_complex_numIfEEEvi20rocsparse_direction_NS_24const_host_device_scalarIT2_EEPKiS8_PKS5_SA_S6_PS5_21rocsparse_index_base_b.uses_flat_scratch, 1
	.set _ZN9rocsparseL19gebsrmvn_2xn_kernelILj128ELj4ELj8E21rocsparse_complex_numIfEEEvi20rocsparse_direction_NS_24const_host_device_scalarIT2_EEPKiS8_PKS5_SA_S6_PS5_21rocsparse_index_base_b.has_dyn_sized_stack, 0
	.set _ZN9rocsparseL19gebsrmvn_2xn_kernelILj128ELj4ELj8E21rocsparse_complex_numIfEEEvi20rocsparse_direction_NS_24const_host_device_scalarIT2_EEPKiS8_PKS5_SA_S6_PS5_21rocsparse_index_base_b.has_recursion, 0
	.set _ZN9rocsparseL19gebsrmvn_2xn_kernelILj128ELj4ELj8E21rocsparse_complex_numIfEEEvi20rocsparse_direction_NS_24const_host_device_scalarIT2_EEPKiS8_PKS5_SA_S6_PS5_21rocsparse_index_base_b.has_indirect_call, 0
	.section	.AMDGPU.csdata,"",@progbits
; Kernel info:
; codeLenInByte = 1816
; TotalNumSgprs: 16
; NumVgprs: 44
; ScratchSize: 0
; MemoryBound: 0
; FloatMode: 240
; IeeeMode: 1
; LDSByteSize: 0 bytes/workgroup (compile time only)
; SGPRBlocks: 0
; VGPRBlocks: 2
; NumSGPRsForWavesPerEU: 16
; NumVGPRsForWavesPerEU: 44
; NamedBarCnt: 0
; Occupancy: 16
; WaveLimiterHint : 1
; COMPUTE_PGM_RSRC2:SCRATCH_EN: 0
; COMPUTE_PGM_RSRC2:USER_SGPR: 2
; COMPUTE_PGM_RSRC2:TRAP_HANDLER: 0
; COMPUTE_PGM_RSRC2:TGID_X_EN: 1
; COMPUTE_PGM_RSRC2:TGID_Y_EN: 0
; COMPUTE_PGM_RSRC2:TGID_Z_EN: 0
; COMPUTE_PGM_RSRC2:TIDIG_COMP_CNT: 0
	.section	.text._ZN9rocsparseL19gebsrmvn_2xn_kernelILj128ELj4ELj16E21rocsparse_complex_numIfEEEvi20rocsparse_direction_NS_24const_host_device_scalarIT2_EEPKiS8_PKS5_SA_S6_PS5_21rocsparse_index_base_b,"axG",@progbits,_ZN9rocsparseL19gebsrmvn_2xn_kernelILj128ELj4ELj16E21rocsparse_complex_numIfEEEvi20rocsparse_direction_NS_24const_host_device_scalarIT2_EEPKiS8_PKS5_SA_S6_PS5_21rocsparse_index_base_b,comdat
	.globl	_ZN9rocsparseL19gebsrmvn_2xn_kernelILj128ELj4ELj16E21rocsparse_complex_numIfEEEvi20rocsparse_direction_NS_24const_host_device_scalarIT2_EEPKiS8_PKS5_SA_S6_PS5_21rocsparse_index_base_b ; -- Begin function _ZN9rocsparseL19gebsrmvn_2xn_kernelILj128ELj4ELj16E21rocsparse_complex_numIfEEEvi20rocsparse_direction_NS_24const_host_device_scalarIT2_EEPKiS8_PKS5_SA_S6_PS5_21rocsparse_index_base_b
	.p2align	8
	.type	_ZN9rocsparseL19gebsrmvn_2xn_kernelILj128ELj4ELj16E21rocsparse_complex_numIfEEEvi20rocsparse_direction_NS_24const_host_device_scalarIT2_EEPKiS8_PKS5_SA_S6_PS5_21rocsparse_index_base_b,@function
_ZN9rocsparseL19gebsrmvn_2xn_kernelILj128ELj4ELj16E21rocsparse_complex_numIfEEEvi20rocsparse_direction_NS_24const_host_device_scalarIT2_EEPKiS8_PKS5_SA_S6_PS5_21rocsparse_index_base_b: ; @_ZN9rocsparseL19gebsrmvn_2xn_kernelILj128ELj4ELj16E21rocsparse_complex_numIfEEEvi20rocsparse_direction_NS_24const_host_device_scalarIT2_EEPKiS8_PKS5_SA_S6_PS5_21rocsparse_index_base_b
; %bb.0:
	s_clause 0x2
	s_load_b64 s[12:13], s[0:1], 0x40
	s_load_b64 s[2:3], s[0:1], 0x8
	;; [unrolled: 1-line block ×3, first 2 shown]
	v_mov_b32_e32 v1, 0
	s_add_nc_u64 s[6:7], s[0:1], 8
	s_add_nc_u64 s[8:9], s[0:1], 48
	s_wait_kmcnt 0x0
	s_bitcmp1_b32 s13, 0
	s_cselect_b32 s3, s7, s3
	s_cselect_b32 s2, s6, s2
	;; [unrolled: 1-line block ×4, first 2 shown]
	s_clause 0x1
	flat_load_b64 v[2:3], v1, s[2:3]
	flat_load_b64 v[4:5], v1, s[4:5]
	s_wait_loadcnt_dscnt 0x101
	v_cmp_eq_f32_e32 vcc_lo, 0, v2
	v_cmp_eq_f32_e64 s2, 0, v3
	s_wait_loadcnt_dscnt 0x0
	v_cmp_eq_f32_e64 s3, 1.0, v4
	v_cmp_eq_f32_e64 s4, 0, v5
	s_and_b32 s2, vcc_lo, s2
	s_and_b32 s3, s3, s4
	s_delay_alu instid0(SALU_CYCLE_1) | instskip(NEXT) | instid1(SALU_CYCLE_1)
	s_and_b32 s2, s2, s3
	s_xor_b32 s2, s2, -1
	s_delay_alu instid0(SALU_CYCLE_1)
	s_and_saveexec_b32 s3, s2
	s_cbranch_execz .LBB164_19
; %bb.1:
	s_load_b64 s[2:3], s[0:1], 0x0
	s_bfe_u32 s4, ttmp6, 0x4000c
	s_and_b32 s5, ttmp6, 15
	s_add_co_i32 s4, s4, 1
	s_getreg_b32 s6, hwreg(HW_REG_IB_STS2, 6, 4)
	s_mul_i32 s4, ttmp9, s4
	v_lshrrev_b32_e32 v1, 4, v0
	s_add_co_i32 s5, s5, s4
	s_cmp_eq_u32 s6, 0
	s_cselect_b32 s4, ttmp9, s5
	s_delay_alu instid0(VALU_DEP_1) | instid1(SALU_CYCLE_1)
	v_lshl_or_b32 v6, s4, 3, v1
	s_wait_kmcnt 0x0
	s_delay_alu instid0(VALU_DEP_1)
	v_cmp_gt_i32_e32 vcc_lo, s2, v6
	s_and_b32 exec_lo, exec_lo, vcc_lo
	s_cbranch_execz .LBB164_19
; %bb.2:
	s_load_b256 s[4:11], s[0:1], 0x10
	v_ashrrev_i32_e32 v7, 31, v6
	s_cmp_lg_u32 s3, 0
	s_wait_kmcnt 0x0
	s_delay_alu instid0(VALU_DEP_1)
	v_lshl_add_u64 v[8:9], v[6:7], 2, s[4:5]
	v_and_b32_e32 v7, 15, v0
	global_load_b64 v[8:9], v[8:9], off
	s_wait_loadcnt 0x0
	v_subrev_nc_u32_e32 v0, s12, v8
	v_subrev_nc_u32_e32 v12, s12, v9
	s_delay_alu instid0(VALU_DEP_2) | instskip(NEXT) | instid1(VALU_DEP_1)
	v_add_nc_u32_e32 v13, v0, v7
	v_cmp_lt_i32_e64 s2, v13, v12
	s_cbranch_scc0 .LBB164_8
; %bb.3:
	v_mov_b32_e32 v9, 0
	s_delay_alu instid0(VALU_DEP_1)
	v_dual_mov_b32 v8, v9 :: v_dual_mov_b32 v1, v9
	v_mov_b32_e32 v0, v9
	s_and_saveexec_b32 s3, s2
	s_cbranch_execz .LBB164_7
; %bb.4:
	v_dual_mov_b32 v11, 0 :: v_dual_lshlrev_b32 v10, 3, v13
	v_mov_b32_e32 v14, v13
	s_mov_b32 s4, 0
	s_delay_alu instid0(VALU_DEP_2)
	v_dual_mov_b32 v0, v11 :: v_dual_mov_b32 v1, v11
	v_dual_mov_b32 v8, v11 :: v_dual_mov_b32 v9, v11
.LBB164_5:                              ; =>This Inner Loop Header: Depth=1
	global_load_b32 v15, v14, s[6:7] scale_offset
	v_lshl_add_u64 v[40:41], v[10:11], 3, s[8:9]
	v_add_nc_u32_e32 v10, 0x80, v10
	s_wait_loadcnt 0x0
	v_subrev_nc_u32_e32 v15, s12, v15
	s_delay_alu instid0(VALU_DEP_1) | instskip(NEXT) | instid1(VALU_DEP_1)
	v_dual_mov_b32 v17, v11 :: v_dual_lshlrev_b32 v16, 2, v15
	v_lshl_add_u64 v[42:43], v[16:17], 3, s[10:11]
	s_clause 0x1
	global_load_b128 v[16:19], v[40:41], off
	global_load_b128 v[20:23], v[40:41], off offset:16
	s_clause 0x1
	global_load_b128 v[24:27], v[42:43], off
	global_load_b128 v[28:31], v[42:43], off offset:16
	s_clause 0x1
	global_load_b128 v[32:35], v[40:41], off offset:32
	global_load_b128 v[36:39], v[40:41], off offset:48
	v_add_nc_u32_e32 v14, 16, v14
	s_wait_loadcnt 0x5
	s_wait_xcnt 0x0
	v_xor_b32_e32 v40, 0x80000000, v19
	v_mov_b32_e32 v41, v18
	s_wait_loadcnt 0x3
	v_pk_fma_f32 v[8:9], v[16:17], v[24:25], v[8:9] op_sel_hi:[1,0,1]
	v_pk_fma_f32 v[0:1], v[18:19], v[24:25], v[0:1] op_sel_hi:[1,0,1]
	v_mov_b32_e32 v18, v27
	s_delay_alu instid0(VALU_DEP_3) | instskip(SKIP_1) | instid1(VALU_DEP_4)
	v_pk_fma_f32 v[8:9], v[16:17], v[24:25], v[8:9] op_sel:[1,1,0] op_sel_hi:[0,1,1] neg_lo:[1,0,0]
	v_mov_b32_e32 v17, v22
	v_pk_fma_f32 v[0:1], v[40:41], v[24:25], v[0:1] op_sel:[0,1,0]
	v_xor_b32_e32 v16, 0x80000000, v23
	s_delay_alu instid0(VALU_DEP_4) | instskip(NEXT) | instid1(VALU_DEP_3)
	v_pk_fma_f32 v[8:9], v[20:21], v[26:27], v[8:9] op_sel_hi:[1,0,1]
	v_pk_fma_f32 v[0:1], v[22:23], v[26:27], v[0:1] op_sel_hi:[1,0,1]
	s_delay_alu instid0(VALU_DEP_1)
	v_pk_fma_f32 v[0:1], v[16:17], v[18:19], v[0:1] op_sel_hi:[1,0,1]
	s_wait_loadcnt 0x1
	v_mov_b32_e32 v17, v34
	v_pk_fma_f32 v[8:9], v[20:21], v[18:19], v[8:9] op_sel:[1,0,0] op_sel_hi:[0,0,1] neg_lo:[1,0,0]
	v_xor_b32_e32 v16, 0x80000000, v35
	v_mov_b32_e32 v18, v31
	v_pk_fma_f32 v[0:1], v[34:35], v[28:29], v[0:1] op_sel_hi:[1,0,1]
	s_delay_alu instid0(VALU_DEP_4) | instskip(NEXT) | instid1(VALU_DEP_2)
	v_pk_fma_f32 v[8:9], v[32:33], v[28:29], v[8:9] op_sel_hi:[1,0,1]
	v_pk_fma_f32 v[0:1], v[16:17], v[28:29], v[0:1] op_sel:[0,1,0]
	s_wait_loadcnt 0x0
	v_xor_b32_e32 v16, 0x80000000, v39
	s_delay_alu instid0(VALU_DEP_3) | instskip(SKIP_3) | instid1(VALU_DEP_4)
	v_pk_fma_f32 v[8:9], v[32:33], v[28:29], v[8:9] op_sel:[1,1,0] op_sel_hi:[0,1,1] neg_lo:[1,0,0]
	v_mov_b32_e32 v17, v38
	v_cmp_ge_i32_e32 vcc_lo, v14, v12
	v_pk_fma_f32 v[0:1], v[38:39], v[30:31], v[0:1] op_sel_hi:[1,0,1]
	v_pk_fma_f32 v[8:9], v[36:37], v[30:31], v[8:9] op_sel_hi:[1,0,1]
	s_or_b32 s4, vcc_lo, s4
	s_delay_alu instid0(VALU_DEP_2) | instskip(NEXT) | instid1(VALU_DEP_2)
	v_pk_fma_f32 v[0:1], v[16:17], v[18:19], v[0:1] op_sel_hi:[1,0,1]
	v_pk_fma_f32 v[8:9], v[36:37], v[18:19], v[8:9] op_sel:[1,0,0] op_sel_hi:[0,0,1] neg_lo:[1,0,0]
	s_and_not1_b32 exec_lo, exec_lo, s4
	s_cbranch_execnz .LBB164_5
; %bb.6:
	s_or_b32 exec_lo, exec_lo, s4
.LBB164_7:
	s_delay_alu instid0(SALU_CYCLE_1)
	s_or_b32 exec_lo, exec_lo, s3
	s_cbranch_execz .LBB164_9
	s_branch .LBB164_14
.LBB164_8:
                                        ; implicit-def: $vgpr9
                                        ; implicit-def: $vgpr1
.LBB164_9:
	v_mov_b32_e32 v9, 0
	s_delay_alu instid0(VALU_DEP_1)
	v_dual_mov_b32 v8, v9 :: v_dual_mov_b32 v1, v9
	v_mov_b32_e32 v0, v9
	s_and_saveexec_b32 s3, s2
	s_cbranch_execz .LBB164_13
; %bb.10:
	v_dual_mov_b32 v11, 0 :: v_dual_lshlrev_b32 v10, 3, v13
	s_mov_b32 s2, 0
	s_delay_alu instid0(VALU_DEP_1)
	v_dual_mov_b32 v0, v11 :: v_dual_mov_b32 v1, v11
	v_dual_mov_b32 v8, v11 :: v_dual_mov_b32 v9, v11
.LBB164_11:                             ; =>This Inner Loop Header: Depth=1
	global_load_b32 v14, v13, s[6:7] scale_offset
	v_lshl_add_u64 v[38:39], v[10:11], 3, s[8:9]
	v_add_nc_u32_e32 v10, 0x80, v10
	s_wait_xcnt 0x0
	v_add_nc_u32_e32 v13, 16, v13
	s_delay_alu instid0(VALU_DEP_1) | instskip(SKIP_3) | instid1(VALU_DEP_1)
	v_cmp_ge_i32_e32 vcc_lo, v13, v12
	s_or_b32 s2, vcc_lo, s2
	s_wait_loadcnt 0x0
	v_subrev_nc_u32_e32 v14, s12, v14
	v_dual_mov_b32 v19, v11 :: v_dual_lshlrev_b32 v18, 2, v14
	global_load_b128 v[14:17], v[38:39], off offset:48
	v_lshl_add_u64 v[40:41], v[18:19], 3, s[10:11]
	s_clause 0x2
	global_load_b128 v[18:21], v[38:39], off offset:32
	global_load_b128 v[22:25], v[38:39], off offset:16
	global_load_b128 v[26:29], v[38:39], off
	s_clause 0x1
	global_load_b128 v[30:33], v[40:41], off
	global_load_b128 v[34:37], v[40:41], off offset:16
	s_wait_loadcnt 0x2
	s_wait_xcnt 0x2
	v_xor_b32_e32 v38, 0x80000000, v29
	s_wait_loadcnt 0x1
	v_pk_fma_f32 v[8:9], v[26:27], v[30:31], v[8:9] op_sel_hi:[1,0,1]
	v_pk_fma_f32 v[0:1], v[18:19], v[30:31], v[0:1] op_sel_hi:[1,0,1]
	v_mov_b32_e32 v39, v28
	s_delay_alu instid0(VALU_DEP_3) | instskip(NEXT) | instid1(VALU_DEP_3)
	v_pk_fma_f32 v[8:9], v[26:27], v[30:31], v[8:9] op_sel:[1,1,0] op_sel_hi:[0,1,1] neg_lo:[1,0,0]
	v_pk_fma_f32 v[0:1], v[18:19], v[30:31], v[0:1] op_sel:[1,1,0] op_sel_hi:[0,1,1] neg_lo:[1,0,0]
	v_xor_b32_e32 v18, 0x80000000, v21
	v_dual_mov_b32 v19, v20 :: v_dual_mov_b32 v26, v33
	s_delay_alu instid0(VALU_DEP_4) | instskip(NEXT) | instid1(VALU_DEP_4)
	v_pk_fma_f32 v[8:9], v[28:29], v[32:33], v[8:9] op_sel_hi:[1,0,1]
	v_pk_fma_f32 v[0:1], v[20:21], v[32:33], v[0:1] op_sel_hi:[1,0,1]
	s_wait_loadcnt 0x0
	v_mov_b32_e32 v20, v37
	s_delay_alu instid0(VALU_DEP_3) | instskip(NEXT) | instid1(VALU_DEP_3)
	v_pk_fma_f32 v[8:9], v[38:39], v[26:27], v[8:9] op_sel_hi:[1,0,1]
	v_pk_fma_f32 v[0:1], v[18:19], v[26:27], v[0:1] op_sel_hi:[1,0,1]
	v_xor_b32_e32 v18, 0x80000000, v25
	v_mov_b32_e32 v19, v24
	s_delay_alu instid0(VALU_DEP_4) | instskip(NEXT) | instid1(VALU_DEP_4)
	v_pk_fma_f32 v[8:9], v[22:23], v[34:35], v[8:9] op_sel_hi:[1,0,1]
	v_pk_fma_f32 v[0:1], v[14:15], v[34:35], v[0:1] op_sel_hi:[1,0,1]
	s_delay_alu instid0(VALU_DEP_2) | instskip(NEXT) | instid1(VALU_DEP_2)
	v_pk_fma_f32 v[8:9], v[22:23], v[34:35], v[8:9] op_sel:[1,1,0] op_sel_hi:[0,1,1] neg_lo:[1,0,0]
	v_pk_fma_f32 v[0:1], v[14:15], v[34:35], v[0:1] op_sel:[1,1,0] op_sel_hi:[0,1,1] neg_lo:[1,0,0]
	v_xor_b32_e32 v14, 0x80000000, v17
	v_mov_b32_e32 v15, v16
	s_delay_alu instid0(VALU_DEP_4) | instskip(NEXT) | instid1(VALU_DEP_4)
	v_pk_fma_f32 v[8:9], v[24:25], v[36:37], v[8:9] op_sel_hi:[1,0,1]
	v_pk_fma_f32 v[0:1], v[16:17], v[36:37], v[0:1] op_sel_hi:[1,0,1]
	s_delay_alu instid0(VALU_DEP_2) | instskip(NEXT) | instid1(VALU_DEP_2)
	v_pk_fma_f32 v[8:9], v[18:19], v[20:21], v[8:9] op_sel_hi:[1,0,1]
	v_pk_fma_f32 v[0:1], v[14:15], v[20:21], v[0:1] op_sel_hi:[1,0,1]
	s_and_not1_b32 exec_lo, exec_lo, s2
	s_cbranch_execnz .LBB164_11
; %bb.12:
	s_or_b32 exec_lo, exec_lo, s2
.LBB164_13:
	s_delay_alu instid0(SALU_CYCLE_1)
	s_or_b32 exec_lo, exec_lo, s3
.LBB164_14:
	v_mbcnt_lo_u32_b32 v10, -1, 0
	s_delay_alu instid0(VALU_DEP_1) | instskip(SKIP_1) | instid1(VALU_DEP_1)
	v_xor_b32_e32 v15, 4, v10
	v_xor_b32_e32 v11, 8, v10
	v_cmp_gt_i32_e32 vcc_lo, 32, v11
	v_cndmask_b32_e32 v11, v10, v11, vcc_lo
	s_delay_alu instid0(VALU_DEP_1)
	v_lshlrev_b32_e32 v11, 2, v11
	ds_bpermute_b32 v13, v11, v9
	s_wait_dscnt 0x0
	v_add_f32_e32 v9, v9, v13
	ds_bpermute_b32 v12, v11, v8
	ds_bpermute_b32 v14, v11, v0
	;; [unrolled: 1-line block ×3, first 2 shown]
	s_wait_dscnt 0x2
	v_add_f32_e32 v8, v8, v12
	s_wait_dscnt 0x0
	v_dual_add_f32 v0, v0, v14 :: v_dual_add_f32 v1, v1, v11
	v_cmp_gt_i32_e32 vcc_lo, 32, v15
	v_cndmask_b32_e32 v15, v10, v15, vcc_lo
	s_delay_alu instid0(VALU_DEP_1)
	v_lshlrev_b32_e32 v15, 2, v15
	ds_bpermute_b32 v11, v15, v8
	ds_bpermute_b32 v12, v15, v9
	;; [unrolled: 1-line block ×4, first 2 shown]
	s_wait_dscnt 0x3
	v_dual_add_f32 v8, v8, v11 :: v_dual_bitop2_b32 v15, 2, v10 bitop3:0x14
	s_delay_alu instid0(VALU_DEP_1)
	v_cmp_gt_i32_e32 vcc_lo, 32, v15
	s_wait_dscnt 0x2
	v_add_f32_e32 v9, v9, v12
	s_wait_dscnt 0x0
	v_dual_add_f32 v12, v1, v14 :: v_dual_add_f32 v11, v0, v13
	v_cndmask_b32_e32 v15, v10, v15, vcc_lo
	s_delay_alu instid0(VALU_DEP_1)
	v_lshlrev_b32_e32 v15, 2, v15
	ds_bpermute_b32 v0, v15, v8
	ds_bpermute_b32 v1, v15, v9
	;; [unrolled: 1-line block ×4, first 2 shown]
	s_wait_dscnt 0x3
	v_dual_add_f32 v0, v8, v0 :: v_dual_bitop2_b32 v15, 1, v10 bitop3:0x14
	s_delay_alu instid0(VALU_DEP_1)
	v_cmp_gt_i32_e32 vcc_lo, 32, v15
	s_wait_dscnt 0x2
	v_dual_add_f32 v8, v9, v1 :: v_dual_cndmask_b32 v10, v10, v15, vcc_lo
	s_wait_dscnt 0x0
	v_dual_add_f32 v1, v11, v13 :: v_dual_add_f32 v9, v12, v14
	v_cmp_eq_u32_e32 vcc_lo, 15, v7
	s_delay_alu instid0(VALU_DEP_3)
	v_lshlrev_b32_e32 v15, 2, v10
	ds_bpermute_b32 v12, v15, v0
	ds_bpermute_b32 v13, v15, v8
	;; [unrolled: 1-line block ×4, first 2 shown]
	s_and_b32 exec_lo, exec_lo, vcc_lo
	s_cbranch_execz .LBB164_19
; %bb.15:
	s_load_b64 s[2:3], s[0:1], 0x38
	v_cmp_eq_f32_e32 vcc_lo, 0, v4
	s_wait_xcnt 0x0
	v_cmp_eq_f32_e64 s0, 0, v5
	s_wait_dscnt 0x3
	v_add_f32_e32 v0, v0, v12
	s_wait_dscnt 0x1
	v_dual_add_f32 v12, v8, v13 :: v_dual_add_f32 v8, v1, v10
	s_wait_dscnt 0x0
	v_add_f32_e32 v10, v9, v11
	s_and_b32 s0, vcc_lo, s0
	s_delay_alu instid0(SALU_CYCLE_1) | instskip(NEXT) | instid1(SALU_CYCLE_1)
	s_and_saveexec_b32 s1, s0
	s_xor_b32 s0, exec_lo, s1
	s_cbranch_execz .LBB164_17
; %bb.16:
	v_xor_b32_e32 v4, 0x80000000, v3
	v_dual_mov_b32 v5, v2 :: v_dual_lshlrev_b32 v6, 1, v6
	s_delay_alu instid0(VALU_DEP_1) | instskip(NEXT) | instid1(VALU_DEP_2)
	v_ashrrev_i32_e32 v7, 31, v6
	v_pk_mul_f32 v[12:13], v[12:13], v[4:5] op_sel_hi:[0,1]
	v_pk_mul_f32 v[4:5], v[10:11], v[4:5] op_sel_hi:[0,1]
                                        ; implicit-def: $vgpr10
	s_wait_kmcnt 0x0
	s_delay_alu instid0(VALU_DEP_3) | instskip(NEXT) | instid1(VALU_DEP_3)
	v_lshl_add_u64 v[6:7], v[6:7], 3, s[2:3]
	v_pk_fma_f32 v[0:1], v[2:3], v[0:1], v[12:13] op_sel_hi:[1,0,1]
	s_delay_alu instid0(VALU_DEP_3)
	v_pk_fma_f32 v[2:3], v[2:3], v[8:9], v[4:5] op_sel_hi:[1,0,1]
                                        ; implicit-def: $vgpr4_vgpr5
                                        ; implicit-def: $vgpr12
                                        ; implicit-def: $vgpr8
	global_store_b128 v[6:7], v[0:3], off
                                        ; implicit-def: $vgpr6
                                        ; implicit-def: $vgpr2_vgpr3
                                        ; implicit-def: $vgpr0
.LBB164_17:
	s_wait_xcnt 0x0
	s_and_not1_saveexec_b32 s0, s0
	s_cbranch_execz .LBB164_19
; %bb.18:
	v_dual_mov_b32 v19, v2 :: v_dual_lshlrev_b32 v6, 1, v6
	v_xor_b32_e32 v18, 0x80000000, v3
	s_delay_alu instid0(VALU_DEP_2) | instskip(NEXT) | instid1(VALU_DEP_2)
	v_ashrrev_i32_e32 v7, 31, v6
	v_pk_mul_f32 v[12:13], v[12:13], v[18:19] op_sel_hi:[0,1]
	v_pk_mul_f32 v[10:11], v[10:11], v[18:19] op_sel_hi:[0,1]
	s_delay_alu instid0(VALU_DEP_2) | instskip(NEXT) | instid1(VALU_DEP_2)
	v_pk_fma_f32 v[0:1], v[2:3], v[0:1], v[12:13] op_sel_hi:[1,0,1]
	v_pk_fma_f32 v[2:3], v[2:3], v[8:9], v[10:11] op_sel_hi:[1,0,1]
	v_mov_b32_e32 v9, v4
	s_wait_kmcnt 0x0
	v_lshl_add_u64 v[6:7], v[6:7], 3, s[2:3]
	v_xor_b32_e32 v8, 0x80000000, v5
	global_load_b128 v[14:17], v[6:7], off
	s_wait_loadcnt 0x0
	v_pk_fma_f32 v[0:1], v[4:5], v[14:15], v[0:1] op_sel_hi:[1,0,1]
	v_pk_fma_f32 v[2:3], v[4:5], v[16:17], v[2:3] op_sel_hi:[1,0,1]
	v_mov_b32_e32 v4, v17
	s_delay_alu instid0(VALU_DEP_3) | instskip(NEXT) | instid1(VALU_DEP_2)
	v_pk_fma_f32 v[0:1], v[8:9], v[14:15], v[0:1] op_sel:[0,1,0]
	v_pk_fma_f32 v[2:3], v[8:9], v[4:5], v[2:3] op_sel_hi:[1,0,1]
	global_store_b128 v[6:7], v[0:3], off
.LBB164_19:
	s_endpgm
	.section	.rodata,"a",@progbits
	.p2align	6, 0x0
	.amdhsa_kernel _ZN9rocsparseL19gebsrmvn_2xn_kernelILj128ELj4ELj16E21rocsparse_complex_numIfEEEvi20rocsparse_direction_NS_24const_host_device_scalarIT2_EEPKiS8_PKS5_SA_S6_PS5_21rocsparse_index_base_b
		.amdhsa_group_segment_fixed_size 0
		.amdhsa_private_segment_fixed_size 0
		.amdhsa_kernarg_size 72
		.amdhsa_user_sgpr_count 2
		.amdhsa_user_sgpr_dispatch_ptr 0
		.amdhsa_user_sgpr_queue_ptr 0
		.amdhsa_user_sgpr_kernarg_segment_ptr 1
		.amdhsa_user_sgpr_dispatch_id 0
		.amdhsa_user_sgpr_kernarg_preload_length 0
		.amdhsa_user_sgpr_kernarg_preload_offset 0
		.amdhsa_user_sgpr_private_segment_size 0
		.amdhsa_wavefront_size32 1
		.amdhsa_uses_dynamic_stack 0
		.amdhsa_enable_private_segment 0
		.amdhsa_system_sgpr_workgroup_id_x 1
		.amdhsa_system_sgpr_workgroup_id_y 0
		.amdhsa_system_sgpr_workgroup_id_z 0
		.amdhsa_system_sgpr_workgroup_info 0
		.amdhsa_system_vgpr_workitem_id 0
		.amdhsa_next_free_vgpr 44
		.amdhsa_next_free_sgpr 14
		.amdhsa_named_barrier_count 0
		.amdhsa_reserve_vcc 1
		.amdhsa_float_round_mode_32 0
		.amdhsa_float_round_mode_16_64 0
		.amdhsa_float_denorm_mode_32 3
		.amdhsa_float_denorm_mode_16_64 3
		.amdhsa_fp16_overflow 0
		.amdhsa_memory_ordered 1
		.amdhsa_forward_progress 1
		.amdhsa_inst_pref_size 16
		.amdhsa_round_robin_scheduling 0
		.amdhsa_exception_fp_ieee_invalid_op 0
		.amdhsa_exception_fp_denorm_src 0
		.amdhsa_exception_fp_ieee_div_zero 0
		.amdhsa_exception_fp_ieee_overflow 0
		.amdhsa_exception_fp_ieee_underflow 0
		.amdhsa_exception_fp_ieee_inexact 0
		.amdhsa_exception_int_div_zero 0
	.end_amdhsa_kernel
	.section	.text._ZN9rocsparseL19gebsrmvn_2xn_kernelILj128ELj4ELj16E21rocsparse_complex_numIfEEEvi20rocsparse_direction_NS_24const_host_device_scalarIT2_EEPKiS8_PKS5_SA_S6_PS5_21rocsparse_index_base_b,"axG",@progbits,_ZN9rocsparseL19gebsrmvn_2xn_kernelILj128ELj4ELj16E21rocsparse_complex_numIfEEEvi20rocsparse_direction_NS_24const_host_device_scalarIT2_EEPKiS8_PKS5_SA_S6_PS5_21rocsparse_index_base_b,comdat
.Lfunc_end164:
	.size	_ZN9rocsparseL19gebsrmvn_2xn_kernelILj128ELj4ELj16E21rocsparse_complex_numIfEEEvi20rocsparse_direction_NS_24const_host_device_scalarIT2_EEPKiS8_PKS5_SA_S6_PS5_21rocsparse_index_base_b, .Lfunc_end164-_ZN9rocsparseL19gebsrmvn_2xn_kernelILj128ELj4ELj16E21rocsparse_complex_numIfEEEvi20rocsparse_direction_NS_24const_host_device_scalarIT2_EEPKiS8_PKS5_SA_S6_PS5_21rocsparse_index_base_b
                                        ; -- End function
	.set _ZN9rocsparseL19gebsrmvn_2xn_kernelILj128ELj4ELj16E21rocsparse_complex_numIfEEEvi20rocsparse_direction_NS_24const_host_device_scalarIT2_EEPKiS8_PKS5_SA_S6_PS5_21rocsparse_index_base_b.num_vgpr, 44
	.set _ZN9rocsparseL19gebsrmvn_2xn_kernelILj128ELj4ELj16E21rocsparse_complex_numIfEEEvi20rocsparse_direction_NS_24const_host_device_scalarIT2_EEPKiS8_PKS5_SA_S6_PS5_21rocsparse_index_base_b.num_agpr, 0
	.set _ZN9rocsparseL19gebsrmvn_2xn_kernelILj128ELj4ELj16E21rocsparse_complex_numIfEEEvi20rocsparse_direction_NS_24const_host_device_scalarIT2_EEPKiS8_PKS5_SA_S6_PS5_21rocsparse_index_base_b.numbered_sgpr, 14
	.set _ZN9rocsparseL19gebsrmvn_2xn_kernelILj128ELj4ELj16E21rocsparse_complex_numIfEEEvi20rocsparse_direction_NS_24const_host_device_scalarIT2_EEPKiS8_PKS5_SA_S6_PS5_21rocsparse_index_base_b.num_named_barrier, 0
	.set _ZN9rocsparseL19gebsrmvn_2xn_kernelILj128ELj4ELj16E21rocsparse_complex_numIfEEEvi20rocsparse_direction_NS_24const_host_device_scalarIT2_EEPKiS8_PKS5_SA_S6_PS5_21rocsparse_index_base_b.private_seg_size, 0
	.set _ZN9rocsparseL19gebsrmvn_2xn_kernelILj128ELj4ELj16E21rocsparse_complex_numIfEEEvi20rocsparse_direction_NS_24const_host_device_scalarIT2_EEPKiS8_PKS5_SA_S6_PS5_21rocsparse_index_base_b.uses_vcc, 1
	.set _ZN9rocsparseL19gebsrmvn_2xn_kernelILj128ELj4ELj16E21rocsparse_complex_numIfEEEvi20rocsparse_direction_NS_24const_host_device_scalarIT2_EEPKiS8_PKS5_SA_S6_PS5_21rocsparse_index_base_b.uses_flat_scratch, 1
	.set _ZN9rocsparseL19gebsrmvn_2xn_kernelILj128ELj4ELj16E21rocsparse_complex_numIfEEEvi20rocsparse_direction_NS_24const_host_device_scalarIT2_EEPKiS8_PKS5_SA_S6_PS5_21rocsparse_index_base_b.has_dyn_sized_stack, 0
	.set _ZN9rocsparseL19gebsrmvn_2xn_kernelILj128ELj4ELj16E21rocsparse_complex_numIfEEEvi20rocsparse_direction_NS_24const_host_device_scalarIT2_EEPKiS8_PKS5_SA_S6_PS5_21rocsparse_index_base_b.has_recursion, 0
	.set _ZN9rocsparseL19gebsrmvn_2xn_kernelILj128ELj4ELj16E21rocsparse_complex_numIfEEEvi20rocsparse_direction_NS_24const_host_device_scalarIT2_EEPKiS8_PKS5_SA_S6_PS5_21rocsparse_index_base_b.has_indirect_call, 0
	.section	.AMDGPU.csdata,"",@progbits
; Kernel info:
; codeLenInByte = 1924
; TotalNumSgprs: 16
; NumVgprs: 44
; ScratchSize: 0
; MemoryBound: 0
; FloatMode: 240
; IeeeMode: 1
; LDSByteSize: 0 bytes/workgroup (compile time only)
; SGPRBlocks: 0
; VGPRBlocks: 2
; NumSGPRsForWavesPerEU: 16
; NumVGPRsForWavesPerEU: 44
; NamedBarCnt: 0
; Occupancy: 16
; WaveLimiterHint : 1
; COMPUTE_PGM_RSRC2:SCRATCH_EN: 0
; COMPUTE_PGM_RSRC2:USER_SGPR: 2
; COMPUTE_PGM_RSRC2:TRAP_HANDLER: 0
; COMPUTE_PGM_RSRC2:TGID_X_EN: 1
; COMPUTE_PGM_RSRC2:TGID_Y_EN: 0
; COMPUTE_PGM_RSRC2:TGID_Z_EN: 0
; COMPUTE_PGM_RSRC2:TIDIG_COMP_CNT: 0
	.section	.text._ZN9rocsparseL19gebsrmvn_2xn_kernelILj128ELj4ELj32E21rocsparse_complex_numIfEEEvi20rocsparse_direction_NS_24const_host_device_scalarIT2_EEPKiS8_PKS5_SA_S6_PS5_21rocsparse_index_base_b,"axG",@progbits,_ZN9rocsparseL19gebsrmvn_2xn_kernelILj128ELj4ELj32E21rocsparse_complex_numIfEEEvi20rocsparse_direction_NS_24const_host_device_scalarIT2_EEPKiS8_PKS5_SA_S6_PS5_21rocsparse_index_base_b,comdat
	.globl	_ZN9rocsparseL19gebsrmvn_2xn_kernelILj128ELj4ELj32E21rocsparse_complex_numIfEEEvi20rocsparse_direction_NS_24const_host_device_scalarIT2_EEPKiS8_PKS5_SA_S6_PS5_21rocsparse_index_base_b ; -- Begin function _ZN9rocsparseL19gebsrmvn_2xn_kernelILj128ELj4ELj32E21rocsparse_complex_numIfEEEvi20rocsparse_direction_NS_24const_host_device_scalarIT2_EEPKiS8_PKS5_SA_S6_PS5_21rocsparse_index_base_b
	.p2align	8
	.type	_ZN9rocsparseL19gebsrmvn_2xn_kernelILj128ELj4ELj32E21rocsparse_complex_numIfEEEvi20rocsparse_direction_NS_24const_host_device_scalarIT2_EEPKiS8_PKS5_SA_S6_PS5_21rocsparse_index_base_b,@function
_ZN9rocsparseL19gebsrmvn_2xn_kernelILj128ELj4ELj32E21rocsparse_complex_numIfEEEvi20rocsparse_direction_NS_24const_host_device_scalarIT2_EEPKiS8_PKS5_SA_S6_PS5_21rocsparse_index_base_b: ; @_ZN9rocsparseL19gebsrmvn_2xn_kernelILj128ELj4ELj32E21rocsparse_complex_numIfEEEvi20rocsparse_direction_NS_24const_host_device_scalarIT2_EEPKiS8_PKS5_SA_S6_PS5_21rocsparse_index_base_b
; %bb.0:
	s_clause 0x2
	s_load_b64 s[12:13], s[0:1], 0x40
	s_load_b64 s[2:3], s[0:1], 0x8
	;; [unrolled: 1-line block ×3, first 2 shown]
	v_mov_b32_e32 v1, 0
	s_add_nc_u64 s[6:7], s[0:1], 8
	s_add_nc_u64 s[8:9], s[0:1], 48
	s_wait_kmcnt 0x0
	s_bitcmp1_b32 s13, 0
	s_cselect_b32 s3, s7, s3
	s_cselect_b32 s2, s6, s2
	;; [unrolled: 1-line block ×4, first 2 shown]
	s_clause 0x1
	flat_load_b64 v[2:3], v1, s[2:3]
	flat_load_b64 v[4:5], v1, s[4:5]
	s_wait_loadcnt_dscnt 0x101
	v_cmp_eq_f32_e32 vcc_lo, 0, v2
	v_cmp_eq_f32_e64 s2, 0, v3
	s_wait_loadcnt_dscnt 0x0
	v_cmp_eq_f32_e64 s3, 1.0, v4
	v_cmp_eq_f32_e64 s4, 0, v5
	s_and_b32 s2, vcc_lo, s2
	s_and_b32 s3, s3, s4
	s_delay_alu instid0(SALU_CYCLE_1) | instskip(NEXT) | instid1(SALU_CYCLE_1)
	s_and_b32 s2, s2, s3
	s_xor_b32 s2, s2, -1
	s_delay_alu instid0(SALU_CYCLE_1)
	s_and_saveexec_b32 s3, s2
	s_cbranch_execz .LBB165_19
; %bb.1:
	s_load_b64 s[2:3], s[0:1], 0x0
	s_bfe_u32 s4, ttmp6, 0x4000c
	s_and_b32 s5, ttmp6, 15
	s_add_co_i32 s4, s4, 1
	s_getreg_b32 s6, hwreg(HW_REG_IB_STS2, 6, 4)
	s_mul_i32 s4, ttmp9, s4
	v_lshrrev_b32_e32 v1, 5, v0
	s_add_co_i32 s5, s5, s4
	s_cmp_eq_u32 s6, 0
	s_cselect_b32 s4, ttmp9, s5
	s_delay_alu instid0(VALU_DEP_1) | instid1(SALU_CYCLE_1)
	v_lshl_or_b32 v6, s4, 2, v1
	s_wait_kmcnt 0x0
	s_delay_alu instid0(VALU_DEP_1)
	v_cmp_gt_i32_e32 vcc_lo, s2, v6
	s_and_b32 exec_lo, exec_lo, vcc_lo
	s_cbranch_execz .LBB165_19
; %bb.2:
	s_load_b256 s[4:11], s[0:1], 0x10
	v_ashrrev_i32_e32 v7, 31, v6
	s_cmp_lg_u32 s3, 0
	s_wait_kmcnt 0x0
	s_delay_alu instid0(VALU_DEP_1)
	v_lshl_add_u64 v[8:9], v[6:7], 2, s[4:5]
	v_and_b32_e32 v7, 31, v0
	global_load_b64 v[8:9], v[8:9], off
	s_wait_loadcnt 0x0
	v_subrev_nc_u32_e32 v0, s12, v8
	v_subrev_nc_u32_e32 v12, s12, v9
	s_delay_alu instid0(VALU_DEP_2) | instskip(NEXT) | instid1(VALU_DEP_1)
	v_add_nc_u32_e32 v13, v0, v7
	v_cmp_lt_i32_e64 s2, v13, v12
	s_cbranch_scc0 .LBB165_8
; %bb.3:
	v_mov_b32_e32 v9, 0
	s_delay_alu instid0(VALU_DEP_1)
	v_dual_mov_b32 v8, v9 :: v_dual_mov_b32 v1, v9
	v_mov_b32_e32 v0, v9
	s_and_saveexec_b32 s3, s2
	s_cbranch_execz .LBB165_7
; %bb.4:
	v_dual_mov_b32 v11, 0 :: v_dual_lshlrev_b32 v10, 3, v13
	v_mov_b32_e32 v14, v13
	s_mov_b32 s4, 0
	s_delay_alu instid0(VALU_DEP_2)
	v_dual_mov_b32 v0, v11 :: v_dual_mov_b32 v1, v11
	v_dual_mov_b32 v8, v11 :: v_dual_mov_b32 v9, v11
.LBB165_5:                              ; =>This Inner Loop Header: Depth=1
	global_load_b32 v15, v14, s[6:7] scale_offset
	v_lshl_add_u64 v[40:41], v[10:11], 3, s[8:9]
	v_add_nc_u32_e32 v10, 0x100, v10
	s_wait_loadcnt 0x0
	v_subrev_nc_u32_e32 v15, s12, v15
	s_delay_alu instid0(VALU_DEP_1) | instskip(NEXT) | instid1(VALU_DEP_1)
	v_dual_mov_b32 v17, v11 :: v_dual_lshlrev_b32 v16, 2, v15
	v_lshl_add_u64 v[42:43], v[16:17], 3, s[10:11]
	s_clause 0x1
	global_load_b128 v[16:19], v[40:41], off
	global_load_b128 v[20:23], v[40:41], off offset:16
	s_clause 0x1
	global_load_b128 v[24:27], v[42:43], off
	global_load_b128 v[28:31], v[42:43], off offset:16
	s_clause 0x1
	global_load_b128 v[32:35], v[40:41], off offset:32
	global_load_b128 v[36:39], v[40:41], off offset:48
	v_add_nc_u32_e32 v14, 32, v14
	s_wait_loadcnt 0x5
	s_wait_xcnt 0x0
	v_xor_b32_e32 v40, 0x80000000, v19
	v_mov_b32_e32 v41, v18
	s_wait_loadcnt 0x3
	v_pk_fma_f32 v[8:9], v[16:17], v[24:25], v[8:9] op_sel_hi:[1,0,1]
	v_pk_fma_f32 v[0:1], v[18:19], v[24:25], v[0:1] op_sel_hi:[1,0,1]
	v_mov_b32_e32 v18, v27
	s_delay_alu instid0(VALU_DEP_3) | instskip(SKIP_1) | instid1(VALU_DEP_4)
	v_pk_fma_f32 v[8:9], v[16:17], v[24:25], v[8:9] op_sel:[1,1,0] op_sel_hi:[0,1,1] neg_lo:[1,0,0]
	v_mov_b32_e32 v17, v22
	v_pk_fma_f32 v[0:1], v[40:41], v[24:25], v[0:1] op_sel:[0,1,0]
	v_xor_b32_e32 v16, 0x80000000, v23
	s_delay_alu instid0(VALU_DEP_4) | instskip(NEXT) | instid1(VALU_DEP_3)
	v_pk_fma_f32 v[8:9], v[20:21], v[26:27], v[8:9] op_sel_hi:[1,0,1]
	v_pk_fma_f32 v[0:1], v[22:23], v[26:27], v[0:1] op_sel_hi:[1,0,1]
	s_delay_alu instid0(VALU_DEP_1)
	v_pk_fma_f32 v[0:1], v[16:17], v[18:19], v[0:1] op_sel_hi:[1,0,1]
	s_wait_loadcnt 0x1
	v_mov_b32_e32 v17, v34
	v_pk_fma_f32 v[8:9], v[20:21], v[18:19], v[8:9] op_sel:[1,0,0] op_sel_hi:[0,0,1] neg_lo:[1,0,0]
	v_xor_b32_e32 v16, 0x80000000, v35
	v_mov_b32_e32 v18, v31
	v_pk_fma_f32 v[0:1], v[34:35], v[28:29], v[0:1] op_sel_hi:[1,0,1]
	s_delay_alu instid0(VALU_DEP_4) | instskip(NEXT) | instid1(VALU_DEP_2)
	v_pk_fma_f32 v[8:9], v[32:33], v[28:29], v[8:9] op_sel_hi:[1,0,1]
	v_pk_fma_f32 v[0:1], v[16:17], v[28:29], v[0:1] op_sel:[0,1,0]
	s_wait_loadcnt 0x0
	v_xor_b32_e32 v16, 0x80000000, v39
	s_delay_alu instid0(VALU_DEP_3) | instskip(SKIP_3) | instid1(VALU_DEP_4)
	v_pk_fma_f32 v[8:9], v[32:33], v[28:29], v[8:9] op_sel:[1,1,0] op_sel_hi:[0,1,1] neg_lo:[1,0,0]
	v_mov_b32_e32 v17, v38
	v_cmp_ge_i32_e32 vcc_lo, v14, v12
	v_pk_fma_f32 v[0:1], v[38:39], v[30:31], v[0:1] op_sel_hi:[1,0,1]
	v_pk_fma_f32 v[8:9], v[36:37], v[30:31], v[8:9] op_sel_hi:[1,0,1]
	s_or_b32 s4, vcc_lo, s4
	s_delay_alu instid0(VALU_DEP_2) | instskip(NEXT) | instid1(VALU_DEP_2)
	v_pk_fma_f32 v[0:1], v[16:17], v[18:19], v[0:1] op_sel_hi:[1,0,1]
	v_pk_fma_f32 v[8:9], v[36:37], v[18:19], v[8:9] op_sel:[1,0,0] op_sel_hi:[0,0,1] neg_lo:[1,0,0]
	s_and_not1_b32 exec_lo, exec_lo, s4
	s_cbranch_execnz .LBB165_5
; %bb.6:
	s_or_b32 exec_lo, exec_lo, s4
.LBB165_7:
	s_delay_alu instid0(SALU_CYCLE_1)
	s_or_b32 exec_lo, exec_lo, s3
	s_cbranch_execz .LBB165_9
	s_branch .LBB165_14
.LBB165_8:
                                        ; implicit-def: $vgpr9
                                        ; implicit-def: $vgpr1
.LBB165_9:
	v_mov_b32_e32 v9, 0
	s_delay_alu instid0(VALU_DEP_1)
	v_dual_mov_b32 v8, v9 :: v_dual_mov_b32 v1, v9
	v_mov_b32_e32 v0, v9
	s_and_saveexec_b32 s3, s2
	s_cbranch_execz .LBB165_13
; %bb.10:
	v_dual_mov_b32 v11, 0 :: v_dual_lshlrev_b32 v10, 3, v13
	s_mov_b32 s2, 0
	s_delay_alu instid0(VALU_DEP_1)
	v_dual_mov_b32 v0, v11 :: v_dual_mov_b32 v1, v11
	v_dual_mov_b32 v8, v11 :: v_dual_mov_b32 v9, v11
.LBB165_11:                             ; =>This Inner Loop Header: Depth=1
	global_load_b32 v14, v13, s[6:7] scale_offset
	v_lshl_add_u64 v[38:39], v[10:11], 3, s[8:9]
	v_add_nc_u32_e32 v10, 0x100, v10
	s_wait_xcnt 0x0
	v_add_nc_u32_e32 v13, 32, v13
	s_delay_alu instid0(VALU_DEP_1) | instskip(SKIP_3) | instid1(VALU_DEP_1)
	v_cmp_ge_i32_e32 vcc_lo, v13, v12
	s_or_b32 s2, vcc_lo, s2
	s_wait_loadcnt 0x0
	v_subrev_nc_u32_e32 v14, s12, v14
	v_dual_mov_b32 v19, v11 :: v_dual_lshlrev_b32 v18, 2, v14
	global_load_b128 v[14:17], v[38:39], off offset:48
	v_lshl_add_u64 v[40:41], v[18:19], 3, s[10:11]
	s_clause 0x2
	global_load_b128 v[18:21], v[38:39], off offset:32
	global_load_b128 v[22:25], v[38:39], off offset:16
	global_load_b128 v[26:29], v[38:39], off
	s_clause 0x1
	global_load_b128 v[30:33], v[40:41], off
	global_load_b128 v[34:37], v[40:41], off offset:16
	s_wait_loadcnt 0x2
	s_wait_xcnt 0x2
	v_xor_b32_e32 v38, 0x80000000, v29
	s_wait_loadcnt 0x1
	v_pk_fma_f32 v[8:9], v[26:27], v[30:31], v[8:9] op_sel_hi:[1,0,1]
	v_pk_fma_f32 v[0:1], v[18:19], v[30:31], v[0:1] op_sel_hi:[1,0,1]
	v_mov_b32_e32 v39, v28
	s_delay_alu instid0(VALU_DEP_3) | instskip(NEXT) | instid1(VALU_DEP_3)
	v_pk_fma_f32 v[8:9], v[26:27], v[30:31], v[8:9] op_sel:[1,1,0] op_sel_hi:[0,1,1] neg_lo:[1,0,0]
	v_pk_fma_f32 v[0:1], v[18:19], v[30:31], v[0:1] op_sel:[1,1,0] op_sel_hi:[0,1,1] neg_lo:[1,0,0]
	v_xor_b32_e32 v18, 0x80000000, v21
	v_dual_mov_b32 v19, v20 :: v_dual_mov_b32 v26, v33
	s_delay_alu instid0(VALU_DEP_4) | instskip(NEXT) | instid1(VALU_DEP_4)
	v_pk_fma_f32 v[8:9], v[28:29], v[32:33], v[8:9] op_sel_hi:[1,0,1]
	v_pk_fma_f32 v[0:1], v[20:21], v[32:33], v[0:1] op_sel_hi:[1,0,1]
	s_wait_loadcnt 0x0
	v_mov_b32_e32 v20, v37
	s_delay_alu instid0(VALU_DEP_3) | instskip(NEXT) | instid1(VALU_DEP_3)
	v_pk_fma_f32 v[8:9], v[38:39], v[26:27], v[8:9] op_sel_hi:[1,0,1]
	v_pk_fma_f32 v[0:1], v[18:19], v[26:27], v[0:1] op_sel_hi:[1,0,1]
	v_xor_b32_e32 v18, 0x80000000, v25
	v_mov_b32_e32 v19, v24
	s_delay_alu instid0(VALU_DEP_4) | instskip(NEXT) | instid1(VALU_DEP_4)
	v_pk_fma_f32 v[8:9], v[22:23], v[34:35], v[8:9] op_sel_hi:[1,0,1]
	v_pk_fma_f32 v[0:1], v[14:15], v[34:35], v[0:1] op_sel_hi:[1,0,1]
	s_delay_alu instid0(VALU_DEP_2) | instskip(NEXT) | instid1(VALU_DEP_2)
	v_pk_fma_f32 v[8:9], v[22:23], v[34:35], v[8:9] op_sel:[1,1,0] op_sel_hi:[0,1,1] neg_lo:[1,0,0]
	v_pk_fma_f32 v[0:1], v[14:15], v[34:35], v[0:1] op_sel:[1,1,0] op_sel_hi:[0,1,1] neg_lo:[1,0,0]
	v_xor_b32_e32 v14, 0x80000000, v17
	v_mov_b32_e32 v15, v16
	s_delay_alu instid0(VALU_DEP_4) | instskip(NEXT) | instid1(VALU_DEP_4)
	v_pk_fma_f32 v[8:9], v[24:25], v[36:37], v[8:9] op_sel_hi:[1,0,1]
	v_pk_fma_f32 v[0:1], v[16:17], v[36:37], v[0:1] op_sel_hi:[1,0,1]
	s_delay_alu instid0(VALU_DEP_2) | instskip(NEXT) | instid1(VALU_DEP_2)
	v_pk_fma_f32 v[8:9], v[18:19], v[20:21], v[8:9] op_sel_hi:[1,0,1]
	v_pk_fma_f32 v[0:1], v[14:15], v[20:21], v[0:1] op_sel_hi:[1,0,1]
	s_and_not1_b32 exec_lo, exec_lo, s2
	s_cbranch_execnz .LBB165_11
; %bb.12:
	s_or_b32 exec_lo, exec_lo, s2
.LBB165_13:
	s_delay_alu instid0(SALU_CYCLE_1)
	s_or_b32 exec_lo, exec_lo, s3
.LBB165_14:
	v_mbcnt_lo_u32_b32 v10, -1, 0
	s_delay_alu instid0(VALU_DEP_1) | instskip(SKIP_1) | instid1(VALU_DEP_1)
	v_xor_b32_e32 v15, 8, v10
	v_xor_b32_e32 v11, 16, v10
	v_cmp_gt_i32_e32 vcc_lo, 32, v11
	v_cndmask_b32_e32 v11, v10, v11, vcc_lo
	s_delay_alu instid0(VALU_DEP_1)
	v_lshlrev_b32_e32 v11, 2, v11
	ds_bpermute_b32 v13, v11, v9
	s_wait_dscnt 0x0
	v_add_f32_e32 v9, v9, v13
	ds_bpermute_b32 v12, v11, v8
	ds_bpermute_b32 v14, v11, v0
	;; [unrolled: 1-line block ×3, first 2 shown]
	s_wait_dscnt 0x2
	v_add_f32_e32 v8, v8, v12
	s_wait_dscnt 0x0
	v_dual_add_f32 v0, v0, v14 :: v_dual_add_f32 v1, v1, v11
	v_cmp_gt_i32_e32 vcc_lo, 32, v15
	v_cndmask_b32_e32 v15, v10, v15, vcc_lo
	s_delay_alu instid0(VALU_DEP_1)
	v_lshlrev_b32_e32 v15, 2, v15
	ds_bpermute_b32 v11, v15, v8
	ds_bpermute_b32 v12, v15, v9
	;; [unrolled: 1-line block ×4, first 2 shown]
	s_wait_dscnt 0x3
	v_dual_add_f32 v8, v8, v11 :: v_dual_bitop2_b32 v15, 4, v10 bitop3:0x14
	s_delay_alu instid0(VALU_DEP_1)
	v_cmp_gt_i32_e32 vcc_lo, 32, v15
	s_wait_dscnt 0x2
	v_add_f32_e32 v9, v9, v12
	s_wait_dscnt 0x0
	v_dual_add_f32 v1, v1, v14 :: v_dual_add_f32 v0, v0, v13
	v_cndmask_b32_e32 v15, v10, v15, vcc_lo
	s_delay_alu instid0(VALU_DEP_1)
	v_lshlrev_b32_e32 v15, 2, v15
	ds_bpermute_b32 v11, v15, v8
	ds_bpermute_b32 v12, v15, v9
	;; [unrolled: 1-line block ×4, first 2 shown]
	s_wait_dscnt 0x3
	v_dual_add_f32 v8, v8, v11 :: v_dual_bitop2_b32 v15, 2, v10 bitop3:0x14
	s_delay_alu instid0(VALU_DEP_1) | instskip(SKIP_4) | instid1(VALU_DEP_2)
	v_cmp_gt_i32_e32 vcc_lo, 32, v15
	s_wait_dscnt 0x2
	v_dual_add_f32 v9, v9, v12 :: v_dual_cndmask_b32 v15, v10, v15, vcc_lo
	s_wait_dscnt 0x0
	v_dual_add_f32 v11, v0, v13 :: v_dual_add_f32 v12, v1, v14
	v_lshlrev_b32_e32 v15, 2, v15
	ds_bpermute_b32 v0, v15, v8
	ds_bpermute_b32 v1, v15, v9
	;; [unrolled: 1-line block ×4, first 2 shown]
	s_wait_dscnt 0x3
	v_dual_add_f32 v0, v8, v0 :: v_dual_bitop2_b32 v15, 1, v10 bitop3:0x14
	s_delay_alu instid0(VALU_DEP_1)
	v_cmp_gt_i32_e32 vcc_lo, 32, v15
	s_wait_dscnt 0x2
	v_add_f32_e32 v8, v9, v1
	s_wait_dscnt 0x0
	v_dual_add_f32 v1, v11, v13 :: v_dual_add_f32 v9, v12, v14
	v_cndmask_b32_e32 v10, v10, v15, vcc_lo
	v_cmp_eq_u32_e32 vcc_lo, 31, v7
	s_delay_alu instid0(VALU_DEP_2)
	v_lshlrev_b32_e32 v15, 2, v10
	ds_bpermute_b32 v12, v15, v0
	ds_bpermute_b32 v13, v15, v8
	;; [unrolled: 1-line block ×4, first 2 shown]
	s_and_b32 exec_lo, exec_lo, vcc_lo
	s_cbranch_execz .LBB165_19
; %bb.15:
	s_load_b64 s[2:3], s[0:1], 0x38
	v_cmp_eq_f32_e32 vcc_lo, 0, v4
	s_wait_xcnt 0x0
	v_cmp_eq_f32_e64 s0, 0, v5
	s_wait_dscnt 0x3
	v_add_f32_e32 v0, v0, v12
	s_wait_dscnt 0x1
	v_dual_add_f32 v12, v8, v13 :: v_dual_add_f32 v8, v1, v10
	s_wait_dscnt 0x0
	v_add_f32_e32 v10, v9, v11
	s_and_b32 s0, vcc_lo, s0
	s_delay_alu instid0(SALU_CYCLE_1) | instskip(NEXT) | instid1(SALU_CYCLE_1)
	s_and_saveexec_b32 s1, s0
	s_xor_b32 s0, exec_lo, s1
	s_cbranch_execz .LBB165_17
; %bb.16:
	v_xor_b32_e32 v4, 0x80000000, v3
	v_dual_mov_b32 v5, v2 :: v_dual_lshlrev_b32 v6, 1, v6
	s_delay_alu instid0(VALU_DEP_1) | instskip(NEXT) | instid1(VALU_DEP_2)
	v_ashrrev_i32_e32 v7, 31, v6
	v_pk_mul_f32 v[12:13], v[12:13], v[4:5] op_sel_hi:[0,1]
	v_pk_mul_f32 v[4:5], v[10:11], v[4:5] op_sel_hi:[0,1]
                                        ; implicit-def: $vgpr10
	s_wait_kmcnt 0x0
	s_delay_alu instid0(VALU_DEP_3) | instskip(NEXT) | instid1(VALU_DEP_3)
	v_lshl_add_u64 v[6:7], v[6:7], 3, s[2:3]
	v_pk_fma_f32 v[0:1], v[2:3], v[0:1], v[12:13] op_sel_hi:[1,0,1]
	s_delay_alu instid0(VALU_DEP_3)
	v_pk_fma_f32 v[2:3], v[2:3], v[8:9], v[4:5] op_sel_hi:[1,0,1]
                                        ; implicit-def: $vgpr4_vgpr5
                                        ; implicit-def: $vgpr12
                                        ; implicit-def: $vgpr8
	global_store_b128 v[6:7], v[0:3], off
                                        ; implicit-def: $vgpr6
                                        ; implicit-def: $vgpr2_vgpr3
                                        ; implicit-def: $vgpr0
.LBB165_17:
	s_wait_xcnt 0x0
	s_and_not1_saveexec_b32 s0, s0
	s_cbranch_execz .LBB165_19
; %bb.18:
	v_dual_mov_b32 v19, v2 :: v_dual_lshlrev_b32 v6, 1, v6
	v_xor_b32_e32 v18, 0x80000000, v3
	s_delay_alu instid0(VALU_DEP_2) | instskip(NEXT) | instid1(VALU_DEP_2)
	v_ashrrev_i32_e32 v7, 31, v6
	v_pk_mul_f32 v[12:13], v[12:13], v[18:19] op_sel_hi:[0,1]
	v_pk_mul_f32 v[10:11], v[10:11], v[18:19] op_sel_hi:[0,1]
	s_delay_alu instid0(VALU_DEP_2) | instskip(NEXT) | instid1(VALU_DEP_2)
	v_pk_fma_f32 v[0:1], v[2:3], v[0:1], v[12:13] op_sel_hi:[1,0,1]
	v_pk_fma_f32 v[2:3], v[2:3], v[8:9], v[10:11] op_sel_hi:[1,0,1]
	v_mov_b32_e32 v9, v4
	s_wait_kmcnt 0x0
	v_lshl_add_u64 v[6:7], v[6:7], 3, s[2:3]
	v_xor_b32_e32 v8, 0x80000000, v5
	global_load_b128 v[14:17], v[6:7], off
	s_wait_loadcnt 0x0
	v_pk_fma_f32 v[0:1], v[4:5], v[14:15], v[0:1] op_sel_hi:[1,0,1]
	v_pk_fma_f32 v[2:3], v[4:5], v[16:17], v[2:3] op_sel_hi:[1,0,1]
	v_mov_b32_e32 v4, v17
	s_delay_alu instid0(VALU_DEP_3) | instskip(NEXT) | instid1(VALU_DEP_2)
	v_pk_fma_f32 v[0:1], v[8:9], v[14:15], v[0:1] op_sel:[0,1,0]
	v_pk_fma_f32 v[2:3], v[8:9], v[4:5], v[2:3] op_sel_hi:[1,0,1]
	global_store_b128 v[6:7], v[0:3], off
.LBB165_19:
	s_endpgm
	.section	.rodata,"a",@progbits
	.p2align	6, 0x0
	.amdhsa_kernel _ZN9rocsparseL19gebsrmvn_2xn_kernelILj128ELj4ELj32E21rocsparse_complex_numIfEEEvi20rocsparse_direction_NS_24const_host_device_scalarIT2_EEPKiS8_PKS5_SA_S6_PS5_21rocsparse_index_base_b
		.amdhsa_group_segment_fixed_size 0
		.amdhsa_private_segment_fixed_size 0
		.amdhsa_kernarg_size 72
		.amdhsa_user_sgpr_count 2
		.amdhsa_user_sgpr_dispatch_ptr 0
		.amdhsa_user_sgpr_queue_ptr 0
		.amdhsa_user_sgpr_kernarg_segment_ptr 1
		.amdhsa_user_sgpr_dispatch_id 0
		.amdhsa_user_sgpr_kernarg_preload_length 0
		.amdhsa_user_sgpr_kernarg_preload_offset 0
		.amdhsa_user_sgpr_private_segment_size 0
		.amdhsa_wavefront_size32 1
		.amdhsa_uses_dynamic_stack 0
		.amdhsa_enable_private_segment 0
		.amdhsa_system_sgpr_workgroup_id_x 1
		.amdhsa_system_sgpr_workgroup_id_y 0
		.amdhsa_system_sgpr_workgroup_id_z 0
		.amdhsa_system_sgpr_workgroup_info 0
		.amdhsa_system_vgpr_workitem_id 0
		.amdhsa_next_free_vgpr 44
		.amdhsa_next_free_sgpr 14
		.amdhsa_named_barrier_count 0
		.amdhsa_reserve_vcc 1
		.amdhsa_float_round_mode_32 0
		.amdhsa_float_round_mode_16_64 0
		.amdhsa_float_denorm_mode_32 3
		.amdhsa_float_denorm_mode_16_64 3
		.amdhsa_fp16_overflow 0
		.amdhsa_memory_ordered 1
		.amdhsa_forward_progress 1
		.amdhsa_inst_pref_size 16
		.amdhsa_round_robin_scheduling 0
		.amdhsa_exception_fp_ieee_invalid_op 0
		.amdhsa_exception_fp_denorm_src 0
		.amdhsa_exception_fp_ieee_div_zero 0
		.amdhsa_exception_fp_ieee_overflow 0
		.amdhsa_exception_fp_ieee_underflow 0
		.amdhsa_exception_fp_ieee_inexact 0
		.amdhsa_exception_int_div_zero 0
	.end_amdhsa_kernel
	.section	.text._ZN9rocsparseL19gebsrmvn_2xn_kernelILj128ELj4ELj32E21rocsparse_complex_numIfEEEvi20rocsparse_direction_NS_24const_host_device_scalarIT2_EEPKiS8_PKS5_SA_S6_PS5_21rocsparse_index_base_b,"axG",@progbits,_ZN9rocsparseL19gebsrmvn_2xn_kernelILj128ELj4ELj32E21rocsparse_complex_numIfEEEvi20rocsparse_direction_NS_24const_host_device_scalarIT2_EEPKiS8_PKS5_SA_S6_PS5_21rocsparse_index_base_b,comdat
.Lfunc_end165:
	.size	_ZN9rocsparseL19gebsrmvn_2xn_kernelILj128ELj4ELj32E21rocsparse_complex_numIfEEEvi20rocsparse_direction_NS_24const_host_device_scalarIT2_EEPKiS8_PKS5_SA_S6_PS5_21rocsparse_index_base_b, .Lfunc_end165-_ZN9rocsparseL19gebsrmvn_2xn_kernelILj128ELj4ELj32E21rocsparse_complex_numIfEEEvi20rocsparse_direction_NS_24const_host_device_scalarIT2_EEPKiS8_PKS5_SA_S6_PS5_21rocsparse_index_base_b
                                        ; -- End function
	.set _ZN9rocsparseL19gebsrmvn_2xn_kernelILj128ELj4ELj32E21rocsparse_complex_numIfEEEvi20rocsparse_direction_NS_24const_host_device_scalarIT2_EEPKiS8_PKS5_SA_S6_PS5_21rocsparse_index_base_b.num_vgpr, 44
	.set _ZN9rocsparseL19gebsrmvn_2xn_kernelILj128ELj4ELj32E21rocsparse_complex_numIfEEEvi20rocsparse_direction_NS_24const_host_device_scalarIT2_EEPKiS8_PKS5_SA_S6_PS5_21rocsparse_index_base_b.num_agpr, 0
	.set _ZN9rocsparseL19gebsrmvn_2xn_kernelILj128ELj4ELj32E21rocsparse_complex_numIfEEEvi20rocsparse_direction_NS_24const_host_device_scalarIT2_EEPKiS8_PKS5_SA_S6_PS5_21rocsparse_index_base_b.numbered_sgpr, 14
	.set _ZN9rocsparseL19gebsrmvn_2xn_kernelILj128ELj4ELj32E21rocsparse_complex_numIfEEEvi20rocsparse_direction_NS_24const_host_device_scalarIT2_EEPKiS8_PKS5_SA_S6_PS5_21rocsparse_index_base_b.num_named_barrier, 0
	.set _ZN9rocsparseL19gebsrmvn_2xn_kernelILj128ELj4ELj32E21rocsparse_complex_numIfEEEvi20rocsparse_direction_NS_24const_host_device_scalarIT2_EEPKiS8_PKS5_SA_S6_PS5_21rocsparse_index_base_b.private_seg_size, 0
	.set _ZN9rocsparseL19gebsrmvn_2xn_kernelILj128ELj4ELj32E21rocsparse_complex_numIfEEEvi20rocsparse_direction_NS_24const_host_device_scalarIT2_EEPKiS8_PKS5_SA_S6_PS5_21rocsparse_index_base_b.uses_vcc, 1
	.set _ZN9rocsparseL19gebsrmvn_2xn_kernelILj128ELj4ELj32E21rocsparse_complex_numIfEEEvi20rocsparse_direction_NS_24const_host_device_scalarIT2_EEPKiS8_PKS5_SA_S6_PS5_21rocsparse_index_base_b.uses_flat_scratch, 1
	.set _ZN9rocsparseL19gebsrmvn_2xn_kernelILj128ELj4ELj32E21rocsparse_complex_numIfEEEvi20rocsparse_direction_NS_24const_host_device_scalarIT2_EEPKiS8_PKS5_SA_S6_PS5_21rocsparse_index_base_b.has_dyn_sized_stack, 0
	.set _ZN9rocsparseL19gebsrmvn_2xn_kernelILj128ELj4ELj32E21rocsparse_complex_numIfEEEvi20rocsparse_direction_NS_24const_host_device_scalarIT2_EEPKiS8_PKS5_SA_S6_PS5_21rocsparse_index_base_b.has_recursion, 0
	.set _ZN9rocsparseL19gebsrmvn_2xn_kernelILj128ELj4ELj32E21rocsparse_complex_numIfEEEvi20rocsparse_direction_NS_24const_host_device_scalarIT2_EEPKiS8_PKS5_SA_S6_PS5_21rocsparse_index_base_b.has_indirect_call, 0
	.section	.AMDGPU.csdata,"",@progbits
; Kernel info:
; codeLenInByte = 2008
; TotalNumSgprs: 16
; NumVgprs: 44
; ScratchSize: 0
; MemoryBound: 0
; FloatMode: 240
; IeeeMode: 1
; LDSByteSize: 0 bytes/workgroup (compile time only)
; SGPRBlocks: 0
; VGPRBlocks: 2
; NumSGPRsForWavesPerEU: 16
; NumVGPRsForWavesPerEU: 44
; NamedBarCnt: 0
; Occupancy: 16
; WaveLimiterHint : 1
; COMPUTE_PGM_RSRC2:SCRATCH_EN: 0
; COMPUTE_PGM_RSRC2:USER_SGPR: 2
; COMPUTE_PGM_RSRC2:TRAP_HANDLER: 0
; COMPUTE_PGM_RSRC2:TGID_X_EN: 1
; COMPUTE_PGM_RSRC2:TGID_Y_EN: 0
; COMPUTE_PGM_RSRC2:TGID_Z_EN: 0
; COMPUTE_PGM_RSRC2:TIDIG_COMP_CNT: 0
	.section	.text._ZN9rocsparseL19gebsrmvn_2xn_kernelILj128ELj4ELj64E21rocsparse_complex_numIfEEEvi20rocsparse_direction_NS_24const_host_device_scalarIT2_EEPKiS8_PKS5_SA_S6_PS5_21rocsparse_index_base_b,"axG",@progbits,_ZN9rocsparseL19gebsrmvn_2xn_kernelILj128ELj4ELj64E21rocsparse_complex_numIfEEEvi20rocsparse_direction_NS_24const_host_device_scalarIT2_EEPKiS8_PKS5_SA_S6_PS5_21rocsparse_index_base_b,comdat
	.globl	_ZN9rocsparseL19gebsrmvn_2xn_kernelILj128ELj4ELj64E21rocsparse_complex_numIfEEEvi20rocsparse_direction_NS_24const_host_device_scalarIT2_EEPKiS8_PKS5_SA_S6_PS5_21rocsparse_index_base_b ; -- Begin function _ZN9rocsparseL19gebsrmvn_2xn_kernelILj128ELj4ELj64E21rocsparse_complex_numIfEEEvi20rocsparse_direction_NS_24const_host_device_scalarIT2_EEPKiS8_PKS5_SA_S6_PS5_21rocsparse_index_base_b
	.p2align	8
	.type	_ZN9rocsparseL19gebsrmvn_2xn_kernelILj128ELj4ELj64E21rocsparse_complex_numIfEEEvi20rocsparse_direction_NS_24const_host_device_scalarIT2_EEPKiS8_PKS5_SA_S6_PS5_21rocsparse_index_base_b,@function
_ZN9rocsparseL19gebsrmvn_2xn_kernelILj128ELj4ELj64E21rocsparse_complex_numIfEEEvi20rocsparse_direction_NS_24const_host_device_scalarIT2_EEPKiS8_PKS5_SA_S6_PS5_21rocsparse_index_base_b: ; @_ZN9rocsparseL19gebsrmvn_2xn_kernelILj128ELj4ELj64E21rocsparse_complex_numIfEEEvi20rocsparse_direction_NS_24const_host_device_scalarIT2_EEPKiS8_PKS5_SA_S6_PS5_21rocsparse_index_base_b
; %bb.0:
	s_clause 0x2
	s_load_b64 s[12:13], s[0:1], 0x40
	s_load_b64 s[2:3], s[0:1], 0x8
	;; [unrolled: 1-line block ×3, first 2 shown]
	v_mov_b32_e32 v1, 0
	s_add_nc_u64 s[6:7], s[0:1], 8
	s_add_nc_u64 s[8:9], s[0:1], 48
	s_wait_kmcnt 0x0
	s_bitcmp1_b32 s13, 0
	s_cselect_b32 s3, s7, s3
	s_cselect_b32 s2, s6, s2
	;; [unrolled: 1-line block ×4, first 2 shown]
	s_clause 0x1
	flat_load_b64 v[2:3], v1, s[2:3]
	flat_load_b64 v[4:5], v1, s[4:5]
	s_wait_loadcnt_dscnt 0x101
	v_cmp_eq_f32_e32 vcc_lo, 0, v2
	v_cmp_eq_f32_e64 s2, 0, v3
	s_wait_loadcnt_dscnt 0x0
	v_cmp_eq_f32_e64 s3, 1.0, v4
	v_cmp_eq_f32_e64 s4, 0, v5
	s_and_b32 s2, vcc_lo, s2
	s_and_b32 s3, s3, s4
	s_delay_alu instid0(SALU_CYCLE_1) | instskip(NEXT) | instid1(SALU_CYCLE_1)
	s_and_b32 s2, s2, s3
	s_xor_b32 s2, s2, -1
	s_delay_alu instid0(SALU_CYCLE_1)
	s_and_saveexec_b32 s3, s2
	s_cbranch_execz .LBB166_19
; %bb.1:
	s_load_b64 s[2:3], s[0:1], 0x0
	s_bfe_u32 s4, ttmp6, 0x4000c
	s_and_b32 s5, ttmp6, 15
	s_add_co_i32 s4, s4, 1
	s_getreg_b32 s6, hwreg(HW_REG_IB_STS2, 6, 4)
	s_mul_i32 s4, ttmp9, s4
	v_lshrrev_b32_e32 v1, 6, v0
	s_add_co_i32 s5, s5, s4
	s_cmp_eq_u32 s6, 0
	s_cselect_b32 s4, ttmp9, s5
	s_delay_alu instid0(VALU_DEP_1) | instid1(SALU_CYCLE_1)
	v_lshl_or_b32 v6, s4, 1, v1
	s_wait_kmcnt 0x0
	s_delay_alu instid0(VALU_DEP_1)
	v_cmp_gt_i32_e32 vcc_lo, s2, v6
	s_and_b32 exec_lo, exec_lo, vcc_lo
	s_cbranch_execz .LBB166_19
; %bb.2:
	s_load_b256 s[4:11], s[0:1], 0x10
	v_ashrrev_i32_e32 v7, 31, v6
	s_cmp_lg_u32 s3, 0
	s_wait_kmcnt 0x0
	s_delay_alu instid0(VALU_DEP_1)
	v_lshl_add_u64 v[8:9], v[6:7], 2, s[4:5]
	v_and_b32_e32 v7, 63, v0
	global_load_b64 v[8:9], v[8:9], off
	s_wait_loadcnt 0x0
	v_subrev_nc_u32_e32 v0, s12, v8
	v_subrev_nc_u32_e32 v12, s12, v9
	s_delay_alu instid0(VALU_DEP_2) | instskip(NEXT) | instid1(VALU_DEP_1)
	v_add_nc_u32_e32 v13, v0, v7
	v_cmp_lt_i32_e64 s2, v13, v12
	s_cbranch_scc0 .LBB166_8
; %bb.3:
	v_mov_b32_e32 v9, 0
	s_delay_alu instid0(VALU_DEP_1)
	v_dual_mov_b32 v8, v9 :: v_dual_mov_b32 v1, v9
	v_mov_b32_e32 v0, v9
	s_and_saveexec_b32 s3, s2
	s_cbranch_execz .LBB166_7
; %bb.4:
	v_dual_mov_b32 v11, 0 :: v_dual_lshlrev_b32 v10, 3, v13
	v_mov_b32_e32 v14, v13
	s_mov_b32 s4, 0
	s_delay_alu instid0(VALU_DEP_2)
	v_dual_mov_b32 v0, v11 :: v_dual_mov_b32 v1, v11
	v_dual_mov_b32 v8, v11 :: v_dual_mov_b32 v9, v11
.LBB166_5:                              ; =>This Inner Loop Header: Depth=1
	global_load_b32 v15, v14, s[6:7] scale_offset
	v_lshl_add_u64 v[40:41], v[10:11], 3, s[8:9]
	v_add_nc_u32_e32 v10, 0x200, v10
	s_wait_loadcnt 0x0
	v_subrev_nc_u32_e32 v15, s12, v15
	s_delay_alu instid0(VALU_DEP_1) | instskip(NEXT) | instid1(VALU_DEP_1)
	v_dual_mov_b32 v17, v11 :: v_dual_lshlrev_b32 v16, 2, v15
	v_lshl_add_u64 v[42:43], v[16:17], 3, s[10:11]
	s_clause 0x1
	global_load_b128 v[16:19], v[40:41], off
	global_load_b128 v[20:23], v[40:41], off offset:16
	s_clause 0x1
	global_load_b128 v[24:27], v[42:43], off
	global_load_b128 v[28:31], v[42:43], off offset:16
	s_clause 0x1
	global_load_b128 v[32:35], v[40:41], off offset:32
	global_load_b128 v[36:39], v[40:41], off offset:48
	v_add_nc_u32_e32 v14, 64, v14
	s_wait_loadcnt 0x5
	s_wait_xcnt 0x0
	v_xor_b32_e32 v40, 0x80000000, v19
	v_mov_b32_e32 v41, v18
	s_wait_loadcnt 0x3
	v_pk_fma_f32 v[8:9], v[16:17], v[24:25], v[8:9] op_sel_hi:[1,0,1]
	v_pk_fma_f32 v[0:1], v[18:19], v[24:25], v[0:1] op_sel_hi:[1,0,1]
	v_mov_b32_e32 v18, v27
	s_delay_alu instid0(VALU_DEP_3) | instskip(SKIP_1) | instid1(VALU_DEP_4)
	v_pk_fma_f32 v[8:9], v[16:17], v[24:25], v[8:9] op_sel:[1,1,0] op_sel_hi:[0,1,1] neg_lo:[1,0,0]
	v_mov_b32_e32 v17, v22
	v_pk_fma_f32 v[0:1], v[40:41], v[24:25], v[0:1] op_sel:[0,1,0]
	v_xor_b32_e32 v16, 0x80000000, v23
	s_delay_alu instid0(VALU_DEP_4) | instskip(NEXT) | instid1(VALU_DEP_3)
	v_pk_fma_f32 v[8:9], v[20:21], v[26:27], v[8:9] op_sel_hi:[1,0,1]
	v_pk_fma_f32 v[0:1], v[22:23], v[26:27], v[0:1] op_sel_hi:[1,0,1]
	s_delay_alu instid0(VALU_DEP_1)
	v_pk_fma_f32 v[0:1], v[16:17], v[18:19], v[0:1] op_sel_hi:[1,0,1]
	s_wait_loadcnt 0x1
	v_mov_b32_e32 v17, v34
	v_pk_fma_f32 v[8:9], v[20:21], v[18:19], v[8:9] op_sel:[1,0,0] op_sel_hi:[0,0,1] neg_lo:[1,0,0]
	v_xor_b32_e32 v16, 0x80000000, v35
	v_mov_b32_e32 v18, v31
	v_pk_fma_f32 v[0:1], v[34:35], v[28:29], v[0:1] op_sel_hi:[1,0,1]
	s_delay_alu instid0(VALU_DEP_4) | instskip(NEXT) | instid1(VALU_DEP_2)
	v_pk_fma_f32 v[8:9], v[32:33], v[28:29], v[8:9] op_sel_hi:[1,0,1]
	v_pk_fma_f32 v[0:1], v[16:17], v[28:29], v[0:1] op_sel:[0,1,0]
	s_wait_loadcnt 0x0
	v_xor_b32_e32 v16, 0x80000000, v39
	s_delay_alu instid0(VALU_DEP_3) | instskip(SKIP_3) | instid1(VALU_DEP_4)
	v_pk_fma_f32 v[8:9], v[32:33], v[28:29], v[8:9] op_sel:[1,1,0] op_sel_hi:[0,1,1] neg_lo:[1,0,0]
	v_mov_b32_e32 v17, v38
	v_cmp_ge_i32_e32 vcc_lo, v14, v12
	v_pk_fma_f32 v[0:1], v[38:39], v[30:31], v[0:1] op_sel_hi:[1,0,1]
	v_pk_fma_f32 v[8:9], v[36:37], v[30:31], v[8:9] op_sel_hi:[1,0,1]
	s_or_b32 s4, vcc_lo, s4
	s_delay_alu instid0(VALU_DEP_2) | instskip(NEXT) | instid1(VALU_DEP_2)
	v_pk_fma_f32 v[0:1], v[16:17], v[18:19], v[0:1] op_sel_hi:[1,0,1]
	v_pk_fma_f32 v[8:9], v[36:37], v[18:19], v[8:9] op_sel:[1,0,0] op_sel_hi:[0,0,1] neg_lo:[1,0,0]
	s_and_not1_b32 exec_lo, exec_lo, s4
	s_cbranch_execnz .LBB166_5
; %bb.6:
	s_or_b32 exec_lo, exec_lo, s4
.LBB166_7:
	s_delay_alu instid0(SALU_CYCLE_1)
	s_or_b32 exec_lo, exec_lo, s3
	s_cbranch_execz .LBB166_9
	s_branch .LBB166_14
.LBB166_8:
                                        ; implicit-def: $vgpr9
                                        ; implicit-def: $vgpr1
.LBB166_9:
	v_mov_b32_e32 v9, 0
	s_delay_alu instid0(VALU_DEP_1)
	v_dual_mov_b32 v8, v9 :: v_dual_mov_b32 v1, v9
	v_mov_b32_e32 v0, v9
	s_and_saveexec_b32 s3, s2
	s_cbranch_execz .LBB166_13
; %bb.10:
	v_dual_mov_b32 v11, 0 :: v_dual_lshlrev_b32 v10, 3, v13
	s_mov_b32 s2, 0
	s_delay_alu instid0(VALU_DEP_1)
	v_dual_mov_b32 v0, v11 :: v_dual_mov_b32 v1, v11
	v_dual_mov_b32 v8, v11 :: v_dual_mov_b32 v9, v11
.LBB166_11:                             ; =>This Inner Loop Header: Depth=1
	global_load_b32 v14, v13, s[6:7] scale_offset
	v_lshl_add_u64 v[38:39], v[10:11], 3, s[8:9]
	v_add_nc_u32_e32 v10, 0x200, v10
	s_wait_xcnt 0x0
	v_add_nc_u32_e32 v13, 64, v13
	s_delay_alu instid0(VALU_DEP_1) | instskip(SKIP_3) | instid1(VALU_DEP_1)
	v_cmp_ge_i32_e32 vcc_lo, v13, v12
	s_or_b32 s2, vcc_lo, s2
	s_wait_loadcnt 0x0
	v_subrev_nc_u32_e32 v14, s12, v14
	v_dual_mov_b32 v19, v11 :: v_dual_lshlrev_b32 v18, 2, v14
	global_load_b128 v[14:17], v[38:39], off offset:48
	v_lshl_add_u64 v[40:41], v[18:19], 3, s[10:11]
	s_clause 0x2
	global_load_b128 v[18:21], v[38:39], off offset:32
	global_load_b128 v[22:25], v[38:39], off offset:16
	global_load_b128 v[26:29], v[38:39], off
	s_clause 0x1
	global_load_b128 v[30:33], v[40:41], off
	global_load_b128 v[34:37], v[40:41], off offset:16
	s_wait_loadcnt 0x2
	s_wait_xcnt 0x2
	v_xor_b32_e32 v38, 0x80000000, v29
	s_wait_loadcnt 0x1
	v_pk_fma_f32 v[8:9], v[26:27], v[30:31], v[8:9] op_sel_hi:[1,0,1]
	v_pk_fma_f32 v[0:1], v[18:19], v[30:31], v[0:1] op_sel_hi:[1,0,1]
	v_mov_b32_e32 v39, v28
	s_delay_alu instid0(VALU_DEP_3) | instskip(NEXT) | instid1(VALU_DEP_3)
	v_pk_fma_f32 v[8:9], v[26:27], v[30:31], v[8:9] op_sel:[1,1,0] op_sel_hi:[0,1,1] neg_lo:[1,0,0]
	v_pk_fma_f32 v[0:1], v[18:19], v[30:31], v[0:1] op_sel:[1,1,0] op_sel_hi:[0,1,1] neg_lo:[1,0,0]
	v_xor_b32_e32 v18, 0x80000000, v21
	v_dual_mov_b32 v19, v20 :: v_dual_mov_b32 v26, v33
	s_delay_alu instid0(VALU_DEP_4) | instskip(NEXT) | instid1(VALU_DEP_4)
	v_pk_fma_f32 v[8:9], v[28:29], v[32:33], v[8:9] op_sel_hi:[1,0,1]
	v_pk_fma_f32 v[0:1], v[20:21], v[32:33], v[0:1] op_sel_hi:[1,0,1]
	s_wait_loadcnt 0x0
	v_mov_b32_e32 v20, v37
	s_delay_alu instid0(VALU_DEP_3) | instskip(NEXT) | instid1(VALU_DEP_3)
	v_pk_fma_f32 v[8:9], v[38:39], v[26:27], v[8:9] op_sel_hi:[1,0,1]
	v_pk_fma_f32 v[0:1], v[18:19], v[26:27], v[0:1] op_sel_hi:[1,0,1]
	v_xor_b32_e32 v18, 0x80000000, v25
	v_mov_b32_e32 v19, v24
	s_delay_alu instid0(VALU_DEP_4) | instskip(NEXT) | instid1(VALU_DEP_4)
	v_pk_fma_f32 v[8:9], v[22:23], v[34:35], v[8:9] op_sel_hi:[1,0,1]
	v_pk_fma_f32 v[0:1], v[14:15], v[34:35], v[0:1] op_sel_hi:[1,0,1]
	s_delay_alu instid0(VALU_DEP_2) | instskip(NEXT) | instid1(VALU_DEP_2)
	v_pk_fma_f32 v[8:9], v[22:23], v[34:35], v[8:9] op_sel:[1,1,0] op_sel_hi:[0,1,1] neg_lo:[1,0,0]
	v_pk_fma_f32 v[0:1], v[14:15], v[34:35], v[0:1] op_sel:[1,1,0] op_sel_hi:[0,1,1] neg_lo:[1,0,0]
	v_xor_b32_e32 v14, 0x80000000, v17
	v_mov_b32_e32 v15, v16
	s_delay_alu instid0(VALU_DEP_4) | instskip(NEXT) | instid1(VALU_DEP_4)
	v_pk_fma_f32 v[8:9], v[24:25], v[36:37], v[8:9] op_sel_hi:[1,0,1]
	v_pk_fma_f32 v[0:1], v[16:17], v[36:37], v[0:1] op_sel_hi:[1,0,1]
	s_delay_alu instid0(VALU_DEP_2) | instskip(NEXT) | instid1(VALU_DEP_2)
	v_pk_fma_f32 v[8:9], v[18:19], v[20:21], v[8:9] op_sel_hi:[1,0,1]
	v_pk_fma_f32 v[0:1], v[14:15], v[20:21], v[0:1] op_sel_hi:[1,0,1]
	s_and_not1_b32 exec_lo, exec_lo, s2
	s_cbranch_execnz .LBB166_11
; %bb.12:
	s_or_b32 exec_lo, exec_lo, s2
.LBB166_13:
	s_delay_alu instid0(SALU_CYCLE_1)
	s_or_b32 exec_lo, exec_lo, s3
.LBB166_14:
	v_mbcnt_lo_u32_b32 v10, -1, 0
	s_delay_alu instid0(VALU_DEP_1) | instskip(SKIP_1) | instid1(VALU_DEP_1)
	v_xor_b32_e32 v15, 16, v10
	v_or_b32_e32 v11, 32, v10
	v_cmp_gt_i32_e32 vcc_lo, 32, v11
	v_cndmask_b32_e32 v11, v10, v11, vcc_lo
	s_delay_alu instid0(VALU_DEP_1)
	v_lshlrev_b32_e32 v11, 2, v11
	ds_bpermute_b32 v13, v11, v9
	s_wait_dscnt 0x0
	v_add_f32_e32 v9, v9, v13
	ds_bpermute_b32 v12, v11, v8
	ds_bpermute_b32 v14, v11, v0
	ds_bpermute_b32 v11, v11, v1
	s_wait_dscnt 0x2
	v_add_f32_e32 v8, v8, v12
	s_wait_dscnt 0x0
	v_dual_add_f32 v0, v0, v14 :: v_dual_add_f32 v1, v1, v11
	v_cmp_gt_i32_e32 vcc_lo, 32, v15
	v_cndmask_b32_e32 v15, v10, v15, vcc_lo
	s_delay_alu instid0(VALU_DEP_1)
	v_lshlrev_b32_e32 v15, 2, v15
	ds_bpermute_b32 v11, v15, v8
	ds_bpermute_b32 v12, v15, v9
	;; [unrolled: 1-line block ×4, first 2 shown]
	s_wait_dscnt 0x3
	v_dual_add_f32 v8, v8, v11 :: v_dual_bitop2_b32 v15, 8, v10 bitop3:0x14
	s_delay_alu instid0(VALU_DEP_1)
	v_cmp_gt_i32_e32 vcc_lo, 32, v15
	s_wait_dscnt 0x2
	v_add_f32_e32 v9, v9, v12
	s_wait_dscnt 0x0
	v_dual_add_f32 v1, v1, v14 :: v_dual_add_f32 v0, v0, v13
	v_cndmask_b32_e32 v15, v10, v15, vcc_lo
	s_delay_alu instid0(VALU_DEP_1)
	v_lshlrev_b32_e32 v15, 2, v15
	ds_bpermute_b32 v11, v15, v8
	ds_bpermute_b32 v12, v15, v9
	ds_bpermute_b32 v13, v15, v0
	ds_bpermute_b32 v14, v15, v1
	s_wait_dscnt 0x3
	v_dual_add_f32 v8, v8, v11 :: v_dual_bitop2_b32 v15, 4, v10 bitop3:0x14
	s_delay_alu instid0(VALU_DEP_1) | instskip(SKIP_4) | instid1(VALU_DEP_2)
	v_cmp_gt_i32_e32 vcc_lo, 32, v15
	s_wait_dscnt 0x2
	v_dual_add_f32 v9, v9, v12 :: v_dual_cndmask_b32 v15, v10, v15, vcc_lo
	s_wait_dscnt 0x0
	v_dual_add_f32 v0, v0, v13 :: v_dual_add_f32 v1, v1, v14
	v_lshlrev_b32_e32 v15, 2, v15
	ds_bpermute_b32 v11, v15, v8
	ds_bpermute_b32 v12, v15, v9
	ds_bpermute_b32 v13, v15, v0
	ds_bpermute_b32 v14, v15, v1
	s_wait_dscnt 0x3
	v_dual_add_f32 v8, v8, v11 :: v_dual_bitop2_b32 v15, 2, v10 bitop3:0x14
	s_delay_alu instid0(VALU_DEP_1) | instskip(SKIP_4) | instid1(VALU_DEP_1)
	v_cmp_gt_i32_e32 vcc_lo, 32, v15
	s_wait_dscnt 0x1
	v_dual_add_f32 v9, v9, v12 :: v_dual_add_f32 v11, v0, v13
	s_wait_dscnt 0x0
	v_dual_add_f32 v12, v1, v14 :: v_dual_cndmask_b32 v15, v10, v15
	v_lshlrev_b32_e32 v15, 2, v15
	ds_bpermute_b32 v0, v15, v8
	ds_bpermute_b32 v1, v15, v9
	;; [unrolled: 1-line block ×4, first 2 shown]
	s_wait_dscnt 0x3
	v_dual_add_f32 v0, v8, v0 :: v_dual_bitop2_b32 v15, 1, v10 bitop3:0x14
	s_delay_alu instid0(VALU_DEP_1)
	v_cmp_gt_i32_e32 vcc_lo, 32, v15
	s_wait_dscnt 0x2
	v_dual_add_f32 v8, v9, v1 :: v_dual_cndmask_b32 v10, v10, v15, vcc_lo
	s_wait_dscnt 0x0
	v_dual_add_f32 v1, v11, v13 :: v_dual_add_f32 v9, v12, v14
	v_cmp_eq_u32_e32 vcc_lo, 63, v7
	s_delay_alu instid0(VALU_DEP_3)
	v_lshlrev_b32_e32 v15, 2, v10
	ds_bpermute_b32 v12, v15, v0
	ds_bpermute_b32 v13, v15, v8
	;; [unrolled: 1-line block ×4, first 2 shown]
	s_and_b32 exec_lo, exec_lo, vcc_lo
	s_cbranch_execz .LBB166_19
; %bb.15:
	s_load_b64 s[2:3], s[0:1], 0x38
	v_cmp_eq_f32_e32 vcc_lo, 0, v4
	s_wait_xcnt 0x0
	v_cmp_eq_f32_e64 s0, 0, v5
	s_wait_dscnt 0x3
	v_add_f32_e32 v0, v0, v12
	s_wait_dscnt 0x1
	v_dual_add_f32 v12, v8, v13 :: v_dual_add_f32 v8, v1, v10
	s_wait_dscnt 0x0
	v_add_f32_e32 v10, v9, v11
	s_and_b32 s0, vcc_lo, s0
	s_delay_alu instid0(SALU_CYCLE_1) | instskip(NEXT) | instid1(SALU_CYCLE_1)
	s_and_saveexec_b32 s1, s0
	s_xor_b32 s0, exec_lo, s1
	s_cbranch_execz .LBB166_17
; %bb.16:
	v_xor_b32_e32 v4, 0x80000000, v3
	v_dual_mov_b32 v5, v2 :: v_dual_lshlrev_b32 v6, 1, v6
	s_delay_alu instid0(VALU_DEP_1) | instskip(NEXT) | instid1(VALU_DEP_2)
	v_ashrrev_i32_e32 v7, 31, v6
	v_pk_mul_f32 v[12:13], v[12:13], v[4:5] op_sel_hi:[0,1]
	v_pk_mul_f32 v[4:5], v[10:11], v[4:5] op_sel_hi:[0,1]
                                        ; implicit-def: $vgpr10
	s_wait_kmcnt 0x0
	s_delay_alu instid0(VALU_DEP_3) | instskip(NEXT) | instid1(VALU_DEP_3)
	v_lshl_add_u64 v[6:7], v[6:7], 3, s[2:3]
	v_pk_fma_f32 v[0:1], v[2:3], v[0:1], v[12:13] op_sel_hi:[1,0,1]
	s_delay_alu instid0(VALU_DEP_3)
	v_pk_fma_f32 v[2:3], v[2:3], v[8:9], v[4:5] op_sel_hi:[1,0,1]
                                        ; implicit-def: $vgpr4_vgpr5
                                        ; implicit-def: $vgpr12
                                        ; implicit-def: $vgpr8
	global_store_b128 v[6:7], v[0:3], off
                                        ; implicit-def: $vgpr6
                                        ; implicit-def: $vgpr2_vgpr3
                                        ; implicit-def: $vgpr0
.LBB166_17:
	s_wait_xcnt 0x0
	s_and_not1_saveexec_b32 s0, s0
	s_cbranch_execz .LBB166_19
; %bb.18:
	v_dual_mov_b32 v19, v2 :: v_dual_lshlrev_b32 v6, 1, v6
	v_xor_b32_e32 v18, 0x80000000, v3
	s_delay_alu instid0(VALU_DEP_2) | instskip(NEXT) | instid1(VALU_DEP_2)
	v_ashrrev_i32_e32 v7, 31, v6
	v_pk_mul_f32 v[12:13], v[12:13], v[18:19] op_sel_hi:[0,1]
	v_pk_mul_f32 v[10:11], v[10:11], v[18:19] op_sel_hi:[0,1]
	s_delay_alu instid0(VALU_DEP_2) | instskip(NEXT) | instid1(VALU_DEP_2)
	v_pk_fma_f32 v[0:1], v[2:3], v[0:1], v[12:13] op_sel_hi:[1,0,1]
	v_pk_fma_f32 v[2:3], v[2:3], v[8:9], v[10:11] op_sel_hi:[1,0,1]
	v_mov_b32_e32 v9, v4
	s_wait_kmcnt 0x0
	v_lshl_add_u64 v[6:7], v[6:7], 3, s[2:3]
	v_xor_b32_e32 v8, 0x80000000, v5
	global_load_b128 v[14:17], v[6:7], off
	s_wait_loadcnt 0x0
	v_pk_fma_f32 v[0:1], v[4:5], v[14:15], v[0:1] op_sel_hi:[1,0,1]
	v_pk_fma_f32 v[2:3], v[4:5], v[16:17], v[2:3] op_sel_hi:[1,0,1]
	v_mov_b32_e32 v4, v17
	s_delay_alu instid0(VALU_DEP_3) | instskip(NEXT) | instid1(VALU_DEP_2)
	v_pk_fma_f32 v[0:1], v[8:9], v[14:15], v[0:1] op_sel:[0,1,0]
	v_pk_fma_f32 v[2:3], v[8:9], v[4:5], v[2:3] op_sel_hi:[1,0,1]
	global_store_b128 v[6:7], v[0:3], off
.LBB166_19:
	s_endpgm
	.section	.rodata,"a",@progbits
	.p2align	6, 0x0
	.amdhsa_kernel _ZN9rocsparseL19gebsrmvn_2xn_kernelILj128ELj4ELj64E21rocsparse_complex_numIfEEEvi20rocsparse_direction_NS_24const_host_device_scalarIT2_EEPKiS8_PKS5_SA_S6_PS5_21rocsparse_index_base_b
		.amdhsa_group_segment_fixed_size 0
		.amdhsa_private_segment_fixed_size 0
		.amdhsa_kernarg_size 72
		.amdhsa_user_sgpr_count 2
		.amdhsa_user_sgpr_dispatch_ptr 0
		.amdhsa_user_sgpr_queue_ptr 0
		.amdhsa_user_sgpr_kernarg_segment_ptr 1
		.amdhsa_user_sgpr_dispatch_id 0
		.amdhsa_user_sgpr_kernarg_preload_length 0
		.amdhsa_user_sgpr_kernarg_preload_offset 0
		.amdhsa_user_sgpr_private_segment_size 0
		.amdhsa_wavefront_size32 1
		.amdhsa_uses_dynamic_stack 0
		.amdhsa_enable_private_segment 0
		.amdhsa_system_sgpr_workgroup_id_x 1
		.amdhsa_system_sgpr_workgroup_id_y 0
		.amdhsa_system_sgpr_workgroup_id_z 0
		.amdhsa_system_sgpr_workgroup_info 0
		.amdhsa_system_vgpr_workitem_id 0
		.amdhsa_next_free_vgpr 44
		.amdhsa_next_free_sgpr 14
		.amdhsa_named_barrier_count 0
		.amdhsa_reserve_vcc 1
		.amdhsa_float_round_mode_32 0
		.amdhsa_float_round_mode_16_64 0
		.amdhsa_float_denorm_mode_32 3
		.amdhsa_float_denorm_mode_16_64 3
		.amdhsa_fp16_overflow 0
		.amdhsa_memory_ordered 1
		.amdhsa_forward_progress 1
		.amdhsa_inst_pref_size 17
		.amdhsa_round_robin_scheduling 0
		.amdhsa_exception_fp_ieee_invalid_op 0
		.amdhsa_exception_fp_denorm_src 0
		.amdhsa_exception_fp_ieee_div_zero 0
		.amdhsa_exception_fp_ieee_overflow 0
		.amdhsa_exception_fp_ieee_underflow 0
		.amdhsa_exception_fp_ieee_inexact 0
		.amdhsa_exception_int_div_zero 0
	.end_amdhsa_kernel
	.section	.text._ZN9rocsparseL19gebsrmvn_2xn_kernelILj128ELj4ELj64E21rocsparse_complex_numIfEEEvi20rocsparse_direction_NS_24const_host_device_scalarIT2_EEPKiS8_PKS5_SA_S6_PS5_21rocsparse_index_base_b,"axG",@progbits,_ZN9rocsparseL19gebsrmvn_2xn_kernelILj128ELj4ELj64E21rocsparse_complex_numIfEEEvi20rocsparse_direction_NS_24const_host_device_scalarIT2_EEPKiS8_PKS5_SA_S6_PS5_21rocsparse_index_base_b,comdat
.Lfunc_end166:
	.size	_ZN9rocsparseL19gebsrmvn_2xn_kernelILj128ELj4ELj64E21rocsparse_complex_numIfEEEvi20rocsparse_direction_NS_24const_host_device_scalarIT2_EEPKiS8_PKS5_SA_S6_PS5_21rocsparse_index_base_b, .Lfunc_end166-_ZN9rocsparseL19gebsrmvn_2xn_kernelILj128ELj4ELj64E21rocsparse_complex_numIfEEEvi20rocsparse_direction_NS_24const_host_device_scalarIT2_EEPKiS8_PKS5_SA_S6_PS5_21rocsparse_index_base_b
                                        ; -- End function
	.set _ZN9rocsparseL19gebsrmvn_2xn_kernelILj128ELj4ELj64E21rocsparse_complex_numIfEEEvi20rocsparse_direction_NS_24const_host_device_scalarIT2_EEPKiS8_PKS5_SA_S6_PS5_21rocsparse_index_base_b.num_vgpr, 44
	.set _ZN9rocsparseL19gebsrmvn_2xn_kernelILj128ELj4ELj64E21rocsparse_complex_numIfEEEvi20rocsparse_direction_NS_24const_host_device_scalarIT2_EEPKiS8_PKS5_SA_S6_PS5_21rocsparse_index_base_b.num_agpr, 0
	.set _ZN9rocsparseL19gebsrmvn_2xn_kernelILj128ELj4ELj64E21rocsparse_complex_numIfEEEvi20rocsparse_direction_NS_24const_host_device_scalarIT2_EEPKiS8_PKS5_SA_S6_PS5_21rocsparse_index_base_b.numbered_sgpr, 14
	.set _ZN9rocsparseL19gebsrmvn_2xn_kernelILj128ELj4ELj64E21rocsparse_complex_numIfEEEvi20rocsparse_direction_NS_24const_host_device_scalarIT2_EEPKiS8_PKS5_SA_S6_PS5_21rocsparse_index_base_b.num_named_barrier, 0
	.set _ZN9rocsparseL19gebsrmvn_2xn_kernelILj128ELj4ELj64E21rocsparse_complex_numIfEEEvi20rocsparse_direction_NS_24const_host_device_scalarIT2_EEPKiS8_PKS5_SA_S6_PS5_21rocsparse_index_base_b.private_seg_size, 0
	.set _ZN9rocsparseL19gebsrmvn_2xn_kernelILj128ELj4ELj64E21rocsparse_complex_numIfEEEvi20rocsparse_direction_NS_24const_host_device_scalarIT2_EEPKiS8_PKS5_SA_S6_PS5_21rocsparse_index_base_b.uses_vcc, 1
	.set _ZN9rocsparseL19gebsrmvn_2xn_kernelILj128ELj4ELj64E21rocsparse_complex_numIfEEEvi20rocsparse_direction_NS_24const_host_device_scalarIT2_EEPKiS8_PKS5_SA_S6_PS5_21rocsparse_index_base_b.uses_flat_scratch, 1
	.set _ZN9rocsparseL19gebsrmvn_2xn_kernelILj128ELj4ELj64E21rocsparse_complex_numIfEEEvi20rocsparse_direction_NS_24const_host_device_scalarIT2_EEPKiS8_PKS5_SA_S6_PS5_21rocsparse_index_base_b.has_dyn_sized_stack, 0
	.set _ZN9rocsparseL19gebsrmvn_2xn_kernelILj128ELj4ELj64E21rocsparse_complex_numIfEEEvi20rocsparse_direction_NS_24const_host_device_scalarIT2_EEPKiS8_PKS5_SA_S6_PS5_21rocsparse_index_base_b.has_recursion, 0
	.set _ZN9rocsparseL19gebsrmvn_2xn_kernelILj128ELj4ELj64E21rocsparse_complex_numIfEEEvi20rocsparse_direction_NS_24const_host_device_scalarIT2_EEPKiS8_PKS5_SA_S6_PS5_21rocsparse_index_base_b.has_indirect_call, 0
	.section	.AMDGPU.csdata,"",@progbits
; Kernel info:
; codeLenInByte = 2100
; TotalNumSgprs: 16
; NumVgprs: 44
; ScratchSize: 0
; MemoryBound: 0
; FloatMode: 240
; IeeeMode: 1
; LDSByteSize: 0 bytes/workgroup (compile time only)
; SGPRBlocks: 0
; VGPRBlocks: 2
; NumSGPRsForWavesPerEU: 16
; NumVGPRsForWavesPerEU: 44
; NamedBarCnt: 0
; Occupancy: 16
; WaveLimiterHint : 1
; COMPUTE_PGM_RSRC2:SCRATCH_EN: 0
; COMPUTE_PGM_RSRC2:USER_SGPR: 2
; COMPUTE_PGM_RSRC2:TRAP_HANDLER: 0
; COMPUTE_PGM_RSRC2:TGID_X_EN: 1
; COMPUTE_PGM_RSRC2:TGID_Y_EN: 0
; COMPUTE_PGM_RSRC2:TGID_Z_EN: 0
; COMPUTE_PGM_RSRC2:TIDIG_COMP_CNT: 0
	.section	.text._ZN9rocsparseL19gebsrmvn_2xn_kernelILj128ELj5ELj4E21rocsparse_complex_numIfEEEvi20rocsparse_direction_NS_24const_host_device_scalarIT2_EEPKiS8_PKS5_SA_S6_PS5_21rocsparse_index_base_b,"axG",@progbits,_ZN9rocsparseL19gebsrmvn_2xn_kernelILj128ELj5ELj4E21rocsparse_complex_numIfEEEvi20rocsparse_direction_NS_24const_host_device_scalarIT2_EEPKiS8_PKS5_SA_S6_PS5_21rocsparse_index_base_b,comdat
	.globl	_ZN9rocsparseL19gebsrmvn_2xn_kernelILj128ELj5ELj4E21rocsparse_complex_numIfEEEvi20rocsparse_direction_NS_24const_host_device_scalarIT2_EEPKiS8_PKS5_SA_S6_PS5_21rocsparse_index_base_b ; -- Begin function _ZN9rocsparseL19gebsrmvn_2xn_kernelILj128ELj5ELj4E21rocsparse_complex_numIfEEEvi20rocsparse_direction_NS_24const_host_device_scalarIT2_EEPKiS8_PKS5_SA_S6_PS5_21rocsparse_index_base_b
	.p2align	8
	.type	_ZN9rocsparseL19gebsrmvn_2xn_kernelILj128ELj5ELj4E21rocsparse_complex_numIfEEEvi20rocsparse_direction_NS_24const_host_device_scalarIT2_EEPKiS8_PKS5_SA_S6_PS5_21rocsparse_index_base_b,@function
_ZN9rocsparseL19gebsrmvn_2xn_kernelILj128ELj5ELj4E21rocsparse_complex_numIfEEEvi20rocsparse_direction_NS_24const_host_device_scalarIT2_EEPKiS8_PKS5_SA_S6_PS5_21rocsparse_index_base_b: ; @_ZN9rocsparseL19gebsrmvn_2xn_kernelILj128ELj5ELj4E21rocsparse_complex_numIfEEEvi20rocsparse_direction_NS_24const_host_device_scalarIT2_EEPKiS8_PKS5_SA_S6_PS5_21rocsparse_index_base_b
; %bb.0:
	s_clause 0x2
	s_load_b64 s[12:13], s[0:1], 0x40
	s_load_b64 s[2:3], s[0:1], 0x8
	;; [unrolled: 1-line block ×3, first 2 shown]
	v_mov_b32_e32 v1, 0
	s_add_nc_u64 s[6:7], s[0:1], 8
	s_add_nc_u64 s[8:9], s[0:1], 48
	s_wait_kmcnt 0x0
	s_bitcmp1_b32 s13, 0
	s_cselect_b32 s3, s7, s3
	s_cselect_b32 s2, s6, s2
	;; [unrolled: 1-line block ×4, first 2 shown]
	s_clause 0x1
	flat_load_b64 v[2:3], v1, s[2:3]
	flat_load_b64 v[4:5], v1, s[4:5]
	s_wait_loadcnt_dscnt 0x101
	v_cmp_eq_f32_e32 vcc_lo, 0, v2
	v_cmp_eq_f32_e64 s2, 0, v3
	s_wait_loadcnt_dscnt 0x0
	v_cmp_eq_f32_e64 s3, 1.0, v4
	v_cmp_eq_f32_e64 s4, 0, v5
	s_and_b32 s2, vcc_lo, s2
	s_and_b32 s3, s3, s4
	s_delay_alu instid0(SALU_CYCLE_1) | instskip(NEXT) | instid1(SALU_CYCLE_1)
	s_and_b32 s2, s2, s3
	s_xor_b32 s2, s2, -1
	s_delay_alu instid0(SALU_CYCLE_1)
	s_and_saveexec_b32 s3, s2
	s_cbranch_execz .LBB167_19
; %bb.1:
	s_load_b64 s[2:3], s[0:1], 0x0
	s_bfe_u32 s4, ttmp6, 0x4000c
	s_and_b32 s5, ttmp6, 15
	s_add_co_i32 s4, s4, 1
	s_getreg_b32 s6, hwreg(HW_REG_IB_STS2, 6, 4)
	s_mul_i32 s4, ttmp9, s4
	v_lshrrev_b32_e32 v1, 2, v0
	s_add_co_i32 s5, s5, s4
	s_cmp_eq_u32 s6, 0
	s_cselect_b32 s4, ttmp9, s5
	s_delay_alu instid0(VALU_DEP_1) | instid1(SALU_CYCLE_1)
	v_lshl_or_b32 v6, s4, 5, v1
	s_wait_kmcnt 0x0
	s_delay_alu instid0(VALU_DEP_1)
	v_cmp_gt_i32_e32 vcc_lo, s2, v6
	s_and_b32 exec_lo, exec_lo, vcc_lo
	s_cbranch_execz .LBB167_19
; %bb.2:
	s_load_b256 s[4:11], s[0:1], 0x10
	v_ashrrev_i32_e32 v7, 31, v6
	s_cmp_lg_u32 s3, 0
	s_wait_kmcnt 0x0
	s_delay_alu instid0(VALU_DEP_1)
	v_lshl_add_u64 v[8:9], v[6:7], 2, s[4:5]
	v_and_b32_e32 v7, 3, v0
	global_load_b64 v[8:9], v[8:9], off
	s_wait_loadcnt 0x0
	v_subrev_nc_u32_e32 v0, s12, v8
	v_subrev_nc_u32_e32 v14, s12, v9
	s_delay_alu instid0(VALU_DEP_2) | instskip(NEXT) | instid1(VALU_DEP_1)
	v_add_nc_u32_e32 v15, v0, v7
	v_cmp_lt_i32_e64 s2, v15, v14
	s_cbranch_scc0 .LBB167_8
; %bb.3:
	v_mov_b32_e32 v1, 0
	s_delay_alu instid0(VALU_DEP_1)
	v_dual_mov_b32 v0, v1 :: v_dual_mov_b32 v9, v1
	v_mov_b32_e32 v8, v1
	s_and_saveexec_b32 s3, s2
	s_cbranch_execz .LBB167_7
; %bb.4:
	v_mad_u32 v12, v15, 10, 8
	v_dual_mov_b32 v11, 0 :: v_dual_mov_b32 v16, v15
	s_mov_b32 s4, 0
	s_delay_alu instid0(VALU_DEP_1)
	v_dual_mov_b32 v8, v11 :: v_dual_mov_b32 v9, v11
	v_dual_mov_b32 v0, v11 :: v_dual_mov_b32 v1, v11
.LBB167_5:                              ; =>This Inner Loop Header: Depth=1
	global_load_b32 v13, v16, s[6:7] scale_offset
	s_wait_xcnt 0x0
	v_add_nc_u32_e32 v16, 4, v16
	s_delay_alu instid0(VALU_DEP_1) | instskip(SKIP_3) | instid1(VALU_DEP_1)
	v_cmp_ge_i32_e32 vcc_lo, v16, v14
	s_or_b32 s4, vcc_lo, s4
	s_wait_loadcnt 0x0
	v_subrev_nc_u32_e32 v13, s12, v13
	v_lshl_add_u32 v17, v13, 2, v13
	s_delay_alu instid0(VALU_DEP_1) | instskip(NEXT) | instid1(VALU_DEP_1)
	v_dual_add_nc_u32 v10, -8, v12 :: v_dual_add_nc_u32 v13, 1, v17
	v_lshl_add_u64 v[22:23], v[10:11], 3, s[8:9]
	v_add_nc_u32_e32 v10, -6, v12
	global_load_b128 v[18:21], v[22:23], off
	global_load_b64 v[38:39], v17, s[10:11] scale_offset
	v_lshl_add_u64 v[26:27], v[10:11], 3, s[8:9]
	global_load_b128 v[22:25], v[26:27], off
	global_load_b64 v[40:41], v13, s[10:11] scale_offset
	s_wait_xcnt 0x0
	v_dual_add_nc_u32 v10, -4, v12 :: v_dual_add_nc_u32 v13, 2, v17
	s_delay_alu instid0(VALU_DEP_1)
	v_lshl_add_u64 v[30:31], v[10:11], 3, s[8:9]
	v_add_nc_u32_e32 v10, -2, v12
	global_load_b128 v[26:29], v[30:31], off
	global_load_b64 v[42:43], v13, s[10:11] scale_offset
	v_lshl_add_u64 v[34:35], v[10:11], 3, s[8:9]
	s_wait_xcnt 0x0
	v_dual_mov_b32 v13, v11 :: v_dual_add_nc_u32 v10, 3, v17
	s_delay_alu instid0(VALU_DEP_1) | instskip(SKIP_4) | instid1(VALU_DEP_2)
	v_lshl_add_u64 v[46:47], v[12:13], 3, s[8:9]
	v_add_nc_u32_e32 v12, 40, v12
	s_wait_loadcnt 0x4
	v_pk_fma_f32 v[0:1], v[18:19], v[38:39], v[0:1] op_sel_hi:[1,0,1]
	v_pk_fma_f32 v[8:9], v[20:21], v[38:39], v[8:9] op_sel_hi:[1,0,1]
	v_pk_fma_f32 v[0:1], v[18:19], v[38:39], v[0:1] op_sel:[1,1,0] op_sel_hi:[0,1,1] neg_lo:[1,0,0]
	s_wait_loadcnt 0x3
	v_mov_b32_e32 v19, v24
	global_load_b128 v[30:33], v[34:35], off
	global_load_b64 v[44:45], v10, s[10:11] scale_offset
	s_wait_xcnt 0x0
	v_add_nc_u32_e32 v10, 4, v17
	global_load_b128 v[34:37], v[46:47], off
	global_load_b64 v[48:49], v10, s[10:11] scale_offset
	s_wait_xcnt 0x1
	v_xor_b32_e32 v46, 0x80000000, v21
	v_mov_b32_e32 v47, v20
	v_xor_b32_e32 v18, 0x80000000, v25
	s_wait_loadcnt 0x6
	v_pk_fma_f32 v[0:1], v[22:23], v[40:41], v[0:1] op_sel_hi:[1,0,1]
	s_delay_alu instid0(VALU_DEP_3) | instskip(NEXT) | instid1(VALU_DEP_2)
	v_pk_fma_f32 v[8:9], v[46:47], v[38:39], v[8:9] op_sel:[0,1,0]
	v_pk_fma_f32 v[0:1], v[22:23], v[40:41], v[0:1] op_sel:[1,1,0] op_sel_hi:[0,1,1] neg_lo:[1,0,0]
	s_delay_alu instid0(VALU_DEP_2) | instskip(SKIP_1) | instid1(VALU_DEP_2)
	v_pk_fma_f32 v[8:9], v[24:25], v[40:41], v[8:9] op_sel_hi:[1,0,1]
	s_wait_loadcnt 0x4
	v_pk_fma_f32 v[0:1], v[26:27], v[42:43], v[0:1] op_sel_hi:[1,0,1]
	s_delay_alu instid0(VALU_DEP_2) | instskip(SKIP_2) | instid1(VALU_DEP_4)
	v_pk_fma_f32 v[8:9], v[18:19], v[40:41], v[8:9] op_sel:[0,1,0]
	v_xor_b32_e32 v18, 0x80000000, v29
	v_mov_b32_e32 v19, v28
	v_pk_fma_f32 v[0:1], v[26:27], v[42:43], v[0:1] op_sel:[1,1,0] op_sel_hi:[0,1,1] neg_lo:[1,0,0]
	s_delay_alu instid0(VALU_DEP_4) | instskip(NEXT) | instid1(VALU_DEP_1)
	v_pk_fma_f32 v[8:9], v[28:29], v[42:43], v[8:9] op_sel_hi:[1,0,1]
	v_pk_fma_f32 v[8:9], v[18:19], v[42:43], v[8:9] op_sel:[0,1,0]
	s_wait_loadcnt 0x3
	v_xor_b32_e32 v18, 0x80000000, v33
	v_mov_b32_e32 v19, v32
	s_wait_loadcnt 0x2
	v_pk_fma_f32 v[0:1], v[30:31], v[44:45], v[0:1] op_sel_hi:[1,0,1]
	v_pk_fma_f32 v[8:9], v[32:33], v[44:45], v[8:9] op_sel_hi:[1,0,1]
	s_delay_alu instid0(VALU_DEP_2) | instskip(NEXT) | instid1(VALU_DEP_2)
	v_pk_fma_f32 v[0:1], v[30:31], v[44:45], v[0:1] op_sel:[1,1,0] op_sel_hi:[0,1,1] neg_lo:[1,0,0]
	v_pk_fma_f32 v[8:9], v[18:19], v[44:45], v[8:9] op_sel:[0,1,0]
	s_wait_loadcnt 0x1
	v_xor_b32_e32 v18, 0x80000000, v37
	v_mov_b32_e32 v19, v36
	s_wait_loadcnt 0x0
	v_pk_fma_f32 v[0:1], v[34:35], v[48:49], v[0:1] op_sel_hi:[1,0,1]
	v_pk_fma_f32 v[8:9], v[36:37], v[48:49], v[8:9] op_sel_hi:[1,0,1]
	s_delay_alu instid0(VALU_DEP_2) | instskip(NEXT) | instid1(VALU_DEP_2)
	v_pk_fma_f32 v[0:1], v[34:35], v[48:49], v[0:1] op_sel:[1,1,0] op_sel_hi:[0,1,1] neg_lo:[1,0,0]
	v_pk_fma_f32 v[8:9], v[18:19], v[48:49], v[8:9] op_sel:[0,1,0]
	s_and_not1_b32 exec_lo, exec_lo, s4
	s_cbranch_execnz .LBB167_5
; %bb.6:
	s_or_b32 exec_lo, exec_lo, s4
.LBB167_7:
	s_delay_alu instid0(SALU_CYCLE_1)
	s_or_b32 exec_lo, exec_lo, s3
	s_cbranch_execz .LBB167_9
	s_branch .LBB167_14
.LBB167_8:
                                        ; implicit-def: $vgpr1
                                        ; implicit-def: $vgpr9
.LBB167_9:
	v_mov_b32_e32 v1, 0
	s_delay_alu instid0(VALU_DEP_1)
	v_dual_mov_b32 v0, v1 :: v_dual_mov_b32 v9, v1
	v_mov_b32_e32 v8, v1
	s_and_saveexec_b32 s3, s2
	s_cbranch_execz .LBB167_13
; %bb.10:
	v_mad_u32 v12, v15, 10, 9
	v_mov_b32_e32 v11, 0
	s_mov_b32 s2, 0
	s_delay_alu instid0(VALU_DEP_1)
	v_dual_mov_b32 v8, v11 :: v_dual_mov_b32 v9, v11
	v_dual_mov_b32 v0, v11 :: v_dual_mov_b32 v1, v11
.LBB167_11:                             ; =>This Inner Loop Header: Depth=1
	global_load_b32 v13, v15, s[6:7] scale_offset
	v_dual_add_nc_u32 v10, -9, v12 :: v_dual_add_nc_u32 v26, -4, v12
	v_dual_add_nc_u32 v30, -3, v12 :: v_dual_add_nc_u32 v42, -1, v12
	s_wait_xcnt 0x0
	v_add_nc_u32_e32 v15, 4, v15
	s_delay_alu instid0(VALU_DEP_3) | instskip(NEXT) | instid1(VALU_DEP_2)
	v_lshl_add_u64 v[20:21], v[10:11], 3, s[8:9]
	v_cmp_ge_i32_e32 vcc_lo, v15, v14
	s_or_b32 s2, vcc_lo, s2
	s_wait_loadcnt 0x0
	v_subrev_nc_u32_e32 v13, s12, v13
	s_delay_alu instid0(VALU_DEP_1)
	v_lshl_add_u32 v10, v13, 2, v13
	s_clause 0x1
	global_load_b128 v[16:19], v[20:21], off
	global_load_b64 v[22:23], v26, s[8:9] scale_offset
	global_load_b64 v[24:25], v10, s[10:11] scale_offset
	v_dual_add_nc_u32 v13, -7, v12 :: v_dual_add_nc_u32 v31, 1, v10
	s_clause 0x1
	global_load_b64 v[20:21], v13, s[8:9] scale_offset
	global_load_b64 v[26:27], v30, s[8:9] scale_offset
	;; [unrolled: 1-line block ×3, first 2 shown]
	s_wait_xcnt 0x2
	v_dual_add_nc_u32 v13, -6, v12 :: v_dual_add_nc_u32 v36, -2, v12
	v_add_nc_u32_e32 v37, 2, v10
	s_clause 0x1
	global_load_b64 v[30:31], v13, s[8:9] scale_offset
	global_load_b64 v[32:33], v36, s[8:9] scale_offset
	;; [unrolled: 1-line block ×3, first 2 shown]
	s_wait_xcnt 0x2
	v_dual_add_nc_u32 v13, -5, v12 :: v_dual_add_nc_u32 v43, 3, v10
	v_add_nc_u32_e32 v10, 4, v10
	s_clause 0x1
	global_load_b64 v[36:37], v13, s[8:9] scale_offset
	global_load_b64 v[38:39], v42, s[8:9] scale_offset
	;; [unrolled: 1-line block ×5, first 2 shown]
	s_wait_xcnt 0x1
	v_add_nc_u32_e32 v12, 40, v12
	s_wait_loadcnt 0xb
	v_pk_fma_f32 v[0:1], v[16:17], v[24:25], v[0:1] op_sel_hi:[1,0,1]
	v_pk_fma_f32 v[8:9], v[22:23], v[24:25], v[8:9] op_sel_hi:[1,0,1]
	s_delay_alu instid0(VALU_DEP_2) | instskip(NEXT) | instid1(VALU_DEP_2)
	v_pk_fma_f32 v[0:1], v[16:17], v[24:25], v[0:1] op_sel:[1,1,0] op_sel_hi:[0,1,1] neg_lo:[1,0,0]
	v_pk_fma_f32 v[8:9], v[22:23], v[24:25], v[8:9] op_sel:[1,1,0] op_sel_hi:[0,1,1] neg_lo:[1,0,0]
	v_xor_b32_e32 v16, 0x80000000, v19
	v_mov_b32_e32 v17, v18
	s_wait_loadcnt 0x8
	v_pk_fma_f32 v[0:1], v[18:19], v[28:29], v[0:1] op_sel_hi:[1,0,1]
	v_pk_fma_f32 v[8:9], v[26:27], v[28:29], v[8:9] op_sel_hi:[1,0,1]
	s_delay_alu instid0(VALU_DEP_2) | instskip(NEXT) | instid1(VALU_DEP_2)
	v_pk_fma_f32 v[0:1], v[16:17], v[28:29], v[0:1] op_sel:[0,1,0]
	v_pk_fma_f32 v[8:9], v[26:27], v[28:29], v[8:9] op_sel:[1,1,0] op_sel_hi:[0,1,1] neg_lo:[1,0,0]
	s_wait_loadcnt 0x5
	s_delay_alu instid0(VALU_DEP_2) | instskip(NEXT) | instid1(VALU_DEP_2)
	v_pk_fma_f32 v[0:1], v[20:21], v[34:35], v[0:1] op_sel_hi:[1,0,1]
	v_pk_fma_f32 v[8:9], v[32:33], v[34:35], v[8:9] op_sel_hi:[1,0,1]
	s_delay_alu instid0(VALU_DEP_2) | instskip(NEXT) | instid1(VALU_DEP_2)
	v_pk_fma_f32 v[0:1], v[20:21], v[34:35], v[0:1] op_sel:[1,1,0] op_sel_hi:[0,1,1] neg_lo:[1,0,0]
	v_pk_fma_f32 v[8:9], v[32:33], v[34:35], v[8:9] op_sel:[1,1,0] op_sel_hi:[0,1,1] neg_lo:[1,0,0]
	s_wait_loadcnt 0x2
	s_delay_alu instid0(VALU_DEP_2) | instskip(NEXT) | instid1(VALU_DEP_2)
	v_pk_fma_f32 v[0:1], v[30:31], v[40:41], v[0:1] op_sel_hi:[1,0,1]
	v_pk_fma_f32 v[8:9], v[38:39], v[40:41], v[8:9] op_sel_hi:[1,0,1]
	s_delay_alu instid0(VALU_DEP_2) | instskip(NEXT) | instid1(VALU_DEP_2)
	v_pk_fma_f32 v[0:1], v[30:31], v[40:41], v[0:1] op_sel:[1,1,0] op_sel_hi:[0,1,1] neg_lo:[1,0,0]
	;; [unrolled: 7-line block ×3, first 2 shown]
	v_pk_fma_f32 v[8:9], v[42:43], v[44:45], v[8:9] op_sel:[1,1,0] op_sel_hi:[0,1,1] neg_lo:[1,0,0]
	s_and_not1_b32 exec_lo, exec_lo, s2
	s_cbranch_execnz .LBB167_11
; %bb.12:
	s_or_b32 exec_lo, exec_lo, s2
.LBB167_13:
	s_delay_alu instid0(SALU_CYCLE_1)
	s_or_b32 exec_lo, exec_lo, s3
.LBB167_14:
	v_mbcnt_lo_u32_b32 v10, -1, 0
	s_delay_alu instid0(VALU_DEP_1) | instskip(SKIP_1) | instid1(VALU_DEP_1)
	v_xor_b32_e32 v15, 1, v10
	v_xor_b32_e32 v11, 2, v10
	v_cmp_gt_i32_e32 vcc_lo, 32, v11
	v_cndmask_b32_e32 v11, v10, v11, vcc_lo
	s_delay_alu instid0(VALU_DEP_4) | instskip(SKIP_2) | instid1(VALU_DEP_2)
	v_cmp_gt_i32_e32 vcc_lo, 32, v15
	v_cndmask_b32_e32 v10, v10, v15, vcc_lo
	v_cmp_eq_u32_e32 vcc_lo, 3, v7
	v_dual_lshlrev_b32 v15, 2, v10 :: v_dual_lshlrev_b32 v11, 2, v11
	ds_bpermute_b32 v12, v11, v0
	s_wait_dscnt 0x0
	v_add_f32_e32 v0, v0, v12
	ds_bpermute_b32 v13, v11, v1
	ds_bpermute_b32 v14, v11, v8
	;; [unrolled: 1-line block ×4, first 2 shown]
	s_wait_dscnt 0x2
	v_dual_add_f32 v10, v1, v13 :: v_dual_add_f32 v1, v8, v14
	s_wait_dscnt 0x1
	v_add_f32_e32 v9, v9, v11
	ds_bpermute_b32 v13, v15, v10
	ds_bpermute_b32 v8, v15, v1
	;; [unrolled: 1-line block ×3, first 2 shown]
	s_and_b32 exec_lo, exec_lo, vcc_lo
	s_cbranch_execz .LBB167_19
; %bb.15:
	s_load_b64 s[2:3], s[0:1], 0x38
	v_cmp_eq_f32_e32 vcc_lo, 0, v4
	s_wait_xcnt 0x0
	v_cmp_eq_f32_e64 s0, 0, v5
	s_wait_dscnt 0x2
	v_dual_add_f32 v0, v0, v12 :: v_dual_add_f32 v12, v10, v13
	s_wait_dscnt 0x1
	v_add_f32_e32 v8, v1, v8
	s_wait_dscnt 0x0
	v_add_f32_e32 v10, v9, v11
	s_and_b32 s0, vcc_lo, s0
	s_delay_alu instid0(SALU_CYCLE_1) | instskip(NEXT) | instid1(SALU_CYCLE_1)
	s_and_saveexec_b32 s1, s0
	s_xor_b32 s0, exec_lo, s1
	s_cbranch_execz .LBB167_17
; %bb.16:
	v_xor_b32_e32 v4, 0x80000000, v3
	v_dual_mov_b32 v5, v2 :: v_dual_lshlrev_b32 v6, 1, v6
	s_delay_alu instid0(VALU_DEP_1) | instskip(NEXT) | instid1(VALU_DEP_2)
	v_ashrrev_i32_e32 v7, 31, v6
	v_pk_mul_f32 v[12:13], v[12:13], v[4:5] op_sel_hi:[0,1]
	v_pk_mul_f32 v[4:5], v[10:11], v[4:5] op_sel_hi:[0,1]
                                        ; implicit-def: $vgpr10
	s_wait_kmcnt 0x0
	s_delay_alu instid0(VALU_DEP_3) | instskip(NEXT) | instid1(VALU_DEP_3)
	v_lshl_add_u64 v[6:7], v[6:7], 3, s[2:3]
	v_pk_fma_f32 v[0:1], v[2:3], v[0:1], v[12:13] op_sel_hi:[1,0,1]
	s_delay_alu instid0(VALU_DEP_3)
	v_pk_fma_f32 v[2:3], v[2:3], v[8:9], v[4:5] op_sel_hi:[1,0,1]
                                        ; implicit-def: $vgpr4_vgpr5
                                        ; implicit-def: $vgpr12
                                        ; implicit-def: $vgpr8
	global_store_b128 v[6:7], v[0:3], off
                                        ; implicit-def: $vgpr6
                                        ; implicit-def: $vgpr2_vgpr3
                                        ; implicit-def: $vgpr0
.LBB167_17:
	s_wait_xcnt 0x0
	s_and_not1_saveexec_b32 s0, s0
	s_cbranch_execz .LBB167_19
; %bb.18:
	v_dual_mov_b32 v19, v2 :: v_dual_lshlrev_b32 v6, 1, v6
	v_xor_b32_e32 v18, 0x80000000, v3
	s_delay_alu instid0(VALU_DEP_2) | instskip(NEXT) | instid1(VALU_DEP_2)
	v_ashrrev_i32_e32 v7, 31, v6
	v_pk_mul_f32 v[12:13], v[12:13], v[18:19] op_sel_hi:[0,1]
	v_pk_mul_f32 v[10:11], v[10:11], v[18:19] op_sel_hi:[0,1]
	s_delay_alu instid0(VALU_DEP_2) | instskip(NEXT) | instid1(VALU_DEP_2)
	v_pk_fma_f32 v[0:1], v[2:3], v[0:1], v[12:13] op_sel_hi:[1,0,1]
	v_pk_fma_f32 v[2:3], v[2:3], v[8:9], v[10:11] op_sel_hi:[1,0,1]
	v_mov_b32_e32 v9, v4
	s_wait_kmcnt 0x0
	v_lshl_add_u64 v[6:7], v[6:7], 3, s[2:3]
	v_xor_b32_e32 v8, 0x80000000, v5
	global_load_b128 v[14:17], v[6:7], off
	s_wait_loadcnt 0x0
	v_pk_fma_f32 v[0:1], v[4:5], v[14:15], v[0:1] op_sel_hi:[1,0,1]
	v_pk_fma_f32 v[2:3], v[4:5], v[16:17], v[2:3] op_sel_hi:[1,0,1]
	v_mov_b32_e32 v4, v17
	s_delay_alu instid0(VALU_DEP_3) | instskip(NEXT) | instid1(VALU_DEP_2)
	v_pk_fma_f32 v[0:1], v[8:9], v[14:15], v[0:1] op_sel:[0,1,0]
	v_pk_fma_f32 v[2:3], v[8:9], v[4:5], v[2:3] op_sel_hi:[1,0,1]
	global_store_b128 v[6:7], v[0:3], off
.LBB167_19:
	s_endpgm
	.section	.rodata,"a",@progbits
	.p2align	6, 0x0
	.amdhsa_kernel _ZN9rocsparseL19gebsrmvn_2xn_kernelILj128ELj5ELj4E21rocsparse_complex_numIfEEEvi20rocsparse_direction_NS_24const_host_device_scalarIT2_EEPKiS8_PKS5_SA_S6_PS5_21rocsparse_index_base_b
		.amdhsa_group_segment_fixed_size 0
		.amdhsa_private_segment_fixed_size 0
		.amdhsa_kernarg_size 72
		.amdhsa_user_sgpr_count 2
		.amdhsa_user_sgpr_dispatch_ptr 0
		.amdhsa_user_sgpr_queue_ptr 0
		.amdhsa_user_sgpr_kernarg_segment_ptr 1
		.amdhsa_user_sgpr_dispatch_id 0
		.amdhsa_user_sgpr_kernarg_preload_length 0
		.amdhsa_user_sgpr_kernarg_preload_offset 0
		.amdhsa_user_sgpr_private_segment_size 0
		.amdhsa_wavefront_size32 1
		.amdhsa_uses_dynamic_stack 0
		.amdhsa_enable_private_segment 0
		.amdhsa_system_sgpr_workgroup_id_x 1
		.amdhsa_system_sgpr_workgroup_id_y 0
		.amdhsa_system_sgpr_workgroup_id_z 0
		.amdhsa_system_sgpr_workgroup_info 0
		.amdhsa_system_vgpr_workitem_id 0
		.amdhsa_next_free_vgpr 50
		.amdhsa_next_free_sgpr 14
		.amdhsa_named_barrier_count 0
		.amdhsa_reserve_vcc 1
		.amdhsa_float_round_mode_32 0
		.amdhsa_float_round_mode_16_64 0
		.amdhsa_float_denorm_mode_32 3
		.amdhsa_float_denorm_mode_16_64 3
		.amdhsa_fp16_overflow 0
		.amdhsa_memory_ordered 1
		.amdhsa_forward_progress 1
		.amdhsa_inst_pref_size 17
		.amdhsa_round_robin_scheduling 0
		.amdhsa_exception_fp_ieee_invalid_op 0
		.amdhsa_exception_fp_denorm_src 0
		.amdhsa_exception_fp_ieee_div_zero 0
		.amdhsa_exception_fp_ieee_overflow 0
		.amdhsa_exception_fp_ieee_underflow 0
		.amdhsa_exception_fp_ieee_inexact 0
		.amdhsa_exception_int_div_zero 0
	.end_amdhsa_kernel
	.section	.text._ZN9rocsparseL19gebsrmvn_2xn_kernelILj128ELj5ELj4E21rocsparse_complex_numIfEEEvi20rocsparse_direction_NS_24const_host_device_scalarIT2_EEPKiS8_PKS5_SA_S6_PS5_21rocsparse_index_base_b,"axG",@progbits,_ZN9rocsparseL19gebsrmvn_2xn_kernelILj128ELj5ELj4E21rocsparse_complex_numIfEEEvi20rocsparse_direction_NS_24const_host_device_scalarIT2_EEPKiS8_PKS5_SA_S6_PS5_21rocsparse_index_base_b,comdat
.Lfunc_end167:
	.size	_ZN9rocsparseL19gebsrmvn_2xn_kernelILj128ELj5ELj4E21rocsparse_complex_numIfEEEvi20rocsparse_direction_NS_24const_host_device_scalarIT2_EEPKiS8_PKS5_SA_S6_PS5_21rocsparse_index_base_b, .Lfunc_end167-_ZN9rocsparseL19gebsrmvn_2xn_kernelILj128ELj5ELj4E21rocsparse_complex_numIfEEEvi20rocsparse_direction_NS_24const_host_device_scalarIT2_EEPKiS8_PKS5_SA_S6_PS5_21rocsparse_index_base_b
                                        ; -- End function
	.set _ZN9rocsparseL19gebsrmvn_2xn_kernelILj128ELj5ELj4E21rocsparse_complex_numIfEEEvi20rocsparse_direction_NS_24const_host_device_scalarIT2_EEPKiS8_PKS5_SA_S6_PS5_21rocsparse_index_base_b.num_vgpr, 50
	.set _ZN9rocsparseL19gebsrmvn_2xn_kernelILj128ELj5ELj4E21rocsparse_complex_numIfEEEvi20rocsparse_direction_NS_24const_host_device_scalarIT2_EEPKiS8_PKS5_SA_S6_PS5_21rocsparse_index_base_b.num_agpr, 0
	.set _ZN9rocsparseL19gebsrmvn_2xn_kernelILj128ELj5ELj4E21rocsparse_complex_numIfEEEvi20rocsparse_direction_NS_24const_host_device_scalarIT2_EEPKiS8_PKS5_SA_S6_PS5_21rocsparse_index_base_b.numbered_sgpr, 14
	.set _ZN9rocsparseL19gebsrmvn_2xn_kernelILj128ELj5ELj4E21rocsparse_complex_numIfEEEvi20rocsparse_direction_NS_24const_host_device_scalarIT2_EEPKiS8_PKS5_SA_S6_PS5_21rocsparse_index_base_b.num_named_barrier, 0
	.set _ZN9rocsparseL19gebsrmvn_2xn_kernelILj128ELj5ELj4E21rocsparse_complex_numIfEEEvi20rocsparse_direction_NS_24const_host_device_scalarIT2_EEPKiS8_PKS5_SA_S6_PS5_21rocsparse_index_base_b.private_seg_size, 0
	.set _ZN9rocsparseL19gebsrmvn_2xn_kernelILj128ELj5ELj4E21rocsparse_complex_numIfEEEvi20rocsparse_direction_NS_24const_host_device_scalarIT2_EEPKiS8_PKS5_SA_S6_PS5_21rocsparse_index_base_b.uses_vcc, 1
	.set _ZN9rocsparseL19gebsrmvn_2xn_kernelILj128ELj5ELj4E21rocsparse_complex_numIfEEEvi20rocsparse_direction_NS_24const_host_device_scalarIT2_EEPKiS8_PKS5_SA_S6_PS5_21rocsparse_index_base_b.uses_flat_scratch, 1
	.set _ZN9rocsparseL19gebsrmvn_2xn_kernelILj128ELj5ELj4E21rocsparse_complex_numIfEEEvi20rocsparse_direction_NS_24const_host_device_scalarIT2_EEPKiS8_PKS5_SA_S6_PS5_21rocsparse_index_base_b.has_dyn_sized_stack, 0
	.set _ZN9rocsparseL19gebsrmvn_2xn_kernelILj128ELj5ELj4E21rocsparse_complex_numIfEEEvi20rocsparse_direction_NS_24const_host_device_scalarIT2_EEPKiS8_PKS5_SA_S6_PS5_21rocsparse_index_base_b.has_recursion, 0
	.set _ZN9rocsparseL19gebsrmvn_2xn_kernelILj128ELj5ELj4E21rocsparse_complex_numIfEEEvi20rocsparse_direction_NS_24const_host_device_scalarIT2_EEPKiS8_PKS5_SA_S6_PS5_21rocsparse_index_base_b.has_indirect_call, 0
	.section	.AMDGPU.csdata,"",@progbits
; Kernel info:
; codeLenInByte = 2100
; TotalNumSgprs: 16
; NumVgprs: 50
; ScratchSize: 0
; MemoryBound: 0
; FloatMode: 240
; IeeeMode: 1
; LDSByteSize: 0 bytes/workgroup (compile time only)
; SGPRBlocks: 0
; VGPRBlocks: 3
; NumSGPRsForWavesPerEU: 16
; NumVGPRsForWavesPerEU: 50
; NamedBarCnt: 0
; Occupancy: 16
; WaveLimiterHint : 1
; COMPUTE_PGM_RSRC2:SCRATCH_EN: 0
; COMPUTE_PGM_RSRC2:USER_SGPR: 2
; COMPUTE_PGM_RSRC2:TRAP_HANDLER: 0
; COMPUTE_PGM_RSRC2:TGID_X_EN: 1
; COMPUTE_PGM_RSRC2:TGID_Y_EN: 0
; COMPUTE_PGM_RSRC2:TGID_Z_EN: 0
; COMPUTE_PGM_RSRC2:TIDIG_COMP_CNT: 0
	.section	.text._ZN9rocsparseL19gebsrmvn_2xn_kernelILj128ELj5ELj8E21rocsparse_complex_numIfEEEvi20rocsparse_direction_NS_24const_host_device_scalarIT2_EEPKiS8_PKS5_SA_S6_PS5_21rocsparse_index_base_b,"axG",@progbits,_ZN9rocsparseL19gebsrmvn_2xn_kernelILj128ELj5ELj8E21rocsparse_complex_numIfEEEvi20rocsparse_direction_NS_24const_host_device_scalarIT2_EEPKiS8_PKS5_SA_S6_PS5_21rocsparse_index_base_b,comdat
	.globl	_ZN9rocsparseL19gebsrmvn_2xn_kernelILj128ELj5ELj8E21rocsparse_complex_numIfEEEvi20rocsparse_direction_NS_24const_host_device_scalarIT2_EEPKiS8_PKS5_SA_S6_PS5_21rocsparse_index_base_b ; -- Begin function _ZN9rocsparseL19gebsrmvn_2xn_kernelILj128ELj5ELj8E21rocsparse_complex_numIfEEEvi20rocsparse_direction_NS_24const_host_device_scalarIT2_EEPKiS8_PKS5_SA_S6_PS5_21rocsparse_index_base_b
	.p2align	8
	.type	_ZN9rocsparseL19gebsrmvn_2xn_kernelILj128ELj5ELj8E21rocsparse_complex_numIfEEEvi20rocsparse_direction_NS_24const_host_device_scalarIT2_EEPKiS8_PKS5_SA_S6_PS5_21rocsparse_index_base_b,@function
_ZN9rocsparseL19gebsrmvn_2xn_kernelILj128ELj5ELj8E21rocsparse_complex_numIfEEEvi20rocsparse_direction_NS_24const_host_device_scalarIT2_EEPKiS8_PKS5_SA_S6_PS5_21rocsparse_index_base_b: ; @_ZN9rocsparseL19gebsrmvn_2xn_kernelILj128ELj5ELj8E21rocsparse_complex_numIfEEEvi20rocsparse_direction_NS_24const_host_device_scalarIT2_EEPKiS8_PKS5_SA_S6_PS5_21rocsparse_index_base_b
; %bb.0:
	s_clause 0x2
	s_load_b64 s[12:13], s[0:1], 0x40
	s_load_b64 s[2:3], s[0:1], 0x8
	s_load_b64 s[4:5], s[0:1], 0x30
	v_mov_b32_e32 v1, 0
	s_add_nc_u64 s[6:7], s[0:1], 8
	s_add_nc_u64 s[8:9], s[0:1], 48
	s_wait_kmcnt 0x0
	s_bitcmp1_b32 s13, 0
	s_cselect_b32 s3, s7, s3
	s_cselect_b32 s2, s6, s2
	;; [unrolled: 1-line block ×4, first 2 shown]
	s_clause 0x1
	flat_load_b64 v[2:3], v1, s[2:3]
	flat_load_b64 v[4:5], v1, s[4:5]
	s_wait_loadcnt_dscnt 0x101
	v_cmp_eq_f32_e32 vcc_lo, 0, v2
	v_cmp_eq_f32_e64 s2, 0, v3
	s_wait_loadcnt_dscnt 0x0
	v_cmp_eq_f32_e64 s3, 1.0, v4
	v_cmp_eq_f32_e64 s4, 0, v5
	s_and_b32 s2, vcc_lo, s2
	s_and_b32 s3, s3, s4
	s_delay_alu instid0(SALU_CYCLE_1) | instskip(NEXT) | instid1(SALU_CYCLE_1)
	s_and_b32 s2, s2, s3
	s_xor_b32 s2, s2, -1
	s_delay_alu instid0(SALU_CYCLE_1)
	s_and_saveexec_b32 s3, s2
	s_cbranch_execz .LBB168_19
; %bb.1:
	s_load_b64 s[2:3], s[0:1], 0x0
	s_bfe_u32 s4, ttmp6, 0x4000c
	s_and_b32 s5, ttmp6, 15
	s_add_co_i32 s4, s4, 1
	s_getreg_b32 s6, hwreg(HW_REG_IB_STS2, 6, 4)
	s_mul_i32 s4, ttmp9, s4
	v_lshrrev_b32_e32 v1, 3, v0
	s_add_co_i32 s5, s5, s4
	s_cmp_eq_u32 s6, 0
	s_cselect_b32 s4, ttmp9, s5
	s_delay_alu instid0(VALU_DEP_1) | instid1(SALU_CYCLE_1)
	v_lshl_or_b32 v6, s4, 4, v1
	s_wait_kmcnt 0x0
	s_delay_alu instid0(VALU_DEP_1)
	v_cmp_gt_i32_e32 vcc_lo, s2, v6
	s_and_b32 exec_lo, exec_lo, vcc_lo
	s_cbranch_execz .LBB168_19
; %bb.2:
	s_load_b256 s[4:11], s[0:1], 0x10
	v_ashrrev_i32_e32 v7, 31, v6
	s_cmp_lg_u32 s3, 0
	s_wait_kmcnt 0x0
	s_delay_alu instid0(VALU_DEP_1)
	v_lshl_add_u64 v[8:9], v[6:7], 2, s[4:5]
	v_and_b32_e32 v7, 7, v0
	global_load_b64 v[8:9], v[8:9], off
	s_wait_loadcnt 0x0
	v_subrev_nc_u32_e32 v0, s12, v8
	v_subrev_nc_u32_e32 v14, s12, v9
	s_delay_alu instid0(VALU_DEP_2) | instskip(NEXT) | instid1(VALU_DEP_1)
	v_add_nc_u32_e32 v15, v0, v7
	v_cmp_lt_i32_e64 s2, v15, v14
	s_cbranch_scc0 .LBB168_8
; %bb.3:
	v_mov_b32_e32 v1, 0
	s_delay_alu instid0(VALU_DEP_1)
	v_dual_mov_b32 v0, v1 :: v_dual_mov_b32 v9, v1
	v_mov_b32_e32 v8, v1
	s_and_saveexec_b32 s3, s2
	s_cbranch_execz .LBB168_7
; %bb.4:
	v_mad_u32 v12, v15, 10, 8
	v_dual_mov_b32 v11, 0 :: v_dual_mov_b32 v16, v15
	s_mov_b32 s4, 0
	s_delay_alu instid0(VALU_DEP_1)
	v_dual_mov_b32 v8, v11 :: v_dual_mov_b32 v9, v11
	v_dual_mov_b32 v0, v11 :: v_dual_mov_b32 v1, v11
.LBB168_5:                              ; =>This Inner Loop Header: Depth=1
	global_load_b32 v13, v16, s[6:7] scale_offset
	s_wait_xcnt 0x0
	v_add_nc_u32_e32 v16, 8, v16
	s_delay_alu instid0(VALU_DEP_1) | instskip(SKIP_3) | instid1(VALU_DEP_1)
	v_cmp_ge_i32_e32 vcc_lo, v16, v14
	s_or_b32 s4, vcc_lo, s4
	s_wait_loadcnt 0x0
	v_subrev_nc_u32_e32 v13, s12, v13
	v_lshl_add_u32 v17, v13, 2, v13
	s_delay_alu instid0(VALU_DEP_1) | instskip(NEXT) | instid1(VALU_DEP_1)
	v_dual_add_nc_u32 v10, -8, v12 :: v_dual_add_nc_u32 v13, 1, v17
	v_lshl_add_u64 v[22:23], v[10:11], 3, s[8:9]
	v_add_nc_u32_e32 v10, -6, v12
	global_load_b128 v[18:21], v[22:23], off
	global_load_b64 v[38:39], v17, s[10:11] scale_offset
	v_lshl_add_u64 v[26:27], v[10:11], 3, s[8:9]
	global_load_b128 v[22:25], v[26:27], off
	global_load_b64 v[40:41], v13, s[10:11] scale_offset
	s_wait_xcnt 0x0
	v_dual_add_nc_u32 v10, -4, v12 :: v_dual_add_nc_u32 v13, 2, v17
	s_delay_alu instid0(VALU_DEP_1)
	v_lshl_add_u64 v[30:31], v[10:11], 3, s[8:9]
	v_add_nc_u32_e32 v10, -2, v12
	global_load_b128 v[26:29], v[30:31], off
	global_load_b64 v[42:43], v13, s[10:11] scale_offset
	v_lshl_add_u64 v[34:35], v[10:11], 3, s[8:9]
	s_wait_xcnt 0x0
	v_dual_mov_b32 v13, v11 :: v_dual_add_nc_u32 v10, 3, v17
	s_delay_alu instid0(VALU_DEP_1) | instskip(SKIP_4) | instid1(VALU_DEP_2)
	v_lshl_add_u64 v[46:47], v[12:13], 3, s[8:9]
	v_add_nc_u32_e32 v12, 0x50, v12
	s_wait_loadcnt 0x4
	v_pk_fma_f32 v[0:1], v[18:19], v[38:39], v[0:1] op_sel_hi:[1,0,1]
	v_pk_fma_f32 v[8:9], v[20:21], v[38:39], v[8:9] op_sel_hi:[1,0,1]
	v_pk_fma_f32 v[0:1], v[18:19], v[38:39], v[0:1] op_sel:[1,1,0] op_sel_hi:[0,1,1] neg_lo:[1,0,0]
	s_wait_loadcnt 0x3
	v_mov_b32_e32 v19, v24
	global_load_b128 v[30:33], v[34:35], off
	global_load_b64 v[44:45], v10, s[10:11] scale_offset
	s_wait_xcnt 0x0
	v_add_nc_u32_e32 v10, 4, v17
	global_load_b128 v[34:37], v[46:47], off
	global_load_b64 v[48:49], v10, s[10:11] scale_offset
	s_wait_xcnt 0x1
	v_xor_b32_e32 v46, 0x80000000, v21
	v_mov_b32_e32 v47, v20
	v_xor_b32_e32 v18, 0x80000000, v25
	s_wait_loadcnt 0x6
	v_pk_fma_f32 v[0:1], v[22:23], v[40:41], v[0:1] op_sel_hi:[1,0,1]
	s_delay_alu instid0(VALU_DEP_3) | instskip(NEXT) | instid1(VALU_DEP_2)
	v_pk_fma_f32 v[8:9], v[46:47], v[38:39], v[8:9] op_sel:[0,1,0]
	v_pk_fma_f32 v[0:1], v[22:23], v[40:41], v[0:1] op_sel:[1,1,0] op_sel_hi:[0,1,1] neg_lo:[1,0,0]
	s_delay_alu instid0(VALU_DEP_2) | instskip(SKIP_1) | instid1(VALU_DEP_2)
	v_pk_fma_f32 v[8:9], v[24:25], v[40:41], v[8:9] op_sel_hi:[1,0,1]
	s_wait_loadcnt 0x4
	v_pk_fma_f32 v[0:1], v[26:27], v[42:43], v[0:1] op_sel_hi:[1,0,1]
	s_delay_alu instid0(VALU_DEP_2) | instskip(SKIP_2) | instid1(VALU_DEP_4)
	v_pk_fma_f32 v[8:9], v[18:19], v[40:41], v[8:9] op_sel:[0,1,0]
	v_xor_b32_e32 v18, 0x80000000, v29
	v_mov_b32_e32 v19, v28
	v_pk_fma_f32 v[0:1], v[26:27], v[42:43], v[0:1] op_sel:[1,1,0] op_sel_hi:[0,1,1] neg_lo:[1,0,0]
	s_delay_alu instid0(VALU_DEP_4) | instskip(NEXT) | instid1(VALU_DEP_1)
	v_pk_fma_f32 v[8:9], v[28:29], v[42:43], v[8:9] op_sel_hi:[1,0,1]
	v_pk_fma_f32 v[8:9], v[18:19], v[42:43], v[8:9] op_sel:[0,1,0]
	s_wait_loadcnt 0x3
	v_xor_b32_e32 v18, 0x80000000, v33
	v_mov_b32_e32 v19, v32
	s_wait_loadcnt 0x2
	v_pk_fma_f32 v[0:1], v[30:31], v[44:45], v[0:1] op_sel_hi:[1,0,1]
	v_pk_fma_f32 v[8:9], v[32:33], v[44:45], v[8:9] op_sel_hi:[1,0,1]
	s_delay_alu instid0(VALU_DEP_2) | instskip(NEXT) | instid1(VALU_DEP_2)
	v_pk_fma_f32 v[0:1], v[30:31], v[44:45], v[0:1] op_sel:[1,1,0] op_sel_hi:[0,1,1] neg_lo:[1,0,0]
	v_pk_fma_f32 v[8:9], v[18:19], v[44:45], v[8:9] op_sel:[0,1,0]
	s_wait_loadcnt 0x1
	v_xor_b32_e32 v18, 0x80000000, v37
	v_mov_b32_e32 v19, v36
	s_wait_loadcnt 0x0
	v_pk_fma_f32 v[0:1], v[34:35], v[48:49], v[0:1] op_sel_hi:[1,0,1]
	v_pk_fma_f32 v[8:9], v[36:37], v[48:49], v[8:9] op_sel_hi:[1,0,1]
	s_delay_alu instid0(VALU_DEP_2) | instskip(NEXT) | instid1(VALU_DEP_2)
	v_pk_fma_f32 v[0:1], v[34:35], v[48:49], v[0:1] op_sel:[1,1,0] op_sel_hi:[0,1,1] neg_lo:[1,0,0]
	v_pk_fma_f32 v[8:9], v[18:19], v[48:49], v[8:9] op_sel:[0,1,0]
	s_and_not1_b32 exec_lo, exec_lo, s4
	s_cbranch_execnz .LBB168_5
; %bb.6:
	s_or_b32 exec_lo, exec_lo, s4
.LBB168_7:
	s_delay_alu instid0(SALU_CYCLE_1)
	s_or_b32 exec_lo, exec_lo, s3
	s_cbranch_execz .LBB168_9
	s_branch .LBB168_14
.LBB168_8:
                                        ; implicit-def: $vgpr1
                                        ; implicit-def: $vgpr9
.LBB168_9:
	v_mov_b32_e32 v1, 0
	s_delay_alu instid0(VALU_DEP_1)
	v_dual_mov_b32 v0, v1 :: v_dual_mov_b32 v9, v1
	v_mov_b32_e32 v8, v1
	s_and_saveexec_b32 s3, s2
	s_cbranch_execz .LBB168_13
; %bb.10:
	v_mad_u32 v12, v15, 10, 9
	v_mov_b32_e32 v11, 0
	s_mov_b32 s2, 0
	s_delay_alu instid0(VALU_DEP_1)
	v_dual_mov_b32 v8, v11 :: v_dual_mov_b32 v9, v11
	v_dual_mov_b32 v0, v11 :: v_dual_mov_b32 v1, v11
.LBB168_11:                             ; =>This Inner Loop Header: Depth=1
	global_load_b32 v13, v15, s[6:7] scale_offset
	v_dual_add_nc_u32 v10, -9, v12 :: v_dual_add_nc_u32 v26, -4, v12
	v_dual_add_nc_u32 v30, -3, v12 :: v_dual_add_nc_u32 v42, -1, v12
	s_wait_xcnt 0x0
	v_add_nc_u32_e32 v15, 8, v15
	s_delay_alu instid0(VALU_DEP_3) | instskip(NEXT) | instid1(VALU_DEP_2)
	v_lshl_add_u64 v[20:21], v[10:11], 3, s[8:9]
	v_cmp_ge_i32_e32 vcc_lo, v15, v14
	s_or_b32 s2, vcc_lo, s2
	s_wait_loadcnt 0x0
	v_subrev_nc_u32_e32 v13, s12, v13
	s_delay_alu instid0(VALU_DEP_1)
	v_lshl_add_u32 v10, v13, 2, v13
	s_clause 0x1
	global_load_b128 v[16:19], v[20:21], off
	global_load_b64 v[22:23], v26, s[8:9] scale_offset
	global_load_b64 v[24:25], v10, s[10:11] scale_offset
	v_dual_add_nc_u32 v13, -7, v12 :: v_dual_add_nc_u32 v31, 1, v10
	s_clause 0x1
	global_load_b64 v[20:21], v13, s[8:9] scale_offset
	global_load_b64 v[26:27], v30, s[8:9] scale_offset
	;; [unrolled: 1-line block ×3, first 2 shown]
	s_wait_xcnt 0x2
	v_dual_add_nc_u32 v13, -6, v12 :: v_dual_add_nc_u32 v36, -2, v12
	v_add_nc_u32_e32 v37, 2, v10
	s_clause 0x1
	global_load_b64 v[30:31], v13, s[8:9] scale_offset
	global_load_b64 v[32:33], v36, s[8:9] scale_offset
	;; [unrolled: 1-line block ×3, first 2 shown]
	s_wait_xcnt 0x2
	v_dual_add_nc_u32 v13, -5, v12 :: v_dual_add_nc_u32 v43, 3, v10
	v_add_nc_u32_e32 v10, 4, v10
	s_clause 0x1
	global_load_b64 v[36:37], v13, s[8:9] scale_offset
	global_load_b64 v[38:39], v42, s[8:9] scale_offset
	;; [unrolled: 1-line block ×5, first 2 shown]
	s_wait_xcnt 0x1
	v_add_nc_u32_e32 v12, 0x50, v12
	s_wait_loadcnt 0xb
	v_pk_fma_f32 v[0:1], v[16:17], v[24:25], v[0:1] op_sel_hi:[1,0,1]
	v_pk_fma_f32 v[8:9], v[22:23], v[24:25], v[8:9] op_sel_hi:[1,0,1]
	s_delay_alu instid0(VALU_DEP_2) | instskip(NEXT) | instid1(VALU_DEP_2)
	v_pk_fma_f32 v[0:1], v[16:17], v[24:25], v[0:1] op_sel:[1,1,0] op_sel_hi:[0,1,1] neg_lo:[1,0,0]
	v_pk_fma_f32 v[8:9], v[22:23], v[24:25], v[8:9] op_sel:[1,1,0] op_sel_hi:[0,1,1] neg_lo:[1,0,0]
	v_xor_b32_e32 v16, 0x80000000, v19
	v_mov_b32_e32 v17, v18
	s_wait_loadcnt 0x8
	v_pk_fma_f32 v[0:1], v[18:19], v[28:29], v[0:1] op_sel_hi:[1,0,1]
	v_pk_fma_f32 v[8:9], v[26:27], v[28:29], v[8:9] op_sel_hi:[1,0,1]
	s_delay_alu instid0(VALU_DEP_2) | instskip(NEXT) | instid1(VALU_DEP_2)
	v_pk_fma_f32 v[0:1], v[16:17], v[28:29], v[0:1] op_sel:[0,1,0]
	v_pk_fma_f32 v[8:9], v[26:27], v[28:29], v[8:9] op_sel:[1,1,0] op_sel_hi:[0,1,1] neg_lo:[1,0,0]
	s_wait_loadcnt 0x5
	s_delay_alu instid0(VALU_DEP_2) | instskip(NEXT) | instid1(VALU_DEP_2)
	v_pk_fma_f32 v[0:1], v[20:21], v[34:35], v[0:1] op_sel_hi:[1,0,1]
	v_pk_fma_f32 v[8:9], v[32:33], v[34:35], v[8:9] op_sel_hi:[1,0,1]
	s_delay_alu instid0(VALU_DEP_2) | instskip(NEXT) | instid1(VALU_DEP_2)
	v_pk_fma_f32 v[0:1], v[20:21], v[34:35], v[0:1] op_sel:[1,1,0] op_sel_hi:[0,1,1] neg_lo:[1,0,0]
	v_pk_fma_f32 v[8:9], v[32:33], v[34:35], v[8:9] op_sel:[1,1,0] op_sel_hi:[0,1,1] neg_lo:[1,0,0]
	s_wait_loadcnt 0x2
	s_delay_alu instid0(VALU_DEP_2) | instskip(NEXT) | instid1(VALU_DEP_2)
	v_pk_fma_f32 v[0:1], v[30:31], v[40:41], v[0:1] op_sel_hi:[1,0,1]
	v_pk_fma_f32 v[8:9], v[38:39], v[40:41], v[8:9] op_sel_hi:[1,0,1]
	s_delay_alu instid0(VALU_DEP_2) | instskip(NEXT) | instid1(VALU_DEP_2)
	v_pk_fma_f32 v[0:1], v[30:31], v[40:41], v[0:1] op_sel:[1,1,0] op_sel_hi:[0,1,1] neg_lo:[1,0,0]
	v_pk_fma_f32 v[8:9], v[38:39], v[40:41], v[8:9] op_sel:[1,1,0] op_sel_hi:[0,1,1] neg_lo:[1,0,0]
	s_wait_loadcnt 0x0
	s_delay_alu instid0(VALU_DEP_2) | instskip(NEXT) | instid1(VALU_DEP_2)
	v_pk_fma_f32 v[0:1], v[36:37], v[44:45], v[0:1] op_sel_hi:[1,0,1]
	v_pk_fma_f32 v[8:9], v[42:43], v[44:45], v[8:9] op_sel_hi:[1,0,1]
	s_delay_alu instid0(VALU_DEP_2) | instskip(NEXT) | instid1(VALU_DEP_2)
	v_pk_fma_f32 v[0:1], v[36:37], v[44:45], v[0:1] op_sel:[1,1,0] op_sel_hi:[0,1,1] neg_lo:[1,0,0]
	v_pk_fma_f32 v[8:9], v[42:43], v[44:45], v[8:9] op_sel:[1,1,0] op_sel_hi:[0,1,1] neg_lo:[1,0,0]
	s_and_not1_b32 exec_lo, exec_lo, s2
	s_cbranch_execnz .LBB168_11
; %bb.12:
	s_or_b32 exec_lo, exec_lo, s2
.LBB168_13:
	s_delay_alu instid0(SALU_CYCLE_1)
	s_or_b32 exec_lo, exec_lo, s3
.LBB168_14:
	v_mbcnt_lo_u32_b32 v10, -1, 0
	s_delay_alu instid0(VALU_DEP_1) | instskip(SKIP_1) | instid1(VALU_DEP_1)
	v_xor_b32_e32 v15, 2, v10
	v_xor_b32_e32 v11, 4, v10
	v_cmp_gt_i32_e32 vcc_lo, 32, v11
	v_cndmask_b32_e32 v11, v10, v11, vcc_lo
	s_delay_alu instid0(VALU_DEP_1)
	v_lshlrev_b32_e32 v11, 2, v11
	ds_bpermute_b32 v13, v11, v1
	s_wait_dscnt 0x0
	v_add_f32_e32 v1, v1, v13
	ds_bpermute_b32 v12, v11, v0
	ds_bpermute_b32 v14, v11, v8
	;; [unrolled: 1-line block ×3, first 2 shown]
	s_wait_dscnt 0x2
	v_add_f32_e32 v0, v0, v12
	s_wait_dscnt 0x0
	v_dual_add_f32 v12, v8, v14 :: v_dual_add_f32 v9, v9, v11
	v_cmp_gt_i32_e32 vcc_lo, 32, v15
	v_cndmask_b32_e32 v15, v10, v15, vcc_lo
	s_delay_alu instid0(VALU_DEP_1)
	v_lshlrev_b32_e32 v15, 2, v15
	ds_bpermute_b32 v8, v15, v0
	ds_bpermute_b32 v11, v15, v1
	;; [unrolled: 1-line block ×4, first 2 shown]
	s_wait_dscnt 0x3
	v_dual_add_f32 v0, v0, v8 :: v_dual_bitop2_b32 v15, 1, v10 bitop3:0x14
	s_delay_alu instid0(VALU_DEP_1)
	v_cmp_gt_i32_e32 vcc_lo, 32, v15
	s_wait_dscnt 0x1
	v_dual_add_f32 v8, v1, v11 :: v_dual_add_f32 v1, v12, v13
	s_wait_dscnt 0x0
	v_dual_add_f32 v9, v9, v14 :: v_dual_cndmask_b32 v10, v10, v15
	v_cmp_eq_u32_e32 vcc_lo, 7, v7
	s_delay_alu instid0(VALU_DEP_2)
	v_lshlrev_b32_e32 v15, 2, v10
	ds_bpermute_b32 v12, v15, v0
	ds_bpermute_b32 v13, v15, v8
	ds_bpermute_b32 v10, v15, v1
	ds_bpermute_b32 v11, v15, v9
	s_and_b32 exec_lo, exec_lo, vcc_lo
	s_cbranch_execz .LBB168_19
; %bb.15:
	s_load_b64 s[2:3], s[0:1], 0x38
	v_cmp_eq_f32_e32 vcc_lo, 0, v4
	s_wait_xcnt 0x0
	v_cmp_eq_f32_e64 s0, 0, v5
	s_wait_dscnt 0x3
	v_add_f32_e32 v0, v0, v12
	s_wait_dscnt 0x1
	v_dual_add_f32 v12, v8, v13 :: v_dual_add_f32 v8, v1, v10
	s_wait_dscnt 0x0
	v_add_f32_e32 v10, v9, v11
	s_and_b32 s0, vcc_lo, s0
	s_delay_alu instid0(SALU_CYCLE_1) | instskip(NEXT) | instid1(SALU_CYCLE_1)
	s_and_saveexec_b32 s1, s0
	s_xor_b32 s0, exec_lo, s1
	s_cbranch_execz .LBB168_17
; %bb.16:
	v_xor_b32_e32 v4, 0x80000000, v3
	v_dual_mov_b32 v5, v2 :: v_dual_lshlrev_b32 v6, 1, v6
	s_delay_alu instid0(VALU_DEP_1) | instskip(NEXT) | instid1(VALU_DEP_2)
	v_ashrrev_i32_e32 v7, 31, v6
	v_pk_mul_f32 v[12:13], v[12:13], v[4:5] op_sel_hi:[0,1]
	v_pk_mul_f32 v[4:5], v[10:11], v[4:5] op_sel_hi:[0,1]
                                        ; implicit-def: $vgpr10
	s_wait_kmcnt 0x0
	s_delay_alu instid0(VALU_DEP_3) | instskip(NEXT) | instid1(VALU_DEP_3)
	v_lshl_add_u64 v[6:7], v[6:7], 3, s[2:3]
	v_pk_fma_f32 v[0:1], v[2:3], v[0:1], v[12:13] op_sel_hi:[1,0,1]
	s_delay_alu instid0(VALU_DEP_3)
	v_pk_fma_f32 v[2:3], v[2:3], v[8:9], v[4:5] op_sel_hi:[1,0,1]
                                        ; implicit-def: $vgpr4_vgpr5
                                        ; implicit-def: $vgpr12
                                        ; implicit-def: $vgpr8
	global_store_b128 v[6:7], v[0:3], off
                                        ; implicit-def: $vgpr6
                                        ; implicit-def: $vgpr2_vgpr3
                                        ; implicit-def: $vgpr0
.LBB168_17:
	s_wait_xcnt 0x0
	s_and_not1_saveexec_b32 s0, s0
	s_cbranch_execz .LBB168_19
; %bb.18:
	v_dual_mov_b32 v19, v2 :: v_dual_lshlrev_b32 v6, 1, v6
	v_xor_b32_e32 v18, 0x80000000, v3
	s_delay_alu instid0(VALU_DEP_2) | instskip(NEXT) | instid1(VALU_DEP_2)
	v_ashrrev_i32_e32 v7, 31, v6
	v_pk_mul_f32 v[12:13], v[12:13], v[18:19] op_sel_hi:[0,1]
	v_pk_mul_f32 v[10:11], v[10:11], v[18:19] op_sel_hi:[0,1]
	s_delay_alu instid0(VALU_DEP_2) | instskip(NEXT) | instid1(VALU_DEP_2)
	v_pk_fma_f32 v[0:1], v[2:3], v[0:1], v[12:13] op_sel_hi:[1,0,1]
	v_pk_fma_f32 v[2:3], v[2:3], v[8:9], v[10:11] op_sel_hi:[1,0,1]
	v_mov_b32_e32 v9, v4
	s_wait_kmcnt 0x0
	v_lshl_add_u64 v[6:7], v[6:7], 3, s[2:3]
	v_xor_b32_e32 v8, 0x80000000, v5
	global_load_b128 v[14:17], v[6:7], off
	s_wait_loadcnt 0x0
	v_pk_fma_f32 v[0:1], v[4:5], v[14:15], v[0:1] op_sel_hi:[1,0,1]
	v_pk_fma_f32 v[2:3], v[4:5], v[16:17], v[2:3] op_sel_hi:[1,0,1]
	v_mov_b32_e32 v4, v17
	s_delay_alu instid0(VALU_DEP_3) | instskip(NEXT) | instid1(VALU_DEP_2)
	v_pk_fma_f32 v[0:1], v[8:9], v[14:15], v[0:1] op_sel:[0,1,0]
	v_pk_fma_f32 v[2:3], v[8:9], v[4:5], v[2:3] op_sel_hi:[1,0,1]
	global_store_b128 v[6:7], v[0:3], off
.LBB168_19:
	s_endpgm
	.section	.rodata,"a",@progbits
	.p2align	6, 0x0
	.amdhsa_kernel _ZN9rocsparseL19gebsrmvn_2xn_kernelILj128ELj5ELj8E21rocsparse_complex_numIfEEEvi20rocsparse_direction_NS_24const_host_device_scalarIT2_EEPKiS8_PKS5_SA_S6_PS5_21rocsparse_index_base_b
		.amdhsa_group_segment_fixed_size 0
		.amdhsa_private_segment_fixed_size 0
		.amdhsa_kernarg_size 72
		.amdhsa_user_sgpr_count 2
		.amdhsa_user_sgpr_dispatch_ptr 0
		.amdhsa_user_sgpr_queue_ptr 0
		.amdhsa_user_sgpr_kernarg_segment_ptr 1
		.amdhsa_user_sgpr_dispatch_id 0
		.amdhsa_user_sgpr_kernarg_preload_length 0
		.amdhsa_user_sgpr_kernarg_preload_offset 0
		.amdhsa_user_sgpr_private_segment_size 0
		.amdhsa_wavefront_size32 1
		.amdhsa_uses_dynamic_stack 0
		.amdhsa_enable_private_segment 0
		.amdhsa_system_sgpr_workgroup_id_x 1
		.amdhsa_system_sgpr_workgroup_id_y 0
		.amdhsa_system_sgpr_workgroup_id_z 0
		.amdhsa_system_sgpr_workgroup_info 0
		.amdhsa_system_vgpr_workitem_id 0
		.amdhsa_next_free_vgpr 50
		.amdhsa_next_free_sgpr 14
		.amdhsa_named_barrier_count 0
		.amdhsa_reserve_vcc 1
		.amdhsa_float_round_mode_32 0
		.amdhsa_float_round_mode_16_64 0
		.amdhsa_float_denorm_mode_32 3
		.amdhsa_float_denorm_mode_16_64 3
		.amdhsa_fp16_overflow 0
		.amdhsa_memory_ordered 1
		.amdhsa_forward_progress 1
		.amdhsa_inst_pref_size 18
		.amdhsa_round_robin_scheduling 0
		.amdhsa_exception_fp_ieee_invalid_op 0
		.amdhsa_exception_fp_denorm_src 0
		.amdhsa_exception_fp_ieee_div_zero 0
		.amdhsa_exception_fp_ieee_overflow 0
		.amdhsa_exception_fp_ieee_underflow 0
		.amdhsa_exception_fp_ieee_inexact 0
		.amdhsa_exception_int_div_zero 0
	.end_amdhsa_kernel
	.section	.text._ZN9rocsparseL19gebsrmvn_2xn_kernelILj128ELj5ELj8E21rocsparse_complex_numIfEEEvi20rocsparse_direction_NS_24const_host_device_scalarIT2_EEPKiS8_PKS5_SA_S6_PS5_21rocsparse_index_base_b,"axG",@progbits,_ZN9rocsparseL19gebsrmvn_2xn_kernelILj128ELj5ELj8E21rocsparse_complex_numIfEEEvi20rocsparse_direction_NS_24const_host_device_scalarIT2_EEPKiS8_PKS5_SA_S6_PS5_21rocsparse_index_base_b,comdat
.Lfunc_end168:
	.size	_ZN9rocsparseL19gebsrmvn_2xn_kernelILj128ELj5ELj8E21rocsparse_complex_numIfEEEvi20rocsparse_direction_NS_24const_host_device_scalarIT2_EEPKiS8_PKS5_SA_S6_PS5_21rocsparse_index_base_b, .Lfunc_end168-_ZN9rocsparseL19gebsrmvn_2xn_kernelILj128ELj5ELj8E21rocsparse_complex_numIfEEEvi20rocsparse_direction_NS_24const_host_device_scalarIT2_EEPKiS8_PKS5_SA_S6_PS5_21rocsparse_index_base_b
                                        ; -- End function
	.set _ZN9rocsparseL19gebsrmvn_2xn_kernelILj128ELj5ELj8E21rocsparse_complex_numIfEEEvi20rocsparse_direction_NS_24const_host_device_scalarIT2_EEPKiS8_PKS5_SA_S6_PS5_21rocsparse_index_base_b.num_vgpr, 50
	.set _ZN9rocsparseL19gebsrmvn_2xn_kernelILj128ELj5ELj8E21rocsparse_complex_numIfEEEvi20rocsparse_direction_NS_24const_host_device_scalarIT2_EEPKiS8_PKS5_SA_S6_PS5_21rocsparse_index_base_b.num_agpr, 0
	.set _ZN9rocsparseL19gebsrmvn_2xn_kernelILj128ELj5ELj8E21rocsparse_complex_numIfEEEvi20rocsparse_direction_NS_24const_host_device_scalarIT2_EEPKiS8_PKS5_SA_S6_PS5_21rocsparse_index_base_b.numbered_sgpr, 14
	.set _ZN9rocsparseL19gebsrmvn_2xn_kernelILj128ELj5ELj8E21rocsparse_complex_numIfEEEvi20rocsparse_direction_NS_24const_host_device_scalarIT2_EEPKiS8_PKS5_SA_S6_PS5_21rocsparse_index_base_b.num_named_barrier, 0
	.set _ZN9rocsparseL19gebsrmvn_2xn_kernelILj128ELj5ELj8E21rocsparse_complex_numIfEEEvi20rocsparse_direction_NS_24const_host_device_scalarIT2_EEPKiS8_PKS5_SA_S6_PS5_21rocsparse_index_base_b.private_seg_size, 0
	.set _ZN9rocsparseL19gebsrmvn_2xn_kernelILj128ELj5ELj8E21rocsparse_complex_numIfEEEvi20rocsparse_direction_NS_24const_host_device_scalarIT2_EEPKiS8_PKS5_SA_S6_PS5_21rocsparse_index_base_b.uses_vcc, 1
	.set _ZN9rocsparseL19gebsrmvn_2xn_kernelILj128ELj5ELj8E21rocsparse_complex_numIfEEEvi20rocsparse_direction_NS_24const_host_device_scalarIT2_EEPKiS8_PKS5_SA_S6_PS5_21rocsparse_index_base_b.uses_flat_scratch, 1
	.set _ZN9rocsparseL19gebsrmvn_2xn_kernelILj128ELj5ELj8E21rocsparse_complex_numIfEEEvi20rocsparse_direction_NS_24const_host_device_scalarIT2_EEPKiS8_PKS5_SA_S6_PS5_21rocsparse_index_base_b.has_dyn_sized_stack, 0
	.set _ZN9rocsparseL19gebsrmvn_2xn_kernelILj128ELj5ELj8E21rocsparse_complex_numIfEEEvi20rocsparse_direction_NS_24const_host_device_scalarIT2_EEPKiS8_PKS5_SA_S6_PS5_21rocsparse_index_base_b.has_recursion, 0
	.set _ZN9rocsparseL19gebsrmvn_2xn_kernelILj128ELj5ELj8E21rocsparse_complex_numIfEEEvi20rocsparse_direction_NS_24const_host_device_scalarIT2_EEPKiS8_PKS5_SA_S6_PS5_21rocsparse_index_base_b.has_indirect_call, 0
	.section	.AMDGPU.csdata,"",@progbits
; Kernel info:
; codeLenInByte = 2196
; TotalNumSgprs: 16
; NumVgprs: 50
; ScratchSize: 0
; MemoryBound: 0
; FloatMode: 240
; IeeeMode: 1
; LDSByteSize: 0 bytes/workgroup (compile time only)
; SGPRBlocks: 0
; VGPRBlocks: 3
; NumSGPRsForWavesPerEU: 16
; NumVGPRsForWavesPerEU: 50
; NamedBarCnt: 0
; Occupancy: 16
; WaveLimiterHint : 1
; COMPUTE_PGM_RSRC2:SCRATCH_EN: 0
; COMPUTE_PGM_RSRC2:USER_SGPR: 2
; COMPUTE_PGM_RSRC2:TRAP_HANDLER: 0
; COMPUTE_PGM_RSRC2:TGID_X_EN: 1
; COMPUTE_PGM_RSRC2:TGID_Y_EN: 0
; COMPUTE_PGM_RSRC2:TGID_Z_EN: 0
; COMPUTE_PGM_RSRC2:TIDIG_COMP_CNT: 0
	.section	.text._ZN9rocsparseL19gebsrmvn_2xn_kernelILj128ELj5ELj16E21rocsparse_complex_numIfEEEvi20rocsparse_direction_NS_24const_host_device_scalarIT2_EEPKiS8_PKS5_SA_S6_PS5_21rocsparse_index_base_b,"axG",@progbits,_ZN9rocsparseL19gebsrmvn_2xn_kernelILj128ELj5ELj16E21rocsparse_complex_numIfEEEvi20rocsparse_direction_NS_24const_host_device_scalarIT2_EEPKiS8_PKS5_SA_S6_PS5_21rocsparse_index_base_b,comdat
	.globl	_ZN9rocsparseL19gebsrmvn_2xn_kernelILj128ELj5ELj16E21rocsparse_complex_numIfEEEvi20rocsparse_direction_NS_24const_host_device_scalarIT2_EEPKiS8_PKS5_SA_S6_PS5_21rocsparse_index_base_b ; -- Begin function _ZN9rocsparseL19gebsrmvn_2xn_kernelILj128ELj5ELj16E21rocsparse_complex_numIfEEEvi20rocsparse_direction_NS_24const_host_device_scalarIT2_EEPKiS8_PKS5_SA_S6_PS5_21rocsparse_index_base_b
	.p2align	8
	.type	_ZN9rocsparseL19gebsrmvn_2xn_kernelILj128ELj5ELj16E21rocsparse_complex_numIfEEEvi20rocsparse_direction_NS_24const_host_device_scalarIT2_EEPKiS8_PKS5_SA_S6_PS5_21rocsparse_index_base_b,@function
_ZN9rocsparseL19gebsrmvn_2xn_kernelILj128ELj5ELj16E21rocsparse_complex_numIfEEEvi20rocsparse_direction_NS_24const_host_device_scalarIT2_EEPKiS8_PKS5_SA_S6_PS5_21rocsparse_index_base_b: ; @_ZN9rocsparseL19gebsrmvn_2xn_kernelILj128ELj5ELj16E21rocsparse_complex_numIfEEEvi20rocsparse_direction_NS_24const_host_device_scalarIT2_EEPKiS8_PKS5_SA_S6_PS5_21rocsparse_index_base_b
; %bb.0:
	s_clause 0x2
	s_load_b64 s[12:13], s[0:1], 0x40
	s_load_b64 s[2:3], s[0:1], 0x8
	;; [unrolled: 1-line block ×3, first 2 shown]
	v_mov_b32_e32 v1, 0
	s_add_nc_u64 s[6:7], s[0:1], 8
	s_add_nc_u64 s[8:9], s[0:1], 48
	s_wait_kmcnt 0x0
	s_bitcmp1_b32 s13, 0
	s_cselect_b32 s3, s7, s3
	s_cselect_b32 s2, s6, s2
	;; [unrolled: 1-line block ×4, first 2 shown]
	s_clause 0x1
	flat_load_b64 v[2:3], v1, s[2:3]
	flat_load_b64 v[4:5], v1, s[4:5]
	s_wait_loadcnt_dscnt 0x101
	v_cmp_eq_f32_e32 vcc_lo, 0, v2
	v_cmp_eq_f32_e64 s2, 0, v3
	s_wait_loadcnt_dscnt 0x0
	v_cmp_eq_f32_e64 s3, 1.0, v4
	v_cmp_eq_f32_e64 s4, 0, v5
	s_and_b32 s2, vcc_lo, s2
	s_and_b32 s3, s3, s4
	s_delay_alu instid0(SALU_CYCLE_1) | instskip(NEXT) | instid1(SALU_CYCLE_1)
	s_and_b32 s2, s2, s3
	s_xor_b32 s2, s2, -1
	s_delay_alu instid0(SALU_CYCLE_1)
	s_and_saveexec_b32 s3, s2
	s_cbranch_execz .LBB169_19
; %bb.1:
	s_load_b64 s[2:3], s[0:1], 0x0
	s_bfe_u32 s4, ttmp6, 0x4000c
	s_and_b32 s5, ttmp6, 15
	s_add_co_i32 s4, s4, 1
	s_getreg_b32 s6, hwreg(HW_REG_IB_STS2, 6, 4)
	s_mul_i32 s4, ttmp9, s4
	v_lshrrev_b32_e32 v1, 4, v0
	s_add_co_i32 s5, s5, s4
	s_cmp_eq_u32 s6, 0
	s_cselect_b32 s4, ttmp9, s5
	s_delay_alu instid0(VALU_DEP_1) | instid1(SALU_CYCLE_1)
	v_lshl_or_b32 v6, s4, 3, v1
	s_wait_kmcnt 0x0
	s_delay_alu instid0(VALU_DEP_1)
	v_cmp_gt_i32_e32 vcc_lo, s2, v6
	s_and_b32 exec_lo, exec_lo, vcc_lo
	s_cbranch_execz .LBB169_19
; %bb.2:
	s_load_b256 s[4:11], s[0:1], 0x10
	v_ashrrev_i32_e32 v7, 31, v6
	s_cmp_lg_u32 s3, 0
	s_wait_kmcnt 0x0
	s_delay_alu instid0(VALU_DEP_1)
	v_lshl_add_u64 v[8:9], v[6:7], 2, s[4:5]
	v_and_b32_e32 v7, 15, v0
	global_load_b64 v[8:9], v[8:9], off
	s_wait_loadcnt 0x0
	v_subrev_nc_u32_e32 v0, s12, v8
	v_subrev_nc_u32_e32 v14, s12, v9
	s_delay_alu instid0(VALU_DEP_2) | instskip(NEXT) | instid1(VALU_DEP_1)
	v_add_nc_u32_e32 v15, v0, v7
	v_cmp_lt_i32_e64 s2, v15, v14
	s_cbranch_scc0 .LBB169_8
; %bb.3:
	v_mov_b32_e32 v1, 0
	s_delay_alu instid0(VALU_DEP_1)
	v_dual_mov_b32 v0, v1 :: v_dual_mov_b32 v9, v1
	v_mov_b32_e32 v8, v1
	s_and_saveexec_b32 s3, s2
	s_cbranch_execz .LBB169_7
; %bb.4:
	v_mad_u32 v12, v15, 10, 8
	v_dual_mov_b32 v11, 0 :: v_dual_mov_b32 v16, v15
	s_mov_b32 s4, 0
	s_delay_alu instid0(VALU_DEP_1)
	v_dual_mov_b32 v8, v11 :: v_dual_mov_b32 v9, v11
	v_dual_mov_b32 v0, v11 :: v_dual_mov_b32 v1, v11
.LBB169_5:                              ; =>This Inner Loop Header: Depth=1
	global_load_b32 v13, v16, s[6:7] scale_offset
	s_wait_xcnt 0x0
	v_add_nc_u32_e32 v16, 16, v16
	s_delay_alu instid0(VALU_DEP_1) | instskip(SKIP_3) | instid1(VALU_DEP_1)
	v_cmp_ge_i32_e32 vcc_lo, v16, v14
	s_or_b32 s4, vcc_lo, s4
	s_wait_loadcnt 0x0
	v_subrev_nc_u32_e32 v13, s12, v13
	v_lshl_add_u32 v17, v13, 2, v13
	s_delay_alu instid0(VALU_DEP_1) | instskip(NEXT) | instid1(VALU_DEP_1)
	v_dual_add_nc_u32 v10, -8, v12 :: v_dual_add_nc_u32 v13, 1, v17
	v_lshl_add_u64 v[22:23], v[10:11], 3, s[8:9]
	v_add_nc_u32_e32 v10, -6, v12
	global_load_b128 v[18:21], v[22:23], off
	global_load_b64 v[38:39], v17, s[10:11] scale_offset
	v_lshl_add_u64 v[26:27], v[10:11], 3, s[8:9]
	global_load_b128 v[22:25], v[26:27], off
	global_load_b64 v[40:41], v13, s[10:11] scale_offset
	s_wait_xcnt 0x0
	v_dual_add_nc_u32 v10, -4, v12 :: v_dual_add_nc_u32 v13, 2, v17
	s_delay_alu instid0(VALU_DEP_1)
	v_lshl_add_u64 v[30:31], v[10:11], 3, s[8:9]
	v_add_nc_u32_e32 v10, -2, v12
	global_load_b128 v[26:29], v[30:31], off
	global_load_b64 v[42:43], v13, s[10:11] scale_offset
	v_lshl_add_u64 v[34:35], v[10:11], 3, s[8:9]
	s_wait_xcnt 0x0
	v_dual_mov_b32 v13, v11 :: v_dual_add_nc_u32 v10, 3, v17
	s_delay_alu instid0(VALU_DEP_1) | instskip(SKIP_4) | instid1(VALU_DEP_2)
	v_lshl_add_u64 v[46:47], v[12:13], 3, s[8:9]
	v_add_nc_u32_e32 v12, 0xa0, v12
	s_wait_loadcnt 0x4
	v_pk_fma_f32 v[0:1], v[18:19], v[38:39], v[0:1] op_sel_hi:[1,0,1]
	v_pk_fma_f32 v[8:9], v[20:21], v[38:39], v[8:9] op_sel_hi:[1,0,1]
	v_pk_fma_f32 v[0:1], v[18:19], v[38:39], v[0:1] op_sel:[1,1,0] op_sel_hi:[0,1,1] neg_lo:[1,0,0]
	s_wait_loadcnt 0x3
	v_mov_b32_e32 v19, v24
	global_load_b128 v[30:33], v[34:35], off
	global_load_b64 v[44:45], v10, s[10:11] scale_offset
	s_wait_xcnt 0x0
	v_add_nc_u32_e32 v10, 4, v17
	global_load_b128 v[34:37], v[46:47], off
	global_load_b64 v[48:49], v10, s[10:11] scale_offset
	s_wait_xcnt 0x1
	v_xor_b32_e32 v46, 0x80000000, v21
	v_mov_b32_e32 v47, v20
	v_xor_b32_e32 v18, 0x80000000, v25
	s_wait_loadcnt 0x6
	v_pk_fma_f32 v[0:1], v[22:23], v[40:41], v[0:1] op_sel_hi:[1,0,1]
	s_delay_alu instid0(VALU_DEP_3) | instskip(NEXT) | instid1(VALU_DEP_2)
	v_pk_fma_f32 v[8:9], v[46:47], v[38:39], v[8:9] op_sel:[0,1,0]
	v_pk_fma_f32 v[0:1], v[22:23], v[40:41], v[0:1] op_sel:[1,1,0] op_sel_hi:[0,1,1] neg_lo:[1,0,0]
	s_delay_alu instid0(VALU_DEP_2) | instskip(SKIP_1) | instid1(VALU_DEP_2)
	v_pk_fma_f32 v[8:9], v[24:25], v[40:41], v[8:9] op_sel_hi:[1,0,1]
	s_wait_loadcnt 0x4
	v_pk_fma_f32 v[0:1], v[26:27], v[42:43], v[0:1] op_sel_hi:[1,0,1]
	s_delay_alu instid0(VALU_DEP_2) | instskip(SKIP_2) | instid1(VALU_DEP_4)
	v_pk_fma_f32 v[8:9], v[18:19], v[40:41], v[8:9] op_sel:[0,1,0]
	v_xor_b32_e32 v18, 0x80000000, v29
	v_mov_b32_e32 v19, v28
	v_pk_fma_f32 v[0:1], v[26:27], v[42:43], v[0:1] op_sel:[1,1,0] op_sel_hi:[0,1,1] neg_lo:[1,0,0]
	s_delay_alu instid0(VALU_DEP_4) | instskip(NEXT) | instid1(VALU_DEP_1)
	v_pk_fma_f32 v[8:9], v[28:29], v[42:43], v[8:9] op_sel_hi:[1,0,1]
	v_pk_fma_f32 v[8:9], v[18:19], v[42:43], v[8:9] op_sel:[0,1,0]
	s_wait_loadcnt 0x3
	v_xor_b32_e32 v18, 0x80000000, v33
	v_mov_b32_e32 v19, v32
	s_wait_loadcnt 0x2
	v_pk_fma_f32 v[0:1], v[30:31], v[44:45], v[0:1] op_sel_hi:[1,0,1]
	v_pk_fma_f32 v[8:9], v[32:33], v[44:45], v[8:9] op_sel_hi:[1,0,1]
	s_delay_alu instid0(VALU_DEP_2) | instskip(NEXT) | instid1(VALU_DEP_2)
	v_pk_fma_f32 v[0:1], v[30:31], v[44:45], v[0:1] op_sel:[1,1,0] op_sel_hi:[0,1,1] neg_lo:[1,0,0]
	v_pk_fma_f32 v[8:9], v[18:19], v[44:45], v[8:9] op_sel:[0,1,0]
	s_wait_loadcnt 0x1
	v_xor_b32_e32 v18, 0x80000000, v37
	v_mov_b32_e32 v19, v36
	s_wait_loadcnt 0x0
	v_pk_fma_f32 v[0:1], v[34:35], v[48:49], v[0:1] op_sel_hi:[1,0,1]
	v_pk_fma_f32 v[8:9], v[36:37], v[48:49], v[8:9] op_sel_hi:[1,0,1]
	s_delay_alu instid0(VALU_DEP_2) | instskip(NEXT) | instid1(VALU_DEP_2)
	v_pk_fma_f32 v[0:1], v[34:35], v[48:49], v[0:1] op_sel:[1,1,0] op_sel_hi:[0,1,1] neg_lo:[1,0,0]
	v_pk_fma_f32 v[8:9], v[18:19], v[48:49], v[8:9] op_sel:[0,1,0]
	s_and_not1_b32 exec_lo, exec_lo, s4
	s_cbranch_execnz .LBB169_5
; %bb.6:
	s_or_b32 exec_lo, exec_lo, s4
.LBB169_7:
	s_delay_alu instid0(SALU_CYCLE_1)
	s_or_b32 exec_lo, exec_lo, s3
	s_cbranch_execz .LBB169_9
	s_branch .LBB169_14
.LBB169_8:
                                        ; implicit-def: $vgpr1
                                        ; implicit-def: $vgpr9
.LBB169_9:
	v_mov_b32_e32 v1, 0
	s_delay_alu instid0(VALU_DEP_1)
	v_dual_mov_b32 v0, v1 :: v_dual_mov_b32 v9, v1
	v_mov_b32_e32 v8, v1
	s_and_saveexec_b32 s3, s2
	s_cbranch_execz .LBB169_13
; %bb.10:
	v_mad_u32 v12, v15, 10, 9
	v_mov_b32_e32 v11, 0
	s_mov_b32 s2, 0
	s_delay_alu instid0(VALU_DEP_1)
	v_dual_mov_b32 v8, v11 :: v_dual_mov_b32 v9, v11
	v_dual_mov_b32 v0, v11 :: v_dual_mov_b32 v1, v11
.LBB169_11:                             ; =>This Inner Loop Header: Depth=1
	global_load_b32 v13, v15, s[6:7] scale_offset
	v_dual_add_nc_u32 v10, -9, v12 :: v_dual_add_nc_u32 v26, -4, v12
	v_dual_add_nc_u32 v30, -3, v12 :: v_dual_add_nc_u32 v42, -1, v12
	s_wait_xcnt 0x0
	v_add_nc_u32_e32 v15, 16, v15
	s_delay_alu instid0(VALU_DEP_3) | instskip(NEXT) | instid1(VALU_DEP_2)
	v_lshl_add_u64 v[20:21], v[10:11], 3, s[8:9]
	v_cmp_ge_i32_e32 vcc_lo, v15, v14
	s_or_b32 s2, vcc_lo, s2
	s_wait_loadcnt 0x0
	v_subrev_nc_u32_e32 v13, s12, v13
	s_delay_alu instid0(VALU_DEP_1)
	v_lshl_add_u32 v10, v13, 2, v13
	s_clause 0x1
	global_load_b128 v[16:19], v[20:21], off
	global_load_b64 v[22:23], v26, s[8:9] scale_offset
	global_load_b64 v[24:25], v10, s[10:11] scale_offset
	v_dual_add_nc_u32 v13, -7, v12 :: v_dual_add_nc_u32 v31, 1, v10
	s_clause 0x1
	global_load_b64 v[20:21], v13, s[8:9] scale_offset
	global_load_b64 v[26:27], v30, s[8:9] scale_offset
	;; [unrolled: 1-line block ×3, first 2 shown]
	s_wait_xcnt 0x2
	v_dual_add_nc_u32 v13, -6, v12 :: v_dual_add_nc_u32 v36, -2, v12
	v_add_nc_u32_e32 v37, 2, v10
	s_clause 0x1
	global_load_b64 v[30:31], v13, s[8:9] scale_offset
	global_load_b64 v[32:33], v36, s[8:9] scale_offset
	global_load_b64 v[34:35], v37, s[10:11] scale_offset
	s_wait_xcnt 0x2
	v_dual_add_nc_u32 v13, -5, v12 :: v_dual_add_nc_u32 v43, 3, v10
	v_add_nc_u32_e32 v10, 4, v10
	s_clause 0x1
	global_load_b64 v[36:37], v13, s[8:9] scale_offset
	global_load_b64 v[38:39], v42, s[8:9] scale_offset
	;; [unrolled: 1-line block ×5, first 2 shown]
	s_wait_xcnt 0x1
	v_add_nc_u32_e32 v12, 0xa0, v12
	s_wait_loadcnt 0xb
	v_pk_fma_f32 v[0:1], v[16:17], v[24:25], v[0:1] op_sel_hi:[1,0,1]
	v_pk_fma_f32 v[8:9], v[22:23], v[24:25], v[8:9] op_sel_hi:[1,0,1]
	s_delay_alu instid0(VALU_DEP_2) | instskip(NEXT) | instid1(VALU_DEP_2)
	v_pk_fma_f32 v[0:1], v[16:17], v[24:25], v[0:1] op_sel:[1,1,0] op_sel_hi:[0,1,1] neg_lo:[1,0,0]
	v_pk_fma_f32 v[8:9], v[22:23], v[24:25], v[8:9] op_sel:[1,1,0] op_sel_hi:[0,1,1] neg_lo:[1,0,0]
	v_xor_b32_e32 v16, 0x80000000, v19
	v_mov_b32_e32 v17, v18
	s_wait_loadcnt 0x8
	v_pk_fma_f32 v[0:1], v[18:19], v[28:29], v[0:1] op_sel_hi:[1,0,1]
	v_pk_fma_f32 v[8:9], v[26:27], v[28:29], v[8:9] op_sel_hi:[1,0,1]
	s_delay_alu instid0(VALU_DEP_2) | instskip(NEXT) | instid1(VALU_DEP_2)
	v_pk_fma_f32 v[0:1], v[16:17], v[28:29], v[0:1] op_sel:[0,1,0]
	v_pk_fma_f32 v[8:9], v[26:27], v[28:29], v[8:9] op_sel:[1,1,0] op_sel_hi:[0,1,1] neg_lo:[1,0,0]
	s_wait_loadcnt 0x5
	s_delay_alu instid0(VALU_DEP_2) | instskip(NEXT) | instid1(VALU_DEP_2)
	v_pk_fma_f32 v[0:1], v[20:21], v[34:35], v[0:1] op_sel_hi:[1,0,1]
	v_pk_fma_f32 v[8:9], v[32:33], v[34:35], v[8:9] op_sel_hi:[1,0,1]
	s_delay_alu instid0(VALU_DEP_2) | instskip(NEXT) | instid1(VALU_DEP_2)
	v_pk_fma_f32 v[0:1], v[20:21], v[34:35], v[0:1] op_sel:[1,1,0] op_sel_hi:[0,1,1] neg_lo:[1,0,0]
	v_pk_fma_f32 v[8:9], v[32:33], v[34:35], v[8:9] op_sel:[1,1,0] op_sel_hi:[0,1,1] neg_lo:[1,0,0]
	s_wait_loadcnt 0x2
	s_delay_alu instid0(VALU_DEP_2) | instskip(NEXT) | instid1(VALU_DEP_2)
	v_pk_fma_f32 v[0:1], v[30:31], v[40:41], v[0:1] op_sel_hi:[1,0,1]
	v_pk_fma_f32 v[8:9], v[38:39], v[40:41], v[8:9] op_sel_hi:[1,0,1]
	s_delay_alu instid0(VALU_DEP_2) | instskip(NEXT) | instid1(VALU_DEP_2)
	v_pk_fma_f32 v[0:1], v[30:31], v[40:41], v[0:1] op_sel:[1,1,0] op_sel_hi:[0,1,1] neg_lo:[1,0,0]
	;; [unrolled: 7-line block ×3, first 2 shown]
	v_pk_fma_f32 v[8:9], v[42:43], v[44:45], v[8:9] op_sel:[1,1,0] op_sel_hi:[0,1,1] neg_lo:[1,0,0]
	s_and_not1_b32 exec_lo, exec_lo, s2
	s_cbranch_execnz .LBB169_11
; %bb.12:
	s_or_b32 exec_lo, exec_lo, s2
.LBB169_13:
	s_delay_alu instid0(SALU_CYCLE_1)
	s_or_b32 exec_lo, exec_lo, s3
.LBB169_14:
	v_mbcnt_lo_u32_b32 v10, -1, 0
	s_delay_alu instid0(VALU_DEP_1) | instskip(SKIP_1) | instid1(VALU_DEP_1)
	v_xor_b32_e32 v15, 4, v10
	v_xor_b32_e32 v11, 8, v10
	v_cmp_gt_i32_e32 vcc_lo, 32, v11
	v_cndmask_b32_e32 v11, v10, v11, vcc_lo
	s_delay_alu instid0(VALU_DEP_1)
	v_lshlrev_b32_e32 v11, 2, v11
	ds_bpermute_b32 v13, v11, v1
	s_wait_dscnt 0x0
	v_add_f32_e32 v1, v1, v13
	ds_bpermute_b32 v12, v11, v0
	ds_bpermute_b32 v14, v11, v8
	;; [unrolled: 1-line block ×3, first 2 shown]
	s_wait_dscnt 0x2
	v_add_f32_e32 v0, v0, v12
	s_wait_dscnt 0x0
	v_dual_add_f32 v8, v8, v14 :: v_dual_add_f32 v9, v9, v11
	v_cmp_gt_i32_e32 vcc_lo, 32, v15
	v_cndmask_b32_e32 v15, v10, v15, vcc_lo
	s_delay_alu instid0(VALU_DEP_1)
	v_lshlrev_b32_e32 v15, 2, v15
	ds_bpermute_b32 v11, v15, v0
	ds_bpermute_b32 v12, v15, v1
	;; [unrolled: 1-line block ×4, first 2 shown]
	s_wait_dscnt 0x3
	v_dual_add_f32 v0, v0, v11 :: v_dual_bitop2_b32 v15, 2, v10 bitop3:0x14
	s_delay_alu instid0(VALU_DEP_1)
	v_cmp_gt_i32_e32 vcc_lo, 32, v15
	s_wait_dscnt 0x2
	v_add_f32_e32 v1, v1, v12
	s_wait_dscnt 0x0
	v_dual_add_f32 v9, v9, v14 :: v_dual_add_f32 v11, v8, v13
	v_cndmask_b32_e32 v15, v10, v15, vcc_lo
	s_delay_alu instid0(VALU_DEP_1)
	v_lshlrev_b32_e32 v15, 2, v15
	ds_bpermute_b32 v8, v15, v0
	ds_bpermute_b32 v12, v15, v1
	;; [unrolled: 1-line block ×4, first 2 shown]
	s_wait_dscnt 0x3
	v_dual_add_f32 v0, v0, v8 :: v_dual_bitop2_b32 v15, 1, v10 bitop3:0x14
	s_delay_alu instid0(VALU_DEP_1)
	v_cmp_gt_i32_e32 vcc_lo, 32, v15
	s_wait_dscnt 0x2
	v_dual_add_f32 v8, v1, v12 :: v_dual_cndmask_b32 v10, v10, v15, vcc_lo
	s_wait_dscnt 0x0
	v_dual_add_f32 v1, v11, v13 :: v_dual_add_f32 v9, v9, v14
	v_cmp_eq_u32_e32 vcc_lo, 15, v7
	s_delay_alu instid0(VALU_DEP_3)
	v_lshlrev_b32_e32 v15, 2, v10
	ds_bpermute_b32 v12, v15, v0
	ds_bpermute_b32 v13, v15, v8
	;; [unrolled: 1-line block ×4, first 2 shown]
	s_and_b32 exec_lo, exec_lo, vcc_lo
	s_cbranch_execz .LBB169_19
; %bb.15:
	s_load_b64 s[2:3], s[0:1], 0x38
	v_cmp_eq_f32_e32 vcc_lo, 0, v4
	s_wait_xcnt 0x0
	v_cmp_eq_f32_e64 s0, 0, v5
	s_wait_dscnt 0x3
	v_add_f32_e32 v0, v0, v12
	s_wait_dscnt 0x1
	v_dual_add_f32 v12, v8, v13 :: v_dual_add_f32 v8, v1, v10
	s_wait_dscnt 0x0
	v_add_f32_e32 v10, v9, v11
	s_and_b32 s0, vcc_lo, s0
	s_delay_alu instid0(SALU_CYCLE_1) | instskip(NEXT) | instid1(SALU_CYCLE_1)
	s_and_saveexec_b32 s1, s0
	s_xor_b32 s0, exec_lo, s1
	s_cbranch_execz .LBB169_17
; %bb.16:
	v_xor_b32_e32 v4, 0x80000000, v3
	v_dual_mov_b32 v5, v2 :: v_dual_lshlrev_b32 v6, 1, v6
	s_delay_alu instid0(VALU_DEP_1) | instskip(NEXT) | instid1(VALU_DEP_2)
	v_ashrrev_i32_e32 v7, 31, v6
	v_pk_mul_f32 v[12:13], v[12:13], v[4:5] op_sel_hi:[0,1]
	v_pk_mul_f32 v[4:5], v[10:11], v[4:5] op_sel_hi:[0,1]
                                        ; implicit-def: $vgpr10
	s_wait_kmcnt 0x0
	s_delay_alu instid0(VALU_DEP_3) | instskip(NEXT) | instid1(VALU_DEP_3)
	v_lshl_add_u64 v[6:7], v[6:7], 3, s[2:3]
	v_pk_fma_f32 v[0:1], v[2:3], v[0:1], v[12:13] op_sel_hi:[1,0,1]
	s_delay_alu instid0(VALU_DEP_3)
	v_pk_fma_f32 v[2:3], v[2:3], v[8:9], v[4:5] op_sel_hi:[1,0,1]
                                        ; implicit-def: $vgpr4_vgpr5
                                        ; implicit-def: $vgpr12
                                        ; implicit-def: $vgpr8
	global_store_b128 v[6:7], v[0:3], off
                                        ; implicit-def: $vgpr6
                                        ; implicit-def: $vgpr2_vgpr3
                                        ; implicit-def: $vgpr0
.LBB169_17:
	s_wait_xcnt 0x0
	s_and_not1_saveexec_b32 s0, s0
	s_cbranch_execz .LBB169_19
; %bb.18:
	v_dual_mov_b32 v19, v2 :: v_dual_lshlrev_b32 v6, 1, v6
	v_xor_b32_e32 v18, 0x80000000, v3
	s_delay_alu instid0(VALU_DEP_2) | instskip(NEXT) | instid1(VALU_DEP_2)
	v_ashrrev_i32_e32 v7, 31, v6
	v_pk_mul_f32 v[12:13], v[12:13], v[18:19] op_sel_hi:[0,1]
	v_pk_mul_f32 v[10:11], v[10:11], v[18:19] op_sel_hi:[0,1]
	s_delay_alu instid0(VALU_DEP_2) | instskip(NEXT) | instid1(VALU_DEP_2)
	v_pk_fma_f32 v[0:1], v[2:3], v[0:1], v[12:13] op_sel_hi:[1,0,1]
	v_pk_fma_f32 v[2:3], v[2:3], v[8:9], v[10:11] op_sel_hi:[1,0,1]
	v_mov_b32_e32 v9, v4
	s_wait_kmcnt 0x0
	v_lshl_add_u64 v[6:7], v[6:7], 3, s[2:3]
	v_xor_b32_e32 v8, 0x80000000, v5
	global_load_b128 v[14:17], v[6:7], off
	s_wait_loadcnt 0x0
	v_pk_fma_f32 v[0:1], v[4:5], v[14:15], v[0:1] op_sel_hi:[1,0,1]
	v_pk_fma_f32 v[2:3], v[4:5], v[16:17], v[2:3] op_sel_hi:[1,0,1]
	v_mov_b32_e32 v4, v17
	s_delay_alu instid0(VALU_DEP_3) | instskip(NEXT) | instid1(VALU_DEP_2)
	v_pk_fma_f32 v[0:1], v[8:9], v[14:15], v[0:1] op_sel:[0,1,0]
	v_pk_fma_f32 v[2:3], v[8:9], v[4:5], v[2:3] op_sel_hi:[1,0,1]
	global_store_b128 v[6:7], v[0:3], off
.LBB169_19:
	s_endpgm
	.section	.rodata,"a",@progbits
	.p2align	6, 0x0
	.amdhsa_kernel _ZN9rocsparseL19gebsrmvn_2xn_kernelILj128ELj5ELj16E21rocsparse_complex_numIfEEEvi20rocsparse_direction_NS_24const_host_device_scalarIT2_EEPKiS8_PKS5_SA_S6_PS5_21rocsparse_index_base_b
		.amdhsa_group_segment_fixed_size 0
		.amdhsa_private_segment_fixed_size 0
		.amdhsa_kernarg_size 72
		.amdhsa_user_sgpr_count 2
		.amdhsa_user_sgpr_dispatch_ptr 0
		.amdhsa_user_sgpr_queue_ptr 0
		.amdhsa_user_sgpr_kernarg_segment_ptr 1
		.amdhsa_user_sgpr_dispatch_id 0
		.amdhsa_user_sgpr_kernarg_preload_length 0
		.amdhsa_user_sgpr_kernarg_preload_offset 0
		.amdhsa_user_sgpr_private_segment_size 0
		.amdhsa_wavefront_size32 1
		.amdhsa_uses_dynamic_stack 0
		.amdhsa_enable_private_segment 0
		.amdhsa_system_sgpr_workgroup_id_x 1
		.amdhsa_system_sgpr_workgroup_id_y 0
		.amdhsa_system_sgpr_workgroup_id_z 0
		.amdhsa_system_sgpr_workgroup_info 0
		.amdhsa_system_vgpr_workitem_id 0
		.amdhsa_next_free_vgpr 50
		.amdhsa_next_free_sgpr 14
		.amdhsa_named_barrier_count 0
		.amdhsa_reserve_vcc 1
		.amdhsa_float_round_mode_32 0
		.amdhsa_float_round_mode_16_64 0
		.amdhsa_float_denorm_mode_32 3
		.amdhsa_float_denorm_mode_16_64 3
		.amdhsa_fp16_overflow 0
		.amdhsa_memory_ordered 1
		.amdhsa_forward_progress 1
		.amdhsa_inst_pref_size 18
		.amdhsa_round_robin_scheduling 0
		.amdhsa_exception_fp_ieee_invalid_op 0
		.amdhsa_exception_fp_denorm_src 0
		.amdhsa_exception_fp_ieee_div_zero 0
		.amdhsa_exception_fp_ieee_overflow 0
		.amdhsa_exception_fp_ieee_underflow 0
		.amdhsa_exception_fp_ieee_inexact 0
		.amdhsa_exception_int_div_zero 0
	.end_amdhsa_kernel
	.section	.text._ZN9rocsparseL19gebsrmvn_2xn_kernelILj128ELj5ELj16E21rocsparse_complex_numIfEEEvi20rocsparse_direction_NS_24const_host_device_scalarIT2_EEPKiS8_PKS5_SA_S6_PS5_21rocsparse_index_base_b,"axG",@progbits,_ZN9rocsparseL19gebsrmvn_2xn_kernelILj128ELj5ELj16E21rocsparse_complex_numIfEEEvi20rocsparse_direction_NS_24const_host_device_scalarIT2_EEPKiS8_PKS5_SA_S6_PS5_21rocsparse_index_base_b,comdat
.Lfunc_end169:
	.size	_ZN9rocsparseL19gebsrmvn_2xn_kernelILj128ELj5ELj16E21rocsparse_complex_numIfEEEvi20rocsparse_direction_NS_24const_host_device_scalarIT2_EEPKiS8_PKS5_SA_S6_PS5_21rocsparse_index_base_b, .Lfunc_end169-_ZN9rocsparseL19gebsrmvn_2xn_kernelILj128ELj5ELj16E21rocsparse_complex_numIfEEEvi20rocsparse_direction_NS_24const_host_device_scalarIT2_EEPKiS8_PKS5_SA_S6_PS5_21rocsparse_index_base_b
                                        ; -- End function
	.set _ZN9rocsparseL19gebsrmvn_2xn_kernelILj128ELj5ELj16E21rocsparse_complex_numIfEEEvi20rocsparse_direction_NS_24const_host_device_scalarIT2_EEPKiS8_PKS5_SA_S6_PS5_21rocsparse_index_base_b.num_vgpr, 50
	.set _ZN9rocsparseL19gebsrmvn_2xn_kernelILj128ELj5ELj16E21rocsparse_complex_numIfEEEvi20rocsparse_direction_NS_24const_host_device_scalarIT2_EEPKiS8_PKS5_SA_S6_PS5_21rocsparse_index_base_b.num_agpr, 0
	.set _ZN9rocsparseL19gebsrmvn_2xn_kernelILj128ELj5ELj16E21rocsparse_complex_numIfEEEvi20rocsparse_direction_NS_24const_host_device_scalarIT2_EEPKiS8_PKS5_SA_S6_PS5_21rocsparse_index_base_b.numbered_sgpr, 14
	.set _ZN9rocsparseL19gebsrmvn_2xn_kernelILj128ELj5ELj16E21rocsparse_complex_numIfEEEvi20rocsparse_direction_NS_24const_host_device_scalarIT2_EEPKiS8_PKS5_SA_S6_PS5_21rocsparse_index_base_b.num_named_barrier, 0
	.set _ZN9rocsparseL19gebsrmvn_2xn_kernelILj128ELj5ELj16E21rocsparse_complex_numIfEEEvi20rocsparse_direction_NS_24const_host_device_scalarIT2_EEPKiS8_PKS5_SA_S6_PS5_21rocsparse_index_base_b.private_seg_size, 0
	.set _ZN9rocsparseL19gebsrmvn_2xn_kernelILj128ELj5ELj16E21rocsparse_complex_numIfEEEvi20rocsparse_direction_NS_24const_host_device_scalarIT2_EEPKiS8_PKS5_SA_S6_PS5_21rocsparse_index_base_b.uses_vcc, 1
	.set _ZN9rocsparseL19gebsrmvn_2xn_kernelILj128ELj5ELj16E21rocsparse_complex_numIfEEEvi20rocsparse_direction_NS_24const_host_device_scalarIT2_EEPKiS8_PKS5_SA_S6_PS5_21rocsparse_index_base_b.uses_flat_scratch, 1
	.set _ZN9rocsparseL19gebsrmvn_2xn_kernelILj128ELj5ELj16E21rocsparse_complex_numIfEEEvi20rocsparse_direction_NS_24const_host_device_scalarIT2_EEPKiS8_PKS5_SA_S6_PS5_21rocsparse_index_base_b.has_dyn_sized_stack, 0
	.set _ZN9rocsparseL19gebsrmvn_2xn_kernelILj128ELj5ELj16E21rocsparse_complex_numIfEEEvi20rocsparse_direction_NS_24const_host_device_scalarIT2_EEPKiS8_PKS5_SA_S6_PS5_21rocsparse_index_base_b.has_recursion, 0
	.set _ZN9rocsparseL19gebsrmvn_2xn_kernelILj128ELj5ELj16E21rocsparse_complex_numIfEEEvi20rocsparse_direction_NS_24const_host_device_scalarIT2_EEPKiS8_PKS5_SA_S6_PS5_21rocsparse_index_base_b.has_indirect_call, 0
	.section	.AMDGPU.csdata,"",@progbits
; Kernel info:
; codeLenInByte = 2296
; TotalNumSgprs: 16
; NumVgprs: 50
; ScratchSize: 0
; MemoryBound: 0
; FloatMode: 240
; IeeeMode: 1
; LDSByteSize: 0 bytes/workgroup (compile time only)
; SGPRBlocks: 0
; VGPRBlocks: 3
; NumSGPRsForWavesPerEU: 16
; NumVGPRsForWavesPerEU: 50
; NamedBarCnt: 0
; Occupancy: 16
; WaveLimiterHint : 1
; COMPUTE_PGM_RSRC2:SCRATCH_EN: 0
; COMPUTE_PGM_RSRC2:USER_SGPR: 2
; COMPUTE_PGM_RSRC2:TRAP_HANDLER: 0
; COMPUTE_PGM_RSRC2:TGID_X_EN: 1
; COMPUTE_PGM_RSRC2:TGID_Y_EN: 0
; COMPUTE_PGM_RSRC2:TGID_Z_EN: 0
; COMPUTE_PGM_RSRC2:TIDIG_COMP_CNT: 0
	.section	.text._ZN9rocsparseL19gebsrmvn_2xn_kernelILj128ELj5ELj32E21rocsparse_complex_numIfEEEvi20rocsparse_direction_NS_24const_host_device_scalarIT2_EEPKiS8_PKS5_SA_S6_PS5_21rocsparse_index_base_b,"axG",@progbits,_ZN9rocsparseL19gebsrmvn_2xn_kernelILj128ELj5ELj32E21rocsparse_complex_numIfEEEvi20rocsparse_direction_NS_24const_host_device_scalarIT2_EEPKiS8_PKS5_SA_S6_PS5_21rocsparse_index_base_b,comdat
	.globl	_ZN9rocsparseL19gebsrmvn_2xn_kernelILj128ELj5ELj32E21rocsparse_complex_numIfEEEvi20rocsparse_direction_NS_24const_host_device_scalarIT2_EEPKiS8_PKS5_SA_S6_PS5_21rocsparse_index_base_b ; -- Begin function _ZN9rocsparseL19gebsrmvn_2xn_kernelILj128ELj5ELj32E21rocsparse_complex_numIfEEEvi20rocsparse_direction_NS_24const_host_device_scalarIT2_EEPKiS8_PKS5_SA_S6_PS5_21rocsparse_index_base_b
	.p2align	8
	.type	_ZN9rocsparseL19gebsrmvn_2xn_kernelILj128ELj5ELj32E21rocsparse_complex_numIfEEEvi20rocsparse_direction_NS_24const_host_device_scalarIT2_EEPKiS8_PKS5_SA_S6_PS5_21rocsparse_index_base_b,@function
_ZN9rocsparseL19gebsrmvn_2xn_kernelILj128ELj5ELj32E21rocsparse_complex_numIfEEEvi20rocsparse_direction_NS_24const_host_device_scalarIT2_EEPKiS8_PKS5_SA_S6_PS5_21rocsparse_index_base_b: ; @_ZN9rocsparseL19gebsrmvn_2xn_kernelILj128ELj5ELj32E21rocsparse_complex_numIfEEEvi20rocsparse_direction_NS_24const_host_device_scalarIT2_EEPKiS8_PKS5_SA_S6_PS5_21rocsparse_index_base_b
; %bb.0:
	s_clause 0x2
	s_load_b64 s[12:13], s[0:1], 0x40
	s_load_b64 s[2:3], s[0:1], 0x8
	;; [unrolled: 1-line block ×3, first 2 shown]
	v_mov_b32_e32 v1, 0
	s_add_nc_u64 s[6:7], s[0:1], 8
	s_add_nc_u64 s[8:9], s[0:1], 48
	s_wait_kmcnt 0x0
	s_bitcmp1_b32 s13, 0
	s_cselect_b32 s3, s7, s3
	s_cselect_b32 s2, s6, s2
	s_cselect_b32 s5, s9, s5
	s_cselect_b32 s4, s8, s4
	s_clause 0x1
	flat_load_b64 v[2:3], v1, s[2:3]
	flat_load_b64 v[4:5], v1, s[4:5]
	s_wait_loadcnt_dscnt 0x101
	v_cmp_eq_f32_e32 vcc_lo, 0, v2
	v_cmp_eq_f32_e64 s2, 0, v3
	s_wait_loadcnt_dscnt 0x0
	v_cmp_eq_f32_e64 s3, 1.0, v4
	v_cmp_eq_f32_e64 s4, 0, v5
	s_and_b32 s2, vcc_lo, s2
	s_and_b32 s3, s3, s4
	s_delay_alu instid0(SALU_CYCLE_1) | instskip(NEXT) | instid1(SALU_CYCLE_1)
	s_and_b32 s2, s2, s3
	s_xor_b32 s2, s2, -1
	s_delay_alu instid0(SALU_CYCLE_1)
	s_and_saveexec_b32 s3, s2
	s_cbranch_execz .LBB170_19
; %bb.1:
	s_load_b64 s[2:3], s[0:1], 0x0
	s_bfe_u32 s4, ttmp6, 0x4000c
	s_and_b32 s5, ttmp6, 15
	s_add_co_i32 s4, s4, 1
	s_getreg_b32 s6, hwreg(HW_REG_IB_STS2, 6, 4)
	s_mul_i32 s4, ttmp9, s4
	v_lshrrev_b32_e32 v1, 5, v0
	s_add_co_i32 s5, s5, s4
	s_cmp_eq_u32 s6, 0
	s_cselect_b32 s4, ttmp9, s5
	s_delay_alu instid0(VALU_DEP_1) | instid1(SALU_CYCLE_1)
	v_lshl_or_b32 v6, s4, 2, v1
	s_wait_kmcnt 0x0
	s_delay_alu instid0(VALU_DEP_1)
	v_cmp_gt_i32_e32 vcc_lo, s2, v6
	s_and_b32 exec_lo, exec_lo, vcc_lo
	s_cbranch_execz .LBB170_19
; %bb.2:
	s_load_b256 s[4:11], s[0:1], 0x10
	v_ashrrev_i32_e32 v7, 31, v6
	s_cmp_lg_u32 s3, 0
	s_wait_kmcnt 0x0
	s_delay_alu instid0(VALU_DEP_1)
	v_lshl_add_u64 v[8:9], v[6:7], 2, s[4:5]
	v_and_b32_e32 v7, 31, v0
	global_load_b64 v[8:9], v[8:9], off
	s_wait_loadcnt 0x0
	v_subrev_nc_u32_e32 v0, s12, v8
	v_subrev_nc_u32_e32 v14, s12, v9
	s_delay_alu instid0(VALU_DEP_2) | instskip(NEXT) | instid1(VALU_DEP_1)
	v_add_nc_u32_e32 v15, v0, v7
	v_cmp_lt_i32_e64 s2, v15, v14
	s_cbranch_scc0 .LBB170_8
; %bb.3:
	v_mov_b32_e32 v1, 0
	s_delay_alu instid0(VALU_DEP_1)
	v_dual_mov_b32 v0, v1 :: v_dual_mov_b32 v9, v1
	v_mov_b32_e32 v8, v1
	s_and_saveexec_b32 s3, s2
	s_cbranch_execz .LBB170_7
; %bb.4:
	v_mad_u32 v12, v15, 10, 8
	v_dual_mov_b32 v11, 0 :: v_dual_mov_b32 v16, v15
	s_mov_b32 s4, 0
	s_delay_alu instid0(VALU_DEP_1)
	v_dual_mov_b32 v8, v11 :: v_dual_mov_b32 v9, v11
	v_dual_mov_b32 v0, v11 :: v_dual_mov_b32 v1, v11
.LBB170_5:                              ; =>This Inner Loop Header: Depth=1
	global_load_b32 v13, v16, s[6:7] scale_offset
	s_wait_xcnt 0x0
	v_add_nc_u32_e32 v16, 32, v16
	s_delay_alu instid0(VALU_DEP_1) | instskip(SKIP_3) | instid1(VALU_DEP_1)
	v_cmp_ge_i32_e32 vcc_lo, v16, v14
	s_or_b32 s4, vcc_lo, s4
	s_wait_loadcnt 0x0
	v_subrev_nc_u32_e32 v13, s12, v13
	v_lshl_add_u32 v17, v13, 2, v13
	s_delay_alu instid0(VALU_DEP_1) | instskip(NEXT) | instid1(VALU_DEP_1)
	v_dual_add_nc_u32 v10, -8, v12 :: v_dual_add_nc_u32 v13, 1, v17
	v_lshl_add_u64 v[22:23], v[10:11], 3, s[8:9]
	v_add_nc_u32_e32 v10, -6, v12
	global_load_b128 v[18:21], v[22:23], off
	global_load_b64 v[38:39], v17, s[10:11] scale_offset
	v_lshl_add_u64 v[26:27], v[10:11], 3, s[8:9]
	global_load_b128 v[22:25], v[26:27], off
	global_load_b64 v[40:41], v13, s[10:11] scale_offset
	s_wait_xcnt 0x0
	v_dual_add_nc_u32 v10, -4, v12 :: v_dual_add_nc_u32 v13, 2, v17
	s_delay_alu instid0(VALU_DEP_1)
	v_lshl_add_u64 v[30:31], v[10:11], 3, s[8:9]
	v_add_nc_u32_e32 v10, -2, v12
	global_load_b128 v[26:29], v[30:31], off
	global_load_b64 v[42:43], v13, s[10:11] scale_offset
	v_lshl_add_u64 v[34:35], v[10:11], 3, s[8:9]
	s_wait_xcnt 0x0
	v_dual_mov_b32 v13, v11 :: v_dual_add_nc_u32 v10, 3, v17
	s_delay_alu instid0(VALU_DEP_1) | instskip(SKIP_4) | instid1(VALU_DEP_2)
	v_lshl_add_u64 v[46:47], v[12:13], 3, s[8:9]
	v_add_nc_u32_e32 v12, 0x140, v12
	s_wait_loadcnt 0x4
	v_pk_fma_f32 v[0:1], v[18:19], v[38:39], v[0:1] op_sel_hi:[1,0,1]
	v_pk_fma_f32 v[8:9], v[20:21], v[38:39], v[8:9] op_sel_hi:[1,0,1]
	v_pk_fma_f32 v[0:1], v[18:19], v[38:39], v[0:1] op_sel:[1,1,0] op_sel_hi:[0,1,1] neg_lo:[1,0,0]
	s_wait_loadcnt 0x3
	v_mov_b32_e32 v19, v24
	global_load_b128 v[30:33], v[34:35], off
	global_load_b64 v[44:45], v10, s[10:11] scale_offset
	s_wait_xcnt 0x0
	v_add_nc_u32_e32 v10, 4, v17
	global_load_b128 v[34:37], v[46:47], off
	global_load_b64 v[48:49], v10, s[10:11] scale_offset
	s_wait_xcnt 0x1
	v_xor_b32_e32 v46, 0x80000000, v21
	v_mov_b32_e32 v47, v20
	v_xor_b32_e32 v18, 0x80000000, v25
	s_wait_loadcnt 0x6
	v_pk_fma_f32 v[0:1], v[22:23], v[40:41], v[0:1] op_sel_hi:[1,0,1]
	s_delay_alu instid0(VALU_DEP_3) | instskip(NEXT) | instid1(VALU_DEP_2)
	v_pk_fma_f32 v[8:9], v[46:47], v[38:39], v[8:9] op_sel:[0,1,0]
	v_pk_fma_f32 v[0:1], v[22:23], v[40:41], v[0:1] op_sel:[1,1,0] op_sel_hi:[0,1,1] neg_lo:[1,0,0]
	s_delay_alu instid0(VALU_DEP_2) | instskip(SKIP_1) | instid1(VALU_DEP_2)
	v_pk_fma_f32 v[8:9], v[24:25], v[40:41], v[8:9] op_sel_hi:[1,0,1]
	s_wait_loadcnt 0x4
	v_pk_fma_f32 v[0:1], v[26:27], v[42:43], v[0:1] op_sel_hi:[1,0,1]
	s_delay_alu instid0(VALU_DEP_2) | instskip(SKIP_2) | instid1(VALU_DEP_4)
	v_pk_fma_f32 v[8:9], v[18:19], v[40:41], v[8:9] op_sel:[0,1,0]
	v_xor_b32_e32 v18, 0x80000000, v29
	v_mov_b32_e32 v19, v28
	v_pk_fma_f32 v[0:1], v[26:27], v[42:43], v[0:1] op_sel:[1,1,0] op_sel_hi:[0,1,1] neg_lo:[1,0,0]
	s_delay_alu instid0(VALU_DEP_4) | instskip(NEXT) | instid1(VALU_DEP_1)
	v_pk_fma_f32 v[8:9], v[28:29], v[42:43], v[8:9] op_sel_hi:[1,0,1]
	v_pk_fma_f32 v[8:9], v[18:19], v[42:43], v[8:9] op_sel:[0,1,0]
	s_wait_loadcnt 0x3
	v_xor_b32_e32 v18, 0x80000000, v33
	v_mov_b32_e32 v19, v32
	s_wait_loadcnt 0x2
	v_pk_fma_f32 v[0:1], v[30:31], v[44:45], v[0:1] op_sel_hi:[1,0,1]
	v_pk_fma_f32 v[8:9], v[32:33], v[44:45], v[8:9] op_sel_hi:[1,0,1]
	s_delay_alu instid0(VALU_DEP_2) | instskip(NEXT) | instid1(VALU_DEP_2)
	v_pk_fma_f32 v[0:1], v[30:31], v[44:45], v[0:1] op_sel:[1,1,0] op_sel_hi:[0,1,1] neg_lo:[1,0,0]
	v_pk_fma_f32 v[8:9], v[18:19], v[44:45], v[8:9] op_sel:[0,1,0]
	s_wait_loadcnt 0x1
	v_xor_b32_e32 v18, 0x80000000, v37
	v_mov_b32_e32 v19, v36
	s_wait_loadcnt 0x0
	v_pk_fma_f32 v[0:1], v[34:35], v[48:49], v[0:1] op_sel_hi:[1,0,1]
	v_pk_fma_f32 v[8:9], v[36:37], v[48:49], v[8:9] op_sel_hi:[1,0,1]
	s_delay_alu instid0(VALU_DEP_2) | instskip(NEXT) | instid1(VALU_DEP_2)
	v_pk_fma_f32 v[0:1], v[34:35], v[48:49], v[0:1] op_sel:[1,1,0] op_sel_hi:[0,1,1] neg_lo:[1,0,0]
	v_pk_fma_f32 v[8:9], v[18:19], v[48:49], v[8:9] op_sel:[0,1,0]
	s_and_not1_b32 exec_lo, exec_lo, s4
	s_cbranch_execnz .LBB170_5
; %bb.6:
	s_or_b32 exec_lo, exec_lo, s4
.LBB170_7:
	s_delay_alu instid0(SALU_CYCLE_1)
	s_or_b32 exec_lo, exec_lo, s3
	s_cbranch_execz .LBB170_9
	s_branch .LBB170_14
.LBB170_8:
                                        ; implicit-def: $vgpr1
                                        ; implicit-def: $vgpr9
.LBB170_9:
	v_mov_b32_e32 v1, 0
	s_delay_alu instid0(VALU_DEP_1)
	v_dual_mov_b32 v0, v1 :: v_dual_mov_b32 v9, v1
	v_mov_b32_e32 v8, v1
	s_and_saveexec_b32 s3, s2
	s_cbranch_execz .LBB170_13
; %bb.10:
	v_mad_u32 v12, v15, 10, 9
	v_mov_b32_e32 v11, 0
	s_mov_b32 s2, 0
	s_delay_alu instid0(VALU_DEP_1)
	v_dual_mov_b32 v8, v11 :: v_dual_mov_b32 v9, v11
	v_dual_mov_b32 v0, v11 :: v_dual_mov_b32 v1, v11
.LBB170_11:                             ; =>This Inner Loop Header: Depth=1
	global_load_b32 v13, v15, s[6:7] scale_offset
	v_dual_add_nc_u32 v10, -9, v12 :: v_dual_add_nc_u32 v26, -4, v12
	v_dual_add_nc_u32 v30, -3, v12 :: v_dual_add_nc_u32 v42, -1, v12
	s_wait_xcnt 0x0
	v_add_nc_u32_e32 v15, 32, v15
	s_delay_alu instid0(VALU_DEP_3) | instskip(NEXT) | instid1(VALU_DEP_2)
	v_lshl_add_u64 v[20:21], v[10:11], 3, s[8:9]
	v_cmp_ge_i32_e32 vcc_lo, v15, v14
	s_or_b32 s2, vcc_lo, s2
	s_wait_loadcnt 0x0
	v_subrev_nc_u32_e32 v13, s12, v13
	s_delay_alu instid0(VALU_DEP_1)
	v_lshl_add_u32 v10, v13, 2, v13
	s_clause 0x1
	global_load_b128 v[16:19], v[20:21], off
	global_load_b64 v[22:23], v26, s[8:9] scale_offset
	global_load_b64 v[24:25], v10, s[10:11] scale_offset
	v_dual_add_nc_u32 v13, -7, v12 :: v_dual_add_nc_u32 v31, 1, v10
	s_clause 0x1
	global_load_b64 v[20:21], v13, s[8:9] scale_offset
	global_load_b64 v[26:27], v30, s[8:9] scale_offset
	;; [unrolled: 1-line block ×3, first 2 shown]
	s_wait_xcnt 0x2
	v_dual_add_nc_u32 v13, -6, v12 :: v_dual_add_nc_u32 v36, -2, v12
	v_add_nc_u32_e32 v37, 2, v10
	s_clause 0x1
	global_load_b64 v[30:31], v13, s[8:9] scale_offset
	global_load_b64 v[32:33], v36, s[8:9] scale_offset
	;; [unrolled: 1-line block ×3, first 2 shown]
	s_wait_xcnt 0x2
	v_dual_add_nc_u32 v13, -5, v12 :: v_dual_add_nc_u32 v43, 3, v10
	v_add_nc_u32_e32 v10, 4, v10
	s_clause 0x1
	global_load_b64 v[36:37], v13, s[8:9] scale_offset
	global_load_b64 v[38:39], v42, s[8:9] scale_offset
	;; [unrolled: 1-line block ×5, first 2 shown]
	s_wait_xcnt 0x1
	v_add_nc_u32_e32 v12, 0x140, v12
	s_wait_loadcnt 0xb
	v_pk_fma_f32 v[0:1], v[16:17], v[24:25], v[0:1] op_sel_hi:[1,0,1]
	v_pk_fma_f32 v[8:9], v[22:23], v[24:25], v[8:9] op_sel_hi:[1,0,1]
	s_delay_alu instid0(VALU_DEP_2) | instskip(NEXT) | instid1(VALU_DEP_2)
	v_pk_fma_f32 v[0:1], v[16:17], v[24:25], v[0:1] op_sel:[1,1,0] op_sel_hi:[0,1,1] neg_lo:[1,0,0]
	v_pk_fma_f32 v[8:9], v[22:23], v[24:25], v[8:9] op_sel:[1,1,0] op_sel_hi:[0,1,1] neg_lo:[1,0,0]
	v_xor_b32_e32 v16, 0x80000000, v19
	v_mov_b32_e32 v17, v18
	s_wait_loadcnt 0x8
	v_pk_fma_f32 v[0:1], v[18:19], v[28:29], v[0:1] op_sel_hi:[1,0,1]
	v_pk_fma_f32 v[8:9], v[26:27], v[28:29], v[8:9] op_sel_hi:[1,0,1]
	s_delay_alu instid0(VALU_DEP_2) | instskip(NEXT) | instid1(VALU_DEP_2)
	v_pk_fma_f32 v[0:1], v[16:17], v[28:29], v[0:1] op_sel:[0,1,0]
	v_pk_fma_f32 v[8:9], v[26:27], v[28:29], v[8:9] op_sel:[1,1,0] op_sel_hi:[0,1,1] neg_lo:[1,0,0]
	s_wait_loadcnt 0x5
	s_delay_alu instid0(VALU_DEP_2) | instskip(NEXT) | instid1(VALU_DEP_2)
	v_pk_fma_f32 v[0:1], v[20:21], v[34:35], v[0:1] op_sel_hi:[1,0,1]
	v_pk_fma_f32 v[8:9], v[32:33], v[34:35], v[8:9] op_sel_hi:[1,0,1]
	s_delay_alu instid0(VALU_DEP_2) | instskip(NEXT) | instid1(VALU_DEP_2)
	v_pk_fma_f32 v[0:1], v[20:21], v[34:35], v[0:1] op_sel:[1,1,0] op_sel_hi:[0,1,1] neg_lo:[1,0,0]
	v_pk_fma_f32 v[8:9], v[32:33], v[34:35], v[8:9] op_sel:[1,1,0] op_sel_hi:[0,1,1] neg_lo:[1,0,0]
	s_wait_loadcnt 0x2
	s_delay_alu instid0(VALU_DEP_2) | instskip(NEXT) | instid1(VALU_DEP_2)
	v_pk_fma_f32 v[0:1], v[30:31], v[40:41], v[0:1] op_sel_hi:[1,0,1]
	v_pk_fma_f32 v[8:9], v[38:39], v[40:41], v[8:9] op_sel_hi:[1,0,1]
	s_delay_alu instid0(VALU_DEP_2) | instskip(NEXT) | instid1(VALU_DEP_2)
	v_pk_fma_f32 v[0:1], v[30:31], v[40:41], v[0:1] op_sel:[1,1,0] op_sel_hi:[0,1,1] neg_lo:[1,0,0]
	;; [unrolled: 7-line block ×3, first 2 shown]
	v_pk_fma_f32 v[8:9], v[42:43], v[44:45], v[8:9] op_sel:[1,1,0] op_sel_hi:[0,1,1] neg_lo:[1,0,0]
	s_and_not1_b32 exec_lo, exec_lo, s2
	s_cbranch_execnz .LBB170_11
; %bb.12:
	s_or_b32 exec_lo, exec_lo, s2
.LBB170_13:
	s_delay_alu instid0(SALU_CYCLE_1)
	s_or_b32 exec_lo, exec_lo, s3
.LBB170_14:
	v_mbcnt_lo_u32_b32 v10, -1, 0
	s_delay_alu instid0(VALU_DEP_1) | instskip(SKIP_1) | instid1(VALU_DEP_1)
	v_xor_b32_e32 v15, 8, v10
	v_xor_b32_e32 v11, 16, v10
	v_cmp_gt_i32_e32 vcc_lo, 32, v11
	v_cndmask_b32_e32 v11, v10, v11, vcc_lo
	s_delay_alu instid0(VALU_DEP_1)
	v_lshlrev_b32_e32 v11, 2, v11
	ds_bpermute_b32 v13, v11, v1
	s_wait_dscnt 0x0
	v_add_f32_e32 v1, v1, v13
	ds_bpermute_b32 v12, v11, v0
	ds_bpermute_b32 v14, v11, v8
	;; [unrolled: 1-line block ×3, first 2 shown]
	s_wait_dscnt 0x2
	v_add_f32_e32 v0, v0, v12
	s_wait_dscnt 0x0
	v_dual_add_f32 v8, v8, v14 :: v_dual_add_f32 v9, v9, v11
	v_cmp_gt_i32_e32 vcc_lo, 32, v15
	v_cndmask_b32_e32 v15, v10, v15, vcc_lo
	s_delay_alu instid0(VALU_DEP_1)
	v_lshlrev_b32_e32 v15, 2, v15
	ds_bpermute_b32 v11, v15, v0
	ds_bpermute_b32 v12, v15, v1
	;; [unrolled: 1-line block ×4, first 2 shown]
	s_wait_dscnt 0x3
	v_dual_add_f32 v0, v0, v11 :: v_dual_bitop2_b32 v15, 4, v10 bitop3:0x14
	s_delay_alu instid0(VALU_DEP_1)
	v_cmp_gt_i32_e32 vcc_lo, 32, v15
	s_wait_dscnt 0x2
	v_add_f32_e32 v1, v1, v12
	s_wait_dscnt 0x0
	v_dual_add_f32 v9, v9, v14 :: v_dual_add_f32 v8, v8, v13
	v_cndmask_b32_e32 v15, v10, v15, vcc_lo
	s_delay_alu instid0(VALU_DEP_1)
	v_lshlrev_b32_e32 v15, 2, v15
	ds_bpermute_b32 v11, v15, v0
	ds_bpermute_b32 v12, v15, v1
	;; [unrolled: 1-line block ×4, first 2 shown]
	s_wait_dscnt 0x3
	v_dual_add_f32 v0, v0, v11 :: v_dual_bitop2_b32 v15, 2, v10 bitop3:0x14
	s_delay_alu instid0(VALU_DEP_1) | instskip(SKIP_4) | instid1(VALU_DEP_2)
	v_cmp_gt_i32_e32 vcc_lo, 32, v15
	s_wait_dscnt 0x2
	v_dual_add_f32 v1, v1, v12 :: v_dual_cndmask_b32 v15, v10, v15, vcc_lo
	s_wait_dscnt 0x0
	v_dual_add_f32 v11, v8, v13 :: v_dual_add_f32 v9, v9, v14
	v_lshlrev_b32_e32 v15, 2, v15
	ds_bpermute_b32 v8, v15, v0
	ds_bpermute_b32 v12, v15, v1
	;; [unrolled: 1-line block ×4, first 2 shown]
	s_wait_dscnt 0x3
	v_dual_add_f32 v0, v0, v8 :: v_dual_bitop2_b32 v15, 1, v10 bitop3:0x14
	s_delay_alu instid0(VALU_DEP_1)
	v_cmp_gt_i32_e32 vcc_lo, 32, v15
	s_wait_dscnt 0x1
	v_dual_add_f32 v8, v1, v12 :: v_dual_add_f32 v1, v11, v13
	s_wait_dscnt 0x0
	v_dual_add_f32 v9, v9, v14 :: v_dual_cndmask_b32 v10, v10, v15
	v_cmp_eq_u32_e32 vcc_lo, 31, v7
	s_delay_alu instid0(VALU_DEP_2)
	v_lshlrev_b32_e32 v15, 2, v10
	ds_bpermute_b32 v12, v15, v0
	ds_bpermute_b32 v13, v15, v8
	ds_bpermute_b32 v10, v15, v1
	ds_bpermute_b32 v11, v15, v9
	s_and_b32 exec_lo, exec_lo, vcc_lo
	s_cbranch_execz .LBB170_19
; %bb.15:
	s_load_b64 s[2:3], s[0:1], 0x38
	v_cmp_eq_f32_e32 vcc_lo, 0, v4
	s_wait_xcnt 0x0
	v_cmp_eq_f32_e64 s0, 0, v5
	s_wait_dscnt 0x3
	v_add_f32_e32 v0, v0, v12
	s_wait_dscnt 0x1
	v_dual_add_f32 v12, v8, v13 :: v_dual_add_f32 v8, v1, v10
	s_wait_dscnt 0x0
	v_add_f32_e32 v10, v9, v11
	s_and_b32 s0, vcc_lo, s0
	s_delay_alu instid0(SALU_CYCLE_1) | instskip(NEXT) | instid1(SALU_CYCLE_1)
	s_and_saveexec_b32 s1, s0
	s_xor_b32 s0, exec_lo, s1
	s_cbranch_execz .LBB170_17
; %bb.16:
	v_xor_b32_e32 v4, 0x80000000, v3
	v_dual_mov_b32 v5, v2 :: v_dual_lshlrev_b32 v6, 1, v6
	s_delay_alu instid0(VALU_DEP_1) | instskip(NEXT) | instid1(VALU_DEP_2)
	v_ashrrev_i32_e32 v7, 31, v6
	v_pk_mul_f32 v[12:13], v[12:13], v[4:5] op_sel_hi:[0,1]
	v_pk_mul_f32 v[4:5], v[10:11], v[4:5] op_sel_hi:[0,1]
                                        ; implicit-def: $vgpr10
	s_wait_kmcnt 0x0
	s_delay_alu instid0(VALU_DEP_3) | instskip(NEXT) | instid1(VALU_DEP_3)
	v_lshl_add_u64 v[6:7], v[6:7], 3, s[2:3]
	v_pk_fma_f32 v[0:1], v[2:3], v[0:1], v[12:13] op_sel_hi:[1,0,1]
	s_delay_alu instid0(VALU_DEP_3)
	v_pk_fma_f32 v[2:3], v[2:3], v[8:9], v[4:5] op_sel_hi:[1,0,1]
                                        ; implicit-def: $vgpr4_vgpr5
                                        ; implicit-def: $vgpr12
                                        ; implicit-def: $vgpr8
	global_store_b128 v[6:7], v[0:3], off
                                        ; implicit-def: $vgpr6
                                        ; implicit-def: $vgpr2_vgpr3
                                        ; implicit-def: $vgpr0
.LBB170_17:
	s_wait_xcnt 0x0
	s_and_not1_saveexec_b32 s0, s0
	s_cbranch_execz .LBB170_19
; %bb.18:
	v_dual_mov_b32 v19, v2 :: v_dual_lshlrev_b32 v6, 1, v6
	v_xor_b32_e32 v18, 0x80000000, v3
	s_delay_alu instid0(VALU_DEP_2) | instskip(NEXT) | instid1(VALU_DEP_2)
	v_ashrrev_i32_e32 v7, 31, v6
	v_pk_mul_f32 v[12:13], v[12:13], v[18:19] op_sel_hi:[0,1]
	v_pk_mul_f32 v[10:11], v[10:11], v[18:19] op_sel_hi:[0,1]
	s_delay_alu instid0(VALU_DEP_2) | instskip(NEXT) | instid1(VALU_DEP_2)
	v_pk_fma_f32 v[0:1], v[2:3], v[0:1], v[12:13] op_sel_hi:[1,0,1]
	v_pk_fma_f32 v[2:3], v[2:3], v[8:9], v[10:11] op_sel_hi:[1,0,1]
	v_mov_b32_e32 v9, v4
	s_wait_kmcnt 0x0
	v_lshl_add_u64 v[6:7], v[6:7], 3, s[2:3]
	v_xor_b32_e32 v8, 0x80000000, v5
	global_load_b128 v[14:17], v[6:7], off
	s_wait_loadcnt 0x0
	v_pk_fma_f32 v[0:1], v[4:5], v[14:15], v[0:1] op_sel_hi:[1,0,1]
	v_pk_fma_f32 v[2:3], v[4:5], v[16:17], v[2:3] op_sel_hi:[1,0,1]
	v_mov_b32_e32 v4, v17
	s_delay_alu instid0(VALU_DEP_3) | instskip(NEXT) | instid1(VALU_DEP_2)
	v_pk_fma_f32 v[0:1], v[8:9], v[14:15], v[0:1] op_sel:[0,1,0]
	v_pk_fma_f32 v[2:3], v[8:9], v[4:5], v[2:3] op_sel_hi:[1,0,1]
	global_store_b128 v[6:7], v[0:3], off
.LBB170_19:
	s_endpgm
	.section	.rodata,"a",@progbits
	.p2align	6, 0x0
	.amdhsa_kernel _ZN9rocsparseL19gebsrmvn_2xn_kernelILj128ELj5ELj32E21rocsparse_complex_numIfEEEvi20rocsparse_direction_NS_24const_host_device_scalarIT2_EEPKiS8_PKS5_SA_S6_PS5_21rocsparse_index_base_b
		.amdhsa_group_segment_fixed_size 0
		.amdhsa_private_segment_fixed_size 0
		.amdhsa_kernarg_size 72
		.amdhsa_user_sgpr_count 2
		.amdhsa_user_sgpr_dispatch_ptr 0
		.amdhsa_user_sgpr_queue_ptr 0
		.amdhsa_user_sgpr_kernarg_segment_ptr 1
		.amdhsa_user_sgpr_dispatch_id 0
		.amdhsa_user_sgpr_kernarg_preload_length 0
		.amdhsa_user_sgpr_kernarg_preload_offset 0
		.amdhsa_user_sgpr_private_segment_size 0
		.amdhsa_wavefront_size32 1
		.amdhsa_uses_dynamic_stack 0
		.amdhsa_enable_private_segment 0
		.amdhsa_system_sgpr_workgroup_id_x 1
		.amdhsa_system_sgpr_workgroup_id_y 0
		.amdhsa_system_sgpr_workgroup_id_z 0
		.amdhsa_system_sgpr_workgroup_info 0
		.amdhsa_system_vgpr_workitem_id 0
		.amdhsa_next_free_vgpr 50
		.amdhsa_next_free_sgpr 14
		.amdhsa_named_barrier_count 0
		.amdhsa_reserve_vcc 1
		.amdhsa_float_round_mode_32 0
		.amdhsa_float_round_mode_16_64 0
		.amdhsa_float_denorm_mode_32 3
		.amdhsa_float_denorm_mode_16_64 3
		.amdhsa_fp16_overflow 0
		.amdhsa_memory_ordered 1
		.amdhsa_forward_progress 1
		.amdhsa_inst_pref_size 19
		.amdhsa_round_robin_scheduling 0
		.amdhsa_exception_fp_ieee_invalid_op 0
		.amdhsa_exception_fp_denorm_src 0
		.amdhsa_exception_fp_ieee_div_zero 0
		.amdhsa_exception_fp_ieee_overflow 0
		.amdhsa_exception_fp_ieee_underflow 0
		.amdhsa_exception_fp_ieee_inexact 0
		.amdhsa_exception_int_div_zero 0
	.end_amdhsa_kernel
	.section	.text._ZN9rocsparseL19gebsrmvn_2xn_kernelILj128ELj5ELj32E21rocsparse_complex_numIfEEEvi20rocsparse_direction_NS_24const_host_device_scalarIT2_EEPKiS8_PKS5_SA_S6_PS5_21rocsparse_index_base_b,"axG",@progbits,_ZN9rocsparseL19gebsrmvn_2xn_kernelILj128ELj5ELj32E21rocsparse_complex_numIfEEEvi20rocsparse_direction_NS_24const_host_device_scalarIT2_EEPKiS8_PKS5_SA_S6_PS5_21rocsparse_index_base_b,comdat
.Lfunc_end170:
	.size	_ZN9rocsparseL19gebsrmvn_2xn_kernelILj128ELj5ELj32E21rocsparse_complex_numIfEEEvi20rocsparse_direction_NS_24const_host_device_scalarIT2_EEPKiS8_PKS5_SA_S6_PS5_21rocsparse_index_base_b, .Lfunc_end170-_ZN9rocsparseL19gebsrmvn_2xn_kernelILj128ELj5ELj32E21rocsparse_complex_numIfEEEvi20rocsparse_direction_NS_24const_host_device_scalarIT2_EEPKiS8_PKS5_SA_S6_PS5_21rocsparse_index_base_b
                                        ; -- End function
	.set _ZN9rocsparseL19gebsrmvn_2xn_kernelILj128ELj5ELj32E21rocsparse_complex_numIfEEEvi20rocsparse_direction_NS_24const_host_device_scalarIT2_EEPKiS8_PKS5_SA_S6_PS5_21rocsparse_index_base_b.num_vgpr, 50
	.set _ZN9rocsparseL19gebsrmvn_2xn_kernelILj128ELj5ELj32E21rocsparse_complex_numIfEEEvi20rocsparse_direction_NS_24const_host_device_scalarIT2_EEPKiS8_PKS5_SA_S6_PS5_21rocsparse_index_base_b.num_agpr, 0
	.set _ZN9rocsparseL19gebsrmvn_2xn_kernelILj128ELj5ELj32E21rocsparse_complex_numIfEEEvi20rocsparse_direction_NS_24const_host_device_scalarIT2_EEPKiS8_PKS5_SA_S6_PS5_21rocsparse_index_base_b.numbered_sgpr, 14
	.set _ZN9rocsparseL19gebsrmvn_2xn_kernelILj128ELj5ELj32E21rocsparse_complex_numIfEEEvi20rocsparse_direction_NS_24const_host_device_scalarIT2_EEPKiS8_PKS5_SA_S6_PS5_21rocsparse_index_base_b.num_named_barrier, 0
	.set _ZN9rocsparseL19gebsrmvn_2xn_kernelILj128ELj5ELj32E21rocsparse_complex_numIfEEEvi20rocsparse_direction_NS_24const_host_device_scalarIT2_EEPKiS8_PKS5_SA_S6_PS5_21rocsparse_index_base_b.private_seg_size, 0
	.set _ZN9rocsparseL19gebsrmvn_2xn_kernelILj128ELj5ELj32E21rocsparse_complex_numIfEEEvi20rocsparse_direction_NS_24const_host_device_scalarIT2_EEPKiS8_PKS5_SA_S6_PS5_21rocsparse_index_base_b.uses_vcc, 1
	.set _ZN9rocsparseL19gebsrmvn_2xn_kernelILj128ELj5ELj32E21rocsparse_complex_numIfEEEvi20rocsparse_direction_NS_24const_host_device_scalarIT2_EEPKiS8_PKS5_SA_S6_PS5_21rocsparse_index_base_b.uses_flat_scratch, 1
	.set _ZN9rocsparseL19gebsrmvn_2xn_kernelILj128ELj5ELj32E21rocsparse_complex_numIfEEEvi20rocsparse_direction_NS_24const_host_device_scalarIT2_EEPKiS8_PKS5_SA_S6_PS5_21rocsparse_index_base_b.has_dyn_sized_stack, 0
	.set _ZN9rocsparseL19gebsrmvn_2xn_kernelILj128ELj5ELj32E21rocsparse_complex_numIfEEEvi20rocsparse_direction_NS_24const_host_device_scalarIT2_EEPKiS8_PKS5_SA_S6_PS5_21rocsparse_index_base_b.has_recursion, 0
	.set _ZN9rocsparseL19gebsrmvn_2xn_kernelILj128ELj5ELj32E21rocsparse_complex_numIfEEEvi20rocsparse_direction_NS_24const_host_device_scalarIT2_EEPKiS8_PKS5_SA_S6_PS5_21rocsparse_index_base_b.has_indirect_call, 0
	.section	.AMDGPU.csdata,"",@progbits
; Kernel info:
; codeLenInByte = 2376
; TotalNumSgprs: 16
; NumVgprs: 50
; ScratchSize: 0
; MemoryBound: 0
; FloatMode: 240
; IeeeMode: 1
; LDSByteSize: 0 bytes/workgroup (compile time only)
; SGPRBlocks: 0
; VGPRBlocks: 3
; NumSGPRsForWavesPerEU: 16
; NumVGPRsForWavesPerEU: 50
; NamedBarCnt: 0
; Occupancy: 16
; WaveLimiterHint : 1
; COMPUTE_PGM_RSRC2:SCRATCH_EN: 0
; COMPUTE_PGM_RSRC2:USER_SGPR: 2
; COMPUTE_PGM_RSRC2:TRAP_HANDLER: 0
; COMPUTE_PGM_RSRC2:TGID_X_EN: 1
; COMPUTE_PGM_RSRC2:TGID_Y_EN: 0
; COMPUTE_PGM_RSRC2:TGID_Z_EN: 0
; COMPUTE_PGM_RSRC2:TIDIG_COMP_CNT: 0
	.section	.text._ZN9rocsparseL19gebsrmvn_2xn_kernelILj128ELj5ELj64E21rocsparse_complex_numIfEEEvi20rocsparse_direction_NS_24const_host_device_scalarIT2_EEPKiS8_PKS5_SA_S6_PS5_21rocsparse_index_base_b,"axG",@progbits,_ZN9rocsparseL19gebsrmvn_2xn_kernelILj128ELj5ELj64E21rocsparse_complex_numIfEEEvi20rocsparse_direction_NS_24const_host_device_scalarIT2_EEPKiS8_PKS5_SA_S6_PS5_21rocsparse_index_base_b,comdat
	.globl	_ZN9rocsparseL19gebsrmvn_2xn_kernelILj128ELj5ELj64E21rocsparse_complex_numIfEEEvi20rocsparse_direction_NS_24const_host_device_scalarIT2_EEPKiS8_PKS5_SA_S6_PS5_21rocsparse_index_base_b ; -- Begin function _ZN9rocsparseL19gebsrmvn_2xn_kernelILj128ELj5ELj64E21rocsparse_complex_numIfEEEvi20rocsparse_direction_NS_24const_host_device_scalarIT2_EEPKiS8_PKS5_SA_S6_PS5_21rocsparse_index_base_b
	.p2align	8
	.type	_ZN9rocsparseL19gebsrmvn_2xn_kernelILj128ELj5ELj64E21rocsparse_complex_numIfEEEvi20rocsparse_direction_NS_24const_host_device_scalarIT2_EEPKiS8_PKS5_SA_S6_PS5_21rocsparse_index_base_b,@function
_ZN9rocsparseL19gebsrmvn_2xn_kernelILj128ELj5ELj64E21rocsparse_complex_numIfEEEvi20rocsparse_direction_NS_24const_host_device_scalarIT2_EEPKiS8_PKS5_SA_S6_PS5_21rocsparse_index_base_b: ; @_ZN9rocsparseL19gebsrmvn_2xn_kernelILj128ELj5ELj64E21rocsparse_complex_numIfEEEvi20rocsparse_direction_NS_24const_host_device_scalarIT2_EEPKiS8_PKS5_SA_S6_PS5_21rocsparse_index_base_b
; %bb.0:
	s_clause 0x2
	s_load_b64 s[12:13], s[0:1], 0x40
	s_load_b64 s[2:3], s[0:1], 0x8
	;; [unrolled: 1-line block ×3, first 2 shown]
	v_mov_b32_e32 v1, 0
	s_add_nc_u64 s[6:7], s[0:1], 8
	s_add_nc_u64 s[8:9], s[0:1], 48
	s_wait_kmcnt 0x0
	s_bitcmp1_b32 s13, 0
	s_cselect_b32 s3, s7, s3
	s_cselect_b32 s2, s6, s2
	;; [unrolled: 1-line block ×4, first 2 shown]
	s_clause 0x1
	flat_load_b64 v[2:3], v1, s[2:3]
	flat_load_b64 v[4:5], v1, s[4:5]
	s_wait_loadcnt_dscnt 0x101
	v_cmp_eq_f32_e32 vcc_lo, 0, v2
	v_cmp_eq_f32_e64 s2, 0, v3
	s_wait_loadcnt_dscnt 0x0
	v_cmp_eq_f32_e64 s3, 1.0, v4
	v_cmp_eq_f32_e64 s4, 0, v5
	s_and_b32 s2, vcc_lo, s2
	s_and_b32 s3, s3, s4
	s_delay_alu instid0(SALU_CYCLE_1) | instskip(NEXT) | instid1(SALU_CYCLE_1)
	s_and_b32 s2, s2, s3
	s_xor_b32 s2, s2, -1
	s_delay_alu instid0(SALU_CYCLE_1)
	s_and_saveexec_b32 s3, s2
	s_cbranch_execz .LBB171_19
; %bb.1:
	s_load_b64 s[2:3], s[0:1], 0x0
	s_bfe_u32 s4, ttmp6, 0x4000c
	s_and_b32 s5, ttmp6, 15
	s_add_co_i32 s4, s4, 1
	s_getreg_b32 s6, hwreg(HW_REG_IB_STS2, 6, 4)
	s_mul_i32 s4, ttmp9, s4
	v_lshrrev_b32_e32 v1, 6, v0
	s_add_co_i32 s5, s5, s4
	s_cmp_eq_u32 s6, 0
	s_cselect_b32 s4, ttmp9, s5
	s_delay_alu instid0(VALU_DEP_1) | instid1(SALU_CYCLE_1)
	v_lshl_or_b32 v6, s4, 1, v1
	s_wait_kmcnt 0x0
	s_delay_alu instid0(VALU_DEP_1)
	v_cmp_gt_i32_e32 vcc_lo, s2, v6
	s_and_b32 exec_lo, exec_lo, vcc_lo
	s_cbranch_execz .LBB171_19
; %bb.2:
	s_load_b256 s[4:11], s[0:1], 0x10
	v_ashrrev_i32_e32 v7, 31, v6
	s_cmp_lg_u32 s3, 0
	s_wait_kmcnt 0x0
	s_delay_alu instid0(VALU_DEP_1)
	v_lshl_add_u64 v[8:9], v[6:7], 2, s[4:5]
	v_and_b32_e32 v7, 63, v0
	global_load_b64 v[8:9], v[8:9], off
	s_wait_loadcnt 0x0
	v_subrev_nc_u32_e32 v0, s12, v8
	v_subrev_nc_u32_e32 v14, s12, v9
	s_delay_alu instid0(VALU_DEP_2) | instskip(NEXT) | instid1(VALU_DEP_1)
	v_add_nc_u32_e32 v15, v0, v7
	v_cmp_lt_i32_e64 s2, v15, v14
	s_cbranch_scc0 .LBB171_8
; %bb.3:
	v_mov_b32_e32 v1, 0
	s_delay_alu instid0(VALU_DEP_1)
	v_dual_mov_b32 v0, v1 :: v_dual_mov_b32 v9, v1
	v_mov_b32_e32 v8, v1
	s_and_saveexec_b32 s3, s2
	s_cbranch_execz .LBB171_7
; %bb.4:
	v_mad_u32 v12, v15, 10, 8
	v_dual_mov_b32 v11, 0 :: v_dual_mov_b32 v16, v15
	s_mov_b32 s4, 0
	s_delay_alu instid0(VALU_DEP_1)
	v_dual_mov_b32 v8, v11 :: v_dual_mov_b32 v9, v11
	v_dual_mov_b32 v0, v11 :: v_dual_mov_b32 v1, v11
.LBB171_5:                              ; =>This Inner Loop Header: Depth=1
	global_load_b32 v13, v16, s[6:7] scale_offset
	s_wait_xcnt 0x0
	v_add_nc_u32_e32 v16, 64, v16
	s_delay_alu instid0(VALU_DEP_1) | instskip(SKIP_3) | instid1(VALU_DEP_1)
	v_cmp_ge_i32_e32 vcc_lo, v16, v14
	s_or_b32 s4, vcc_lo, s4
	s_wait_loadcnt 0x0
	v_subrev_nc_u32_e32 v13, s12, v13
	v_lshl_add_u32 v17, v13, 2, v13
	s_delay_alu instid0(VALU_DEP_1) | instskip(NEXT) | instid1(VALU_DEP_1)
	v_dual_add_nc_u32 v10, -8, v12 :: v_dual_add_nc_u32 v13, 1, v17
	v_lshl_add_u64 v[22:23], v[10:11], 3, s[8:9]
	v_add_nc_u32_e32 v10, -6, v12
	global_load_b128 v[18:21], v[22:23], off
	global_load_b64 v[38:39], v17, s[10:11] scale_offset
	v_lshl_add_u64 v[26:27], v[10:11], 3, s[8:9]
	global_load_b128 v[22:25], v[26:27], off
	global_load_b64 v[40:41], v13, s[10:11] scale_offset
	s_wait_xcnt 0x0
	v_dual_add_nc_u32 v10, -4, v12 :: v_dual_add_nc_u32 v13, 2, v17
	s_delay_alu instid0(VALU_DEP_1)
	v_lshl_add_u64 v[30:31], v[10:11], 3, s[8:9]
	v_add_nc_u32_e32 v10, -2, v12
	global_load_b128 v[26:29], v[30:31], off
	global_load_b64 v[42:43], v13, s[10:11] scale_offset
	v_lshl_add_u64 v[34:35], v[10:11], 3, s[8:9]
	s_wait_xcnt 0x0
	v_dual_mov_b32 v13, v11 :: v_dual_add_nc_u32 v10, 3, v17
	s_delay_alu instid0(VALU_DEP_1) | instskip(SKIP_4) | instid1(VALU_DEP_2)
	v_lshl_add_u64 v[46:47], v[12:13], 3, s[8:9]
	v_add_nc_u32_e32 v12, 0x280, v12
	s_wait_loadcnt 0x4
	v_pk_fma_f32 v[0:1], v[18:19], v[38:39], v[0:1] op_sel_hi:[1,0,1]
	v_pk_fma_f32 v[8:9], v[20:21], v[38:39], v[8:9] op_sel_hi:[1,0,1]
	v_pk_fma_f32 v[0:1], v[18:19], v[38:39], v[0:1] op_sel:[1,1,0] op_sel_hi:[0,1,1] neg_lo:[1,0,0]
	s_wait_loadcnt 0x3
	v_mov_b32_e32 v19, v24
	global_load_b128 v[30:33], v[34:35], off
	global_load_b64 v[44:45], v10, s[10:11] scale_offset
	s_wait_xcnt 0x0
	v_add_nc_u32_e32 v10, 4, v17
	global_load_b128 v[34:37], v[46:47], off
	global_load_b64 v[48:49], v10, s[10:11] scale_offset
	s_wait_xcnt 0x1
	v_xor_b32_e32 v46, 0x80000000, v21
	v_mov_b32_e32 v47, v20
	v_xor_b32_e32 v18, 0x80000000, v25
	s_wait_loadcnt 0x6
	v_pk_fma_f32 v[0:1], v[22:23], v[40:41], v[0:1] op_sel_hi:[1,0,1]
	s_delay_alu instid0(VALU_DEP_3) | instskip(NEXT) | instid1(VALU_DEP_2)
	v_pk_fma_f32 v[8:9], v[46:47], v[38:39], v[8:9] op_sel:[0,1,0]
	v_pk_fma_f32 v[0:1], v[22:23], v[40:41], v[0:1] op_sel:[1,1,0] op_sel_hi:[0,1,1] neg_lo:[1,0,0]
	s_delay_alu instid0(VALU_DEP_2) | instskip(SKIP_1) | instid1(VALU_DEP_2)
	v_pk_fma_f32 v[8:9], v[24:25], v[40:41], v[8:9] op_sel_hi:[1,0,1]
	s_wait_loadcnt 0x4
	v_pk_fma_f32 v[0:1], v[26:27], v[42:43], v[0:1] op_sel_hi:[1,0,1]
	s_delay_alu instid0(VALU_DEP_2) | instskip(SKIP_2) | instid1(VALU_DEP_4)
	v_pk_fma_f32 v[8:9], v[18:19], v[40:41], v[8:9] op_sel:[0,1,0]
	v_xor_b32_e32 v18, 0x80000000, v29
	v_mov_b32_e32 v19, v28
	v_pk_fma_f32 v[0:1], v[26:27], v[42:43], v[0:1] op_sel:[1,1,0] op_sel_hi:[0,1,1] neg_lo:[1,0,0]
	s_delay_alu instid0(VALU_DEP_4) | instskip(NEXT) | instid1(VALU_DEP_1)
	v_pk_fma_f32 v[8:9], v[28:29], v[42:43], v[8:9] op_sel_hi:[1,0,1]
	v_pk_fma_f32 v[8:9], v[18:19], v[42:43], v[8:9] op_sel:[0,1,0]
	s_wait_loadcnt 0x3
	v_xor_b32_e32 v18, 0x80000000, v33
	v_mov_b32_e32 v19, v32
	s_wait_loadcnt 0x2
	v_pk_fma_f32 v[0:1], v[30:31], v[44:45], v[0:1] op_sel_hi:[1,0,1]
	v_pk_fma_f32 v[8:9], v[32:33], v[44:45], v[8:9] op_sel_hi:[1,0,1]
	s_delay_alu instid0(VALU_DEP_2) | instskip(NEXT) | instid1(VALU_DEP_2)
	v_pk_fma_f32 v[0:1], v[30:31], v[44:45], v[0:1] op_sel:[1,1,0] op_sel_hi:[0,1,1] neg_lo:[1,0,0]
	v_pk_fma_f32 v[8:9], v[18:19], v[44:45], v[8:9] op_sel:[0,1,0]
	s_wait_loadcnt 0x1
	v_xor_b32_e32 v18, 0x80000000, v37
	v_mov_b32_e32 v19, v36
	s_wait_loadcnt 0x0
	v_pk_fma_f32 v[0:1], v[34:35], v[48:49], v[0:1] op_sel_hi:[1,0,1]
	v_pk_fma_f32 v[8:9], v[36:37], v[48:49], v[8:9] op_sel_hi:[1,0,1]
	s_delay_alu instid0(VALU_DEP_2) | instskip(NEXT) | instid1(VALU_DEP_2)
	v_pk_fma_f32 v[0:1], v[34:35], v[48:49], v[0:1] op_sel:[1,1,0] op_sel_hi:[0,1,1] neg_lo:[1,0,0]
	v_pk_fma_f32 v[8:9], v[18:19], v[48:49], v[8:9] op_sel:[0,1,0]
	s_and_not1_b32 exec_lo, exec_lo, s4
	s_cbranch_execnz .LBB171_5
; %bb.6:
	s_or_b32 exec_lo, exec_lo, s4
.LBB171_7:
	s_delay_alu instid0(SALU_CYCLE_1)
	s_or_b32 exec_lo, exec_lo, s3
	s_cbranch_execz .LBB171_9
	s_branch .LBB171_14
.LBB171_8:
                                        ; implicit-def: $vgpr1
                                        ; implicit-def: $vgpr9
.LBB171_9:
	v_mov_b32_e32 v1, 0
	s_delay_alu instid0(VALU_DEP_1)
	v_dual_mov_b32 v0, v1 :: v_dual_mov_b32 v9, v1
	v_mov_b32_e32 v8, v1
	s_and_saveexec_b32 s3, s2
	s_cbranch_execz .LBB171_13
; %bb.10:
	v_mad_u32 v12, v15, 10, 9
	v_mov_b32_e32 v11, 0
	s_mov_b32 s2, 0
	s_delay_alu instid0(VALU_DEP_1)
	v_dual_mov_b32 v8, v11 :: v_dual_mov_b32 v9, v11
	v_dual_mov_b32 v0, v11 :: v_dual_mov_b32 v1, v11
.LBB171_11:                             ; =>This Inner Loop Header: Depth=1
	global_load_b32 v13, v15, s[6:7] scale_offset
	v_dual_add_nc_u32 v10, -9, v12 :: v_dual_add_nc_u32 v26, -4, v12
	v_dual_add_nc_u32 v30, -3, v12 :: v_dual_add_nc_u32 v42, -1, v12
	s_wait_xcnt 0x0
	v_add_nc_u32_e32 v15, 64, v15
	s_delay_alu instid0(VALU_DEP_3) | instskip(NEXT) | instid1(VALU_DEP_2)
	v_lshl_add_u64 v[20:21], v[10:11], 3, s[8:9]
	v_cmp_ge_i32_e32 vcc_lo, v15, v14
	s_or_b32 s2, vcc_lo, s2
	s_wait_loadcnt 0x0
	v_subrev_nc_u32_e32 v13, s12, v13
	s_delay_alu instid0(VALU_DEP_1)
	v_lshl_add_u32 v10, v13, 2, v13
	s_clause 0x1
	global_load_b128 v[16:19], v[20:21], off
	global_load_b64 v[22:23], v26, s[8:9] scale_offset
	global_load_b64 v[24:25], v10, s[10:11] scale_offset
	v_dual_add_nc_u32 v13, -7, v12 :: v_dual_add_nc_u32 v31, 1, v10
	s_clause 0x1
	global_load_b64 v[20:21], v13, s[8:9] scale_offset
	global_load_b64 v[26:27], v30, s[8:9] scale_offset
	;; [unrolled: 1-line block ×3, first 2 shown]
	s_wait_xcnt 0x2
	v_dual_add_nc_u32 v13, -6, v12 :: v_dual_add_nc_u32 v36, -2, v12
	v_add_nc_u32_e32 v37, 2, v10
	s_clause 0x1
	global_load_b64 v[30:31], v13, s[8:9] scale_offset
	global_load_b64 v[32:33], v36, s[8:9] scale_offset
	;; [unrolled: 1-line block ×3, first 2 shown]
	s_wait_xcnt 0x2
	v_dual_add_nc_u32 v13, -5, v12 :: v_dual_add_nc_u32 v43, 3, v10
	v_add_nc_u32_e32 v10, 4, v10
	s_clause 0x1
	global_load_b64 v[36:37], v13, s[8:9] scale_offset
	global_load_b64 v[38:39], v42, s[8:9] scale_offset
	;; [unrolled: 1-line block ×5, first 2 shown]
	s_wait_xcnt 0x1
	v_add_nc_u32_e32 v12, 0x280, v12
	s_wait_loadcnt 0xb
	v_pk_fma_f32 v[0:1], v[16:17], v[24:25], v[0:1] op_sel_hi:[1,0,1]
	v_pk_fma_f32 v[8:9], v[22:23], v[24:25], v[8:9] op_sel_hi:[1,0,1]
	s_delay_alu instid0(VALU_DEP_2) | instskip(NEXT) | instid1(VALU_DEP_2)
	v_pk_fma_f32 v[0:1], v[16:17], v[24:25], v[0:1] op_sel:[1,1,0] op_sel_hi:[0,1,1] neg_lo:[1,0,0]
	v_pk_fma_f32 v[8:9], v[22:23], v[24:25], v[8:9] op_sel:[1,1,0] op_sel_hi:[0,1,1] neg_lo:[1,0,0]
	v_xor_b32_e32 v16, 0x80000000, v19
	v_mov_b32_e32 v17, v18
	s_wait_loadcnt 0x8
	v_pk_fma_f32 v[0:1], v[18:19], v[28:29], v[0:1] op_sel_hi:[1,0,1]
	v_pk_fma_f32 v[8:9], v[26:27], v[28:29], v[8:9] op_sel_hi:[1,0,1]
	s_delay_alu instid0(VALU_DEP_2) | instskip(NEXT) | instid1(VALU_DEP_2)
	v_pk_fma_f32 v[0:1], v[16:17], v[28:29], v[0:1] op_sel:[0,1,0]
	v_pk_fma_f32 v[8:9], v[26:27], v[28:29], v[8:9] op_sel:[1,1,0] op_sel_hi:[0,1,1] neg_lo:[1,0,0]
	s_wait_loadcnt 0x5
	s_delay_alu instid0(VALU_DEP_2) | instskip(NEXT) | instid1(VALU_DEP_2)
	v_pk_fma_f32 v[0:1], v[20:21], v[34:35], v[0:1] op_sel_hi:[1,0,1]
	v_pk_fma_f32 v[8:9], v[32:33], v[34:35], v[8:9] op_sel_hi:[1,0,1]
	s_delay_alu instid0(VALU_DEP_2) | instskip(NEXT) | instid1(VALU_DEP_2)
	v_pk_fma_f32 v[0:1], v[20:21], v[34:35], v[0:1] op_sel:[1,1,0] op_sel_hi:[0,1,1] neg_lo:[1,0,0]
	v_pk_fma_f32 v[8:9], v[32:33], v[34:35], v[8:9] op_sel:[1,1,0] op_sel_hi:[0,1,1] neg_lo:[1,0,0]
	s_wait_loadcnt 0x2
	s_delay_alu instid0(VALU_DEP_2) | instskip(NEXT) | instid1(VALU_DEP_2)
	v_pk_fma_f32 v[0:1], v[30:31], v[40:41], v[0:1] op_sel_hi:[1,0,1]
	v_pk_fma_f32 v[8:9], v[38:39], v[40:41], v[8:9] op_sel_hi:[1,0,1]
	s_delay_alu instid0(VALU_DEP_2) | instskip(NEXT) | instid1(VALU_DEP_2)
	v_pk_fma_f32 v[0:1], v[30:31], v[40:41], v[0:1] op_sel:[1,1,0] op_sel_hi:[0,1,1] neg_lo:[1,0,0]
	;; [unrolled: 7-line block ×3, first 2 shown]
	v_pk_fma_f32 v[8:9], v[42:43], v[44:45], v[8:9] op_sel:[1,1,0] op_sel_hi:[0,1,1] neg_lo:[1,0,0]
	s_and_not1_b32 exec_lo, exec_lo, s2
	s_cbranch_execnz .LBB171_11
; %bb.12:
	s_or_b32 exec_lo, exec_lo, s2
.LBB171_13:
	s_delay_alu instid0(SALU_CYCLE_1)
	s_or_b32 exec_lo, exec_lo, s3
.LBB171_14:
	v_mbcnt_lo_u32_b32 v10, -1, 0
	s_delay_alu instid0(VALU_DEP_1) | instskip(SKIP_1) | instid1(VALU_DEP_1)
	v_xor_b32_e32 v15, 16, v10
	v_or_b32_e32 v11, 32, v10
	v_cmp_gt_i32_e32 vcc_lo, 32, v11
	v_cndmask_b32_e32 v11, v10, v11, vcc_lo
	s_delay_alu instid0(VALU_DEP_1)
	v_lshlrev_b32_e32 v11, 2, v11
	ds_bpermute_b32 v13, v11, v1
	s_wait_dscnt 0x0
	v_add_f32_e32 v1, v1, v13
	ds_bpermute_b32 v12, v11, v0
	ds_bpermute_b32 v14, v11, v8
	;; [unrolled: 1-line block ×3, first 2 shown]
	s_wait_dscnt 0x2
	v_add_f32_e32 v0, v0, v12
	s_wait_dscnt 0x0
	v_dual_add_f32 v8, v8, v14 :: v_dual_add_f32 v9, v9, v11
	v_cmp_gt_i32_e32 vcc_lo, 32, v15
	v_cndmask_b32_e32 v15, v10, v15, vcc_lo
	s_delay_alu instid0(VALU_DEP_1)
	v_lshlrev_b32_e32 v15, 2, v15
	ds_bpermute_b32 v11, v15, v0
	ds_bpermute_b32 v12, v15, v1
	;; [unrolled: 1-line block ×4, first 2 shown]
	s_wait_dscnt 0x3
	v_dual_add_f32 v0, v0, v11 :: v_dual_bitop2_b32 v15, 8, v10 bitop3:0x14
	s_delay_alu instid0(VALU_DEP_1)
	v_cmp_gt_i32_e32 vcc_lo, 32, v15
	s_wait_dscnt 0x2
	v_add_f32_e32 v1, v1, v12
	s_wait_dscnt 0x0
	v_dual_add_f32 v9, v9, v14 :: v_dual_add_f32 v8, v8, v13
	v_cndmask_b32_e32 v15, v10, v15, vcc_lo
	s_delay_alu instid0(VALU_DEP_1)
	v_lshlrev_b32_e32 v15, 2, v15
	ds_bpermute_b32 v11, v15, v0
	ds_bpermute_b32 v12, v15, v1
	;; [unrolled: 1-line block ×4, first 2 shown]
	s_wait_dscnt 0x3
	v_dual_add_f32 v0, v0, v11 :: v_dual_bitop2_b32 v15, 4, v10 bitop3:0x14
	s_delay_alu instid0(VALU_DEP_1) | instskip(SKIP_4) | instid1(VALU_DEP_2)
	v_cmp_gt_i32_e32 vcc_lo, 32, v15
	s_wait_dscnt 0x2
	v_dual_add_f32 v1, v1, v12 :: v_dual_cndmask_b32 v15, v10, v15, vcc_lo
	s_wait_dscnt 0x0
	v_dual_add_f32 v8, v8, v13 :: v_dual_add_f32 v9, v9, v14
	v_lshlrev_b32_e32 v15, 2, v15
	ds_bpermute_b32 v11, v15, v0
	ds_bpermute_b32 v12, v15, v1
	;; [unrolled: 1-line block ×4, first 2 shown]
	s_wait_dscnt 0x3
	v_dual_add_f32 v0, v0, v11 :: v_dual_bitop2_b32 v15, 2, v10 bitop3:0x14
	s_delay_alu instid0(VALU_DEP_1) | instskip(SKIP_4) | instid1(VALU_DEP_1)
	v_cmp_gt_i32_e32 vcc_lo, 32, v15
	s_wait_dscnt 0x1
	v_dual_add_f32 v1, v1, v12 :: v_dual_add_f32 v11, v8, v13
	s_wait_dscnt 0x0
	v_dual_add_f32 v9, v9, v14 :: v_dual_cndmask_b32 v15, v10, v15, vcc_lo
	v_lshlrev_b32_e32 v15, 2, v15
	ds_bpermute_b32 v8, v15, v0
	ds_bpermute_b32 v12, v15, v1
	ds_bpermute_b32 v13, v15, v11
	ds_bpermute_b32 v14, v15, v9
	s_wait_dscnt 0x3
	v_dual_add_f32 v0, v0, v8 :: v_dual_bitop2_b32 v15, 1, v10 bitop3:0x14
	s_delay_alu instid0(VALU_DEP_1)
	v_cmp_gt_i32_e32 vcc_lo, 32, v15
	s_wait_dscnt 0x2
	v_dual_add_f32 v8, v1, v12 :: v_dual_cndmask_b32 v10, v10, v15, vcc_lo
	s_wait_dscnt 0x0
	v_dual_add_f32 v1, v11, v13 :: v_dual_add_f32 v9, v9, v14
	v_cmp_eq_u32_e32 vcc_lo, 63, v7
	s_delay_alu instid0(VALU_DEP_3)
	v_lshlrev_b32_e32 v15, 2, v10
	ds_bpermute_b32 v12, v15, v0
	ds_bpermute_b32 v13, v15, v8
	;; [unrolled: 1-line block ×4, first 2 shown]
	s_and_b32 exec_lo, exec_lo, vcc_lo
	s_cbranch_execz .LBB171_19
; %bb.15:
	s_load_b64 s[2:3], s[0:1], 0x38
	v_cmp_eq_f32_e32 vcc_lo, 0, v4
	s_wait_xcnt 0x0
	v_cmp_eq_f32_e64 s0, 0, v5
	s_wait_dscnt 0x3
	v_add_f32_e32 v0, v0, v12
	s_wait_dscnt 0x1
	v_dual_add_f32 v12, v8, v13 :: v_dual_add_f32 v8, v1, v10
	s_wait_dscnt 0x0
	v_add_f32_e32 v10, v9, v11
	s_and_b32 s0, vcc_lo, s0
	s_delay_alu instid0(SALU_CYCLE_1) | instskip(NEXT) | instid1(SALU_CYCLE_1)
	s_and_saveexec_b32 s1, s0
	s_xor_b32 s0, exec_lo, s1
	s_cbranch_execz .LBB171_17
; %bb.16:
	v_xor_b32_e32 v4, 0x80000000, v3
	v_dual_mov_b32 v5, v2 :: v_dual_lshlrev_b32 v6, 1, v6
	s_delay_alu instid0(VALU_DEP_1) | instskip(NEXT) | instid1(VALU_DEP_2)
	v_ashrrev_i32_e32 v7, 31, v6
	v_pk_mul_f32 v[12:13], v[12:13], v[4:5] op_sel_hi:[0,1]
	v_pk_mul_f32 v[4:5], v[10:11], v[4:5] op_sel_hi:[0,1]
                                        ; implicit-def: $vgpr10
	s_wait_kmcnt 0x0
	s_delay_alu instid0(VALU_DEP_3) | instskip(NEXT) | instid1(VALU_DEP_3)
	v_lshl_add_u64 v[6:7], v[6:7], 3, s[2:3]
	v_pk_fma_f32 v[0:1], v[2:3], v[0:1], v[12:13] op_sel_hi:[1,0,1]
	s_delay_alu instid0(VALU_DEP_3)
	v_pk_fma_f32 v[2:3], v[2:3], v[8:9], v[4:5] op_sel_hi:[1,0,1]
                                        ; implicit-def: $vgpr4_vgpr5
                                        ; implicit-def: $vgpr12
                                        ; implicit-def: $vgpr8
	global_store_b128 v[6:7], v[0:3], off
                                        ; implicit-def: $vgpr6
                                        ; implicit-def: $vgpr2_vgpr3
                                        ; implicit-def: $vgpr0
.LBB171_17:
	s_wait_xcnt 0x0
	s_and_not1_saveexec_b32 s0, s0
	s_cbranch_execz .LBB171_19
; %bb.18:
	v_dual_mov_b32 v19, v2 :: v_dual_lshlrev_b32 v6, 1, v6
	v_xor_b32_e32 v18, 0x80000000, v3
	s_delay_alu instid0(VALU_DEP_2) | instskip(NEXT) | instid1(VALU_DEP_2)
	v_ashrrev_i32_e32 v7, 31, v6
	v_pk_mul_f32 v[12:13], v[12:13], v[18:19] op_sel_hi:[0,1]
	v_pk_mul_f32 v[10:11], v[10:11], v[18:19] op_sel_hi:[0,1]
	s_delay_alu instid0(VALU_DEP_2) | instskip(NEXT) | instid1(VALU_DEP_2)
	v_pk_fma_f32 v[0:1], v[2:3], v[0:1], v[12:13] op_sel_hi:[1,0,1]
	v_pk_fma_f32 v[2:3], v[2:3], v[8:9], v[10:11] op_sel_hi:[1,0,1]
	v_mov_b32_e32 v9, v4
	s_wait_kmcnt 0x0
	v_lshl_add_u64 v[6:7], v[6:7], 3, s[2:3]
	v_xor_b32_e32 v8, 0x80000000, v5
	global_load_b128 v[14:17], v[6:7], off
	s_wait_loadcnt 0x0
	v_pk_fma_f32 v[0:1], v[4:5], v[14:15], v[0:1] op_sel_hi:[1,0,1]
	v_pk_fma_f32 v[2:3], v[4:5], v[16:17], v[2:3] op_sel_hi:[1,0,1]
	v_mov_b32_e32 v4, v17
	s_delay_alu instid0(VALU_DEP_3) | instskip(NEXT) | instid1(VALU_DEP_2)
	v_pk_fma_f32 v[0:1], v[8:9], v[14:15], v[0:1] op_sel:[0,1,0]
	v_pk_fma_f32 v[2:3], v[8:9], v[4:5], v[2:3] op_sel_hi:[1,0,1]
	global_store_b128 v[6:7], v[0:3], off
.LBB171_19:
	s_endpgm
	.section	.rodata,"a",@progbits
	.p2align	6, 0x0
	.amdhsa_kernel _ZN9rocsparseL19gebsrmvn_2xn_kernelILj128ELj5ELj64E21rocsparse_complex_numIfEEEvi20rocsparse_direction_NS_24const_host_device_scalarIT2_EEPKiS8_PKS5_SA_S6_PS5_21rocsparse_index_base_b
		.amdhsa_group_segment_fixed_size 0
		.amdhsa_private_segment_fixed_size 0
		.amdhsa_kernarg_size 72
		.amdhsa_user_sgpr_count 2
		.amdhsa_user_sgpr_dispatch_ptr 0
		.amdhsa_user_sgpr_queue_ptr 0
		.amdhsa_user_sgpr_kernarg_segment_ptr 1
		.amdhsa_user_sgpr_dispatch_id 0
		.amdhsa_user_sgpr_kernarg_preload_length 0
		.amdhsa_user_sgpr_kernarg_preload_offset 0
		.amdhsa_user_sgpr_private_segment_size 0
		.amdhsa_wavefront_size32 1
		.amdhsa_uses_dynamic_stack 0
		.amdhsa_enable_private_segment 0
		.amdhsa_system_sgpr_workgroup_id_x 1
		.amdhsa_system_sgpr_workgroup_id_y 0
		.amdhsa_system_sgpr_workgroup_id_z 0
		.amdhsa_system_sgpr_workgroup_info 0
		.amdhsa_system_vgpr_workitem_id 0
		.amdhsa_next_free_vgpr 50
		.amdhsa_next_free_sgpr 14
		.amdhsa_named_barrier_count 0
		.amdhsa_reserve_vcc 1
		.amdhsa_float_round_mode_32 0
		.amdhsa_float_round_mode_16_64 0
		.amdhsa_float_denorm_mode_32 3
		.amdhsa_float_denorm_mode_16_64 3
		.amdhsa_fp16_overflow 0
		.amdhsa_memory_ordered 1
		.amdhsa_forward_progress 1
		.amdhsa_inst_pref_size 20
		.amdhsa_round_robin_scheduling 0
		.amdhsa_exception_fp_ieee_invalid_op 0
		.amdhsa_exception_fp_denorm_src 0
		.amdhsa_exception_fp_ieee_div_zero 0
		.amdhsa_exception_fp_ieee_overflow 0
		.amdhsa_exception_fp_ieee_underflow 0
		.amdhsa_exception_fp_ieee_inexact 0
		.amdhsa_exception_int_div_zero 0
	.end_amdhsa_kernel
	.section	.text._ZN9rocsparseL19gebsrmvn_2xn_kernelILj128ELj5ELj64E21rocsparse_complex_numIfEEEvi20rocsparse_direction_NS_24const_host_device_scalarIT2_EEPKiS8_PKS5_SA_S6_PS5_21rocsparse_index_base_b,"axG",@progbits,_ZN9rocsparseL19gebsrmvn_2xn_kernelILj128ELj5ELj64E21rocsparse_complex_numIfEEEvi20rocsparse_direction_NS_24const_host_device_scalarIT2_EEPKiS8_PKS5_SA_S6_PS5_21rocsparse_index_base_b,comdat
.Lfunc_end171:
	.size	_ZN9rocsparseL19gebsrmvn_2xn_kernelILj128ELj5ELj64E21rocsparse_complex_numIfEEEvi20rocsparse_direction_NS_24const_host_device_scalarIT2_EEPKiS8_PKS5_SA_S6_PS5_21rocsparse_index_base_b, .Lfunc_end171-_ZN9rocsparseL19gebsrmvn_2xn_kernelILj128ELj5ELj64E21rocsparse_complex_numIfEEEvi20rocsparse_direction_NS_24const_host_device_scalarIT2_EEPKiS8_PKS5_SA_S6_PS5_21rocsparse_index_base_b
                                        ; -- End function
	.set _ZN9rocsparseL19gebsrmvn_2xn_kernelILj128ELj5ELj64E21rocsparse_complex_numIfEEEvi20rocsparse_direction_NS_24const_host_device_scalarIT2_EEPKiS8_PKS5_SA_S6_PS5_21rocsparse_index_base_b.num_vgpr, 50
	.set _ZN9rocsparseL19gebsrmvn_2xn_kernelILj128ELj5ELj64E21rocsparse_complex_numIfEEEvi20rocsparse_direction_NS_24const_host_device_scalarIT2_EEPKiS8_PKS5_SA_S6_PS5_21rocsparse_index_base_b.num_agpr, 0
	.set _ZN9rocsparseL19gebsrmvn_2xn_kernelILj128ELj5ELj64E21rocsparse_complex_numIfEEEvi20rocsparse_direction_NS_24const_host_device_scalarIT2_EEPKiS8_PKS5_SA_S6_PS5_21rocsparse_index_base_b.numbered_sgpr, 14
	.set _ZN9rocsparseL19gebsrmvn_2xn_kernelILj128ELj5ELj64E21rocsparse_complex_numIfEEEvi20rocsparse_direction_NS_24const_host_device_scalarIT2_EEPKiS8_PKS5_SA_S6_PS5_21rocsparse_index_base_b.num_named_barrier, 0
	.set _ZN9rocsparseL19gebsrmvn_2xn_kernelILj128ELj5ELj64E21rocsparse_complex_numIfEEEvi20rocsparse_direction_NS_24const_host_device_scalarIT2_EEPKiS8_PKS5_SA_S6_PS5_21rocsparse_index_base_b.private_seg_size, 0
	.set _ZN9rocsparseL19gebsrmvn_2xn_kernelILj128ELj5ELj64E21rocsparse_complex_numIfEEEvi20rocsparse_direction_NS_24const_host_device_scalarIT2_EEPKiS8_PKS5_SA_S6_PS5_21rocsparse_index_base_b.uses_vcc, 1
	.set _ZN9rocsparseL19gebsrmvn_2xn_kernelILj128ELj5ELj64E21rocsparse_complex_numIfEEEvi20rocsparse_direction_NS_24const_host_device_scalarIT2_EEPKiS8_PKS5_SA_S6_PS5_21rocsparse_index_base_b.uses_flat_scratch, 1
	.set _ZN9rocsparseL19gebsrmvn_2xn_kernelILj128ELj5ELj64E21rocsparse_complex_numIfEEEvi20rocsparse_direction_NS_24const_host_device_scalarIT2_EEPKiS8_PKS5_SA_S6_PS5_21rocsparse_index_base_b.has_dyn_sized_stack, 0
	.set _ZN9rocsparseL19gebsrmvn_2xn_kernelILj128ELj5ELj64E21rocsparse_complex_numIfEEEvi20rocsparse_direction_NS_24const_host_device_scalarIT2_EEPKiS8_PKS5_SA_S6_PS5_21rocsparse_index_base_b.has_recursion, 0
	.set _ZN9rocsparseL19gebsrmvn_2xn_kernelILj128ELj5ELj64E21rocsparse_complex_numIfEEEvi20rocsparse_direction_NS_24const_host_device_scalarIT2_EEPKiS8_PKS5_SA_S6_PS5_21rocsparse_index_base_b.has_indirect_call, 0
	.section	.AMDGPU.csdata,"",@progbits
; Kernel info:
; codeLenInByte = 2472
; TotalNumSgprs: 16
; NumVgprs: 50
; ScratchSize: 0
; MemoryBound: 0
; FloatMode: 240
; IeeeMode: 1
; LDSByteSize: 0 bytes/workgroup (compile time only)
; SGPRBlocks: 0
; VGPRBlocks: 3
; NumSGPRsForWavesPerEU: 16
; NumVGPRsForWavesPerEU: 50
; NamedBarCnt: 0
; Occupancy: 16
; WaveLimiterHint : 1
; COMPUTE_PGM_RSRC2:SCRATCH_EN: 0
; COMPUTE_PGM_RSRC2:USER_SGPR: 2
; COMPUTE_PGM_RSRC2:TRAP_HANDLER: 0
; COMPUTE_PGM_RSRC2:TGID_X_EN: 1
; COMPUTE_PGM_RSRC2:TGID_Y_EN: 0
; COMPUTE_PGM_RSRC2:TGID_Z_EN: 0
; COMPUTE_PGM_RSRC2:TIDIG_COMP_CNT: 0
	.section	.text._ZN9rocsparseL19gebsrmvn_2xn_kernelILj128ELj6ELj4E21rocsparse_complex_numIfEEEvi20rocsparse_direction_NS_24const_host_device_scalarIT2_EEPKiS8_PKS5_SA_S6_PS5_21rocsparse_index_base_b,"axG",@progbits,_ZN9rocsparseL19gebsrmvn_2xn_kernelILj128ELj6ELj4E21rocsparse_complex_numIfEEEvi20rocsparse_direction_NS_24const_host_device_scalarIT2_EEPKiS8_PKS5_SA_S6_PS5_21rocsparse_index_base_b,comdat
	.globl	_ZN9rocsparseL19gebsrmvn_2xn_kernelILj128ELj6ELj4E21rocsparse_complex_numIfEEEvi20rocsparse_direction_NS_24const_host_device_scalarIT2_EEPKiS8_PKS5_SA_S6_PS5_21rocsparse_index_base_b ; -- Begin function _ZN9rocsparseL19gebsrmvn_2xn_kernelILj128ELj6ELj4E21rocsparse_complex_numIfEEEvi20rocsparse_direction_NS_24const_host_device_scalarIT2_EEPKiS8_PKS5_SA_S6_PS5_21rocsparse_index_base_b
	.p2align	8
	.type	_ZN9rocsparseL19gebsrmvn_2xn_kernelILj128ELj6ELj4E21rocsparse_complex_numIfEEEvi20rocsparse_direction_NS_24const_host_device_scalarIT2_EEPKiS8_PKS5_SA_S6_PS5_21rocsparse_index_base_b,@function
_ZN9rocsparseL19gebsrmvn_2xn_kernelILj128ELj6ELj4E21rocsparse_complex_numIfEEEvi20rocsparse_direction_NS_24const_host_device_scalarIT2_EEPKiS8_PKS5_SA_S6_PS5_21rocsparse_index_base_b: ; @_ZN9rocsparseL19gebsrmvn_2xn_kernelILj128ELj6ELj4E21rocsparse_complex_numIfEEEvi20rocsparse_direction_NS_24const_host_device_scalarIT2_EEPKiS8_PKS5_SA_S6_PS5_21rocsparse_index_base_b
; %bb.0:
	s_clause 0x2
	s_load_b64 s[12:13], s[0:1], 0x40
	s_load_b64 s[2:3], s[0:1], 0x8
	;; [unrolled: 1-line block ×3, first 2 shown]
	v_mov_b32_e32 v1, 0
	s_add_nc_u64 s[6:7], s[0:1], 8
	s_add_nc_u64 s[8:9], s[0:1], 48
	s_wait_kmcnt 0x0
	s_bitcmp1_b32 s13, 0
	s_cselect_b32 s3, s7, s3
	s_cselect_b32 s2, s6, s2
	;; [unrolled: 1-line block ×4, first 2 shown]
	s_clause 0x1
	flat_load_b64 v[2:3], v1, s[2:3]
	flat_load_b64 v[4:5], v1, s[4:5]
	s_wait_loadcnt_dscnt 0x101
	v_cmp_eq_f32_e32 vcc_lo, 0, v2
	v_cmp_eq_f32_e64 s2, 0, v3
	s_wait_loadcnt_dscnt 0x0
	v_cmp_eq_f32_e64 s3, 1.0, v4
	v_cmp_eq_f32_e64 s4, 0, v5
	s_and_b32 s2, vcc_lo, s2
	s_and_b32 s3, s3, s4
	s_delay_alu instid0(SALU_CYCLE_1) | instskip(NEXT) | instid1(SALU_CYCLE_1)
	s_and_b32 s2, s2, s3
	s_xor_b32 s2, s2, -1
	s_delay_alu instid0(SALU_CYCLE_1)
	s_and_saveexec_b32 s3, s2
	s_cbranch_execz .LBB172_19
; %bb.1:
	s_load_b64 s[2:3], s[0:1], 0x0
	s_bfe_u32 s4, ttmp6, 0x4000c
	s_and_b32 s5, ttmp6, 15
	s_add_co_i32 s4, s4, 1
	s_getreg_b32 s6, hwreg(HW_REG_IB_STS2, 6, 4)
	s_mul_i32 s4, ttmp9, s4
	v_lshrrev_b32_e32 v1, 2, v0
	s_add_co_i32 s5, s5, s4
	s_cmp_eq_u32 s6, 0
	s_cselect_b32 s4, ttmp9, s5
	s_delay_alu instid0(VALU_DEP_1) | instid1(SALU_CYCLE_1)
	v_lshl_or_b32 v6, s4, 5, v1
	s_wait_kmcnt 0x0
	s_delay_alu instid0(VALU_DEP_1)
	v_cmp_gt_i32_e32 vcc_lo, s2, v6
	s_and_b32 exec_lo, exec_lo, vcc_lo
	s_cbranch_execz .LBB172_19
; %bb.2:
	s_load_b256 s[4:11], s[0:1], 0x10
	v_ashrrev_i32_e32 v7, 31, v6
	s_cmp_lg_u32 s3, 0
	s_wait_kmcnt 0x0
	s_delay_alu instid0(VALU_DEP_1)
	v_lshl_add_u64 v[8:9], v[6:7], 2, s[4:5]
	v_and_b32_e32 v7, 3, v0
	global_load_b64 v[8:9], v[8:9], off
	s_wait_loadcnt 0x0
	v_subrev_nc_u32_e32 v0, s12, v8
	v_subrev_nc_u32_e32 v14, s12, v9
	s_delay_alu instid0(VALU_DEP_2) | instskip(NEXT) | instid1(VALU_DEP_1)
	v_add_nc_u32_e32 v15, v0, v7
	v_cmp_lt_i32_e64 s2, v15, v14
	s_cbranch_scc0 .LBB172_8
; %bb.3:
	v_mov_b32_e32 v1, 0
	s_delay_alu instid0(VALU_DEP_1)
	v_dual_mov_b32 v0, v1 :: v_dual_mov_b32 v9, v1
	v_mov_b32_e32 v8, v1
	s_and_saveexec_b32 s3, s2
	s_cbranch_execz .LBB172_7
; %bb.4:
	v_mad_u32 v12, v15, 12, 10
	v_dual_mov_b32 v11, 0 :: v_dual_mov_b32 v16, v15
	s_mov_b32 s4, 0
	s_delay_alu instid0(VALU_DEP_1)
	v_dual_mov_b32 v8, v11 :: v_dual_mov_b32 v9, v11
	v_dual_mov_b32 v0, v11 :: v_dual_mov_b32 v1, v11
.LBB172_5:                              ; =>This Inner Loop Header: Depth=1
	global_load_b32 v10, v16, s[6:7] scale_offset
	v_dual_mov_b32 v43, v11 :: v_dual_mov_b32 v13, v11
	s_wait_xcnt 0x0
	v_add_nc_u32_e32 v16, 4, v16
	s_delay_alu instid0(VALU_DEP_1) | instskip(SKIP_3) | instid1(VALU_DEP_1)
	v_cmp_ge_i32_e32 vcc_lo, v16, v14
	s_or_b32 s4, vcc_lo, s4
	s_wait_loadcnt 0x0
	v_subrev_nc_u32_e32 v10, s12, v10
	v_mul_lo_u32 v42, v10, 6
	v_add_nc_u32_e32 v10, -10, v12
	s_delay_alu instid0(VALU_DEP_1) | instskip(SKIP_1) | instid1(VALU_DEP_4)
	v_lshl_add_u64 v[30:31], v[10:11], 3, s[8:9]
	v_add_nc_u32_e32 v10, -6, v12
	v_lshl_add_u64 v[32:33], v[42:43], 3, s[10:11]
	s_clause 0x1
	global_load_b128 v[18:21], v[30:31], off
	global_load_b128 v[22:25], v[30:31], off offset:16
	global_load_b128 v[26:29], v[32:33], off
	s_wait_xcnt 0x1
	v_lshl_add_u64 v[30:31], v[10:11], 3, s[8:9]
	v_add_nc_u32_e32 v10, 2, v42
	global_load_b128 v[30:33], v[30:31], off
	s_wait_loadcnt 0x3
	v_mov_b32_e32 v55, v20
	v_lshl_add_u64 v[34:35], v[10:11], 3, s[10:11]
	v_add_nc_u32_e32 v10, -4, v12
	s_wait_loadcnt 0x1
	v_pk_fma_f32 v[0:1], v[18:19], v[26:27], v[0:1] op_sel_hi:[1,0,1]
	v_xor_b32_e32 v54, 0x80000000, v21
	v_pk_fma_f32 v[8:9], v[20:21], v[26:27], v[8:9] op_sel_hi:[1,0,1]
	global_load_b128 v[34:37], v[34:35], off
	v_pk_fma_f32 v[0:1], v[18:19], v[26:27], v[0:1] op_sel:[1,1,0] op_sel_hi:[0,1,1] neg_lo:[1,0,0]
	v_mov_b32_e32 v19, v24
	v_lshl_add_u64 v[38:39], v[10:11], 3, s[8:9]
	v_add_nc_u32_e32 v10, -2, v12
	v_pk_fma_f32 v[8:9], v[54:55], v[26:27], v[8:9] op_sel:[0,1,0]
	v_xor_b32_e32 v18, 0x80000000, v25
	v_pk_fma_f32 v[0:1], v[22:23], v[28:29], v[0:1] op_sel_hi:[1,0,1]
	global_load_b128 v[38:41], v[38:39], off
	v_lshl_add_u64 v[50:51], v[10:11], 3, s[8:9]
	v_add_nc_u32_e32 v10, 4, v42
	v_pk_fma_f32 v[8:9], v[24:25], v[28:29], v[8:9] op_sel_hi:[1,0,1]
	s_delay_alu instid0(VALU_DEP_2)
	v_lshl_add_u64 v[52:53], v[10:11], 3, s[10:11]
	global_load_b128 v[42:45], v[50:51], off
	global_load_b128 v[46:49], v[52:53], off
	s_wait_xcnt 0x1
	v_lshl_add_u64 v[50:51], v[12:13], 3, s[8:9]
	v_dual_mov_b32 v10, v29 :: v_dual_add_nc_u32 v12, 48, v12
	global_load_b128 v[50:53], v[50:51], off
	v_pk_fma_f32 v[0:1], v[22:23], v[10:11], v[0:1] op_sel:[1,0,0] op_sel_hi:[0,0,1] neg_lo:[1,0,0]
	v_pk_fma_f32 v[8:9], v[18:19], v[10:11], v[8:9] op_sel_hi:[1,0,1]
	s_wait_loadcnt 0x5
	v_xor_b32_e32 v18, 0x80000000, v33
	v_mov_b32_e32 v19, v32
	s_wait_loadcnt 0x4
	v_pk_fma_f32 v[0:1], v[30:31], v[34:35], v[0:1] op_sel_hi:[1,0,1]
	v_pk_fma_f32 v[8:9], v[32:33], v[34:35], v[8:9] op_sel_hi:[1,0,1]
	v_mov_b32_e32 v10, v37
	s_delay_alu instid0(VALU_DEP_3) | instskip(NEXT) | instid1(VALU_DEP_3)
	v_pk_fma_f32 v[0:1], v[30:31], v[34:35], v[0:1] op_sel:[1,1,0] op_sel_hi:[0,1,1] neg_lo:[1,0,0]
	v_pk_fma_f32 v[8:9], v[18:19], v[34:35], v[8:9] op_sel:[0,1,0]
	s_wait_loadcnt 0x3
	v_xor_b32_e32 v18, 0x80000000, v41
	v_mov_b32_e32 v19, v40
	v_pk_fma_f32 v[0:1], v[38:39], v[36:37], v[0:1] op_sel_hi:[1,0,1]
	v_pk_fma_f32 v[8:9], v[40:41], v[36:37], v[8:9] op_sel_hi:[1,0,1]
	s_delay_alu instid0(VALU_DEP_2) | instskip(NEXT) | instid1(VALU_DEP_2)
	v_pk_fma_f32 v[0:1], v[38:39], v[10:11], v[0:1] op_sel:[1,0,0] op_sel_hi:[0,0,1] neg_lo:[1,0,0]
	v_pk_fma_f32 v[8:9], v[18:19], v[10:11], v[8:9] op_sel_hi:[1,0,1]
	s_wait_loadcnt 0x2
	v_xor_b32_e32 v18, 0x80000000, v45
	v_mov_b32_e32 v19, v44
	s_wait_loadcnt 0x1
	v_pk_fma_f32 v[0:1], v[42:43], v[46:47], v[0:1] op_sel_hi:[1,0,1]
	v_pk_fma_f32 v[8:9], v[44:45], v[46:47], v[8:9] op_sel_hi:[1,0,1]
	v_mov_b32_e32 v10, v49
	s_delay_alu instid0(VALU_DEP_3) | instskip(NEXT) | instid1(VALU_DEP_3)
	v_pk_fma_f32 v[0:1], v[42:43], v[46:47], v[0:1] op_sel:[1,1,0] op_sel_hi:[0,1,1] neg_lo:[1,0,0]
	v_pk_fma_f32 v[8:9], v[18:19], v[46:47], v[8:9] op_sel:[0,1,0]
	s_wait_loadcnt 0x0
	v_xor_b32_e32 v18, 0x80000000, v53
	v_mov_b32_e32 v19, v52
	v_pk_fma_f32 v[0:1], v[50:51], v[48:49], v[0:1] op_sel_hi:[1,0,1]
	v_pk_fma_f32 v[8:9], v[52:53], v[48:49], v[8:9] op_sel_hi:[1,0,1]
	s_delay_alu instid0(VALU_DEP_2) | instskip(NEXT) | instid1(VALU_DEP_2)
	v_pk_fma_f32 v[0:1], v[50:51], v[10:11], v[0:1] op_sel:[1,0,0] op_sel_hi:[0,0,1] neg_lo:[1,0,0]
	v_pk_fma_f32 v[8:9], v[18:19], v[10:11], v[8:9] op_sel_hi:[1,0,1]
	s_and_not1_b32 exec_lo, exec_lo, s4
	s_cbranch_execnz .LBB172_5
; %bb.6:
	s_or_b32 exec_lo, exec_lo, s4
.LBB172_7:
	s_delay_alu instid0(SALU_CYCLE_1)
	s_or_b32 exec_lo, exec_lo, s3
	s_cbranch_execz .LBB172_9
	s_branch .LBB172_14
.LBB172_8:
                                        ; implicit-def: $vgpr1
                                        ; implicit-def: $vgpr9
.LBB172_9:
	v_mov_b32_e32 v1, 0
	s_delay_alu instid0(VALU_DEP_1)
	v_dual_mov_b32 v0, v1 :: v_dual_mov_b32 v9, v1
	v_mov_b32_e32 v8, v1
	s_and_saveexec_b32 s3, s2
	s_cbranch_execz .LBB172_13
; %bb.10:
	v_mad_u32 v12, v15, 12, 11
	v_mov_b32_e32 v11, 0
	s_mov_b32 s2, 0
	s_delay_alu instid0(VALU_DEP_1)
	v_dual_mov_b32 v8, v11 :: v_dual_mov_b32 v9, v11
	v_dual_mov_b32 v0, v11 :: v_dual_mov_b32 v1, v11
.LBB172_11:                             ; =>This Inner Loop Header: Depth=1
	global_load_b32 v10, v15, s[6:7] scale_offset
	v_dual_add_nc_u32 v13, -5, v12 :: v_dual_mov_b32 v33, v11
	s_wait_xcnt 0x0
	v_dual_add_nc_u32 v54, -1, v12 :: v_dual_add_nc_u32 v15, 4, v15
	s_delay_alu instid0(VALU_DEP_1) | instskip(SKIP_3) | instid1(VALU_DEP_1)
	v_cmp_ge_i32_e32 vcc_lo, v15, v14
	s_or_b32 s2, vcc_lo, s2
	s_wait_loadcnt 0x0
	v_subrev_nc_u32_e32 v10, s12, v10
	v_mul_lo_u32 v32, v10, 6
	v_add_nc_u32_e32 v10, -11, v12
	s_delay_alu instid0(VALU_DEP_1) | instskip(SKIP_1) | instid1(VALU_DEP_4)
	v_lshl_add_u64 v[34:35], v[10:11], 3, s[8:9]
	v_add_nc_u32_e32 v10, -4, v12
	v_lshl_add_u64 v[24:25], v[32:33], 3, s[10:11]
	s_clause 0x1
	global_load_b128 v[16:19], v[34:35], off
	global_load_b64 v[36:37], v13, s[8:9] scale_offset
	global_load_b128 v[20:23], v[24:25], off
	global_load_b64 v[38:39], v10, s[8:9] scale_offset
	s_wait_xcnt 0x0
	v_add_nc_u32_e32 v10, 2, v32
	v_add_nc_u32_e32 v13, -3, v12
	s_wait_loadcnt 0x1
	v_pk_fma_f32 v[0:1], v[16:17], v[20:21], v[0:1] op_sel_hi:[1,0,1]
	v_pk_fma_f32 v[8:9], v[36:37], v[20:21], v[8:9] op_sel_hi:[1,0,1]
	s_delay_alu instid0(VALU_DEP_2)
	v_pk_fma_f32 v[0:1], v[16:17], v[20:21], v[0:1] op_sel:[1,1,0] op_sel_hi:[0,1,1] neg_lo:[1,0,0]
	v_mov_b32_e32 v17, v18
	v_lshl_add_u64 v[40:41], v[10:11], 3, s[10:11]
	v_add_nc_u32_e32 v10, -7, v12
	s_clause 0x1
	global_load_b64 v[42:43], v13, s[8:9] scale_offset
	global_load_b128 v[24:27], v[34:35], off offset:16
	global_load_b128 v[28:31], v[40:41], off
	s_wait_xcnt 0x2
	v_add_nc_u32_e32 v13, -2, v12
	s_clause 0x1
	global_load_b64 v[40:41], v10, s[8:9] scale_offset
	global_load_b64 v[44:45], v13, s[8:9] scale_offset
	s_wait_xcnt 0x1
	v_add_nc_u32_e32 v10, 4, v32
	s_wait_xcnt 0x0
	v_add_nc_u32_e32 v13, -6, v12
	v_pk_fma_f32 v[8:9], v[36:37], v[20:21], v[8:9] op_sel:[1,1,0] op_sel_hi:[0,1,1] neg_lo:[1,0,0]
	v_xor_b32_e32 v16, 0x80000000, v19
	v_pk_fma_f32 v[0:1], v[18:19], v[22:23], v[0:1] op_sel_hi:[1,0,1]
	v_lshl_add_u64 v[46:47], v[10:11], 3, s[10:11]
	v_mov_b32_e32 v10, v23
	s_clause 0x2
	global_load_b64 v[48:49], v13, s[8:9] scale_offset
	global_load_b64 v[50:51], v12, s[8:9] scale_offset
	;; [unrolled: 1-line block ×3, first 2 shown]
	global_load_b128 v[32:35], v[46:47], off
	s_wait_loadcnt 0x9
	v_pk_fma_f32 v[8:9], v[38:39], v[22:23], v[8:9] op_sel_hi:[1,0,1]
	s_wait_xcnt 0x2
	v_add_nc_u32_e32 v12, 48, v12
	v_pk_fma_f32 v[0:1], v[16:17], v[10:11], v[0:1] op_sel_hi:[1,0,1]
	s_delay_alu instid0(VALU_DEP_3)
	v_pk_fma_f32 v[8:9], v[38:39], v[10:11], v[8:9] op_sel:[1,0,0] op_sel_hi:[0,0,1] neg_lo:[1,0,0]
	s_wait_loadcnt 0x7
	v_xor_b32_e32 v16, 0x80000000, v27
	s_wait_loadcnt 0x6
	v_pk_fma_f32 v[0:1], v[24:25], v[28:29], v[0:1] op_sel_hi:[1,0,1]
	v_pk_fma_f32 v[8:9], v[42:43], v[28:29], v[8:9] op_sel_hi:[1,0,1]
	v_dual_mov_b32 v17, v26 :: v_dual_mov_b32 v10, v31
	s_delay_alu instid0(VALU_DEP_3) | instskip(NEXT) | instid1(VALU_DEP_3)
	v_pk_fma_f32 v[0:1], v[24:25], v[28:29], v[0:1] op_sel:[1,1,0] op_sel_hi:[0,1,1] neg_lo:[1,0,0]
	v_pk_fma_f32 v[8:9], v[42:43], v[28:29], v[8:9] op_sel:[1,1,0] op_sel_hi:[0,1,1] neg_lo:[1,0,0]
	s_delay_alu instid0(VALU_DEP_2) | instskip(SKIP_1) | instid1(VALU_DEP_2)
	v_pk_fma_f32 v[0:1], v[26:27], v[30:31], v[0:1] op_sel_hi:[1,0,1]
	s_wait_loadcnt 0x4
	v_pk_fma_f32 v[8:9], v[44:45], v[30:31], v[8:9] op_sel_hi:[1,0,1]
	s_delay_alu instid0(VALU_DEP_2) | instskip(NEXT) | instid1(VALU_DEP_2)
	v_pk_fma_f32 v[0:1], v[16:17], v[10:11], v[0:1] op_sel_hi:[1,0,1]
	v_pk_fma_f32 v[8:9], v[44:45], v[10:11], v[8:9] op_sel:[1,0,0] op_sel_hi:[0,0,1] neg_lo:[1,0,0]
	s_wait_loadcnt 0x0
	v_mov_b32_e32 v10, v35
	s_delay_alu instid0(VALU_DEP_3) | instskip(NEXT) | instid1(VALU_DEP_3)
	v_pk_fma_f32 v[0:1], v[40:41], v[32:33], v[0:1] op_sel_hi:[1,0,1]
	v_pk_fma_f32 v[8:9], v[52:53], v[32:33], v[8:9] op_sel_hi:[1,0,1]
	s_delay_alu instid0(VALU_DEP_2) | instskip(NEXT) | instid1(VALU_DEP_2)
	v_pk_fma_f32 v[0:1], v[40:41], v[32:33], v[0:1] op_sel:[1,1,0] op_sel_hi:[0,1,1] neg_lo:[1,0,0]
	v_pk_fma_f32 v[8:9], v[52:53], v[32:33], v[8:9] op_sel:[1,1,0] op_sel_hi:[0,1,1] neg_lo:[1,0,0]
	s_delay_alu instid0(VALU_DEP_2) | instskip(NEXT) | instid1(VALU_DEP_2)
	v_pk_fma_f32 v[0:1], v[48:49], v[34:35], v[0:1] op_sel_hi:[1,0,1]
	v_pk_fma_f32 v[8:9], v[50:51], v[34:35], v[8:9] op_sel_hi:[1,0,1]
	s_delay_alu instid0(VALU_DEP_2) | instskip(NEXT) | instid1(VALU_DEP_2)
	v_pk_fma_f32 v[0:1], v[48:49], v[10:11], v[0:1] op_sel:[1,0,0] op_sel_hi:[0,0,1] neg_lo:[1,0,0]
	v_pk_fma_f32 v[8:9], v[50:51], v[10:11], v[8:9] op_sel:[1,0,0] op_sel_hi:[0,0,1] neg_lo:[1,0,0]
	s_and_not1_b32 exec_lo, exec_lo, s2
	s_cbranch_execnz .LBB172_11
; %bb.12:
	s_or_b32 exec_lo, exec_lo, s2
.LBB172_13:
	s_delay_alu instid0(SALU_CYCLE_1)
	s_or_b32 exec_lo, exec_lo, s3
.LBB172_14:
	v_mbcnt_lo_u32_b32 v10, -1, 0
	s_delay_alu instid0(VALU_DEP_1) | instskip(SKIP_1) | instid1(VALU_DEP_1)
	v_xor_b32_e32 v15, 1, v10
	v_xor_b32_e32 v11, 2, v10
	v_cmp_gt_i32_e32 vcc_lo, 32, v11
	v_cndmask_b32_e32 v11, v10, v11, vcc_lo
	s_delay_alu instid0(VALU_DEP_4) | instskip(SKIP_2) | instid1(VALU_DEP_2)
	v_cmp_gt_i32_e32 vcc_lo, 32, v15
	v_cndmask_b32_e32 v10, v10, v15, vcc_lo
	v_cmp_eq_u32_e32 vcc_lo, 3, v7
	v_dual_lshlrev_b32 v15, 2, v10 :: v_dual_lshlrev_b32 v11, 2, v11
	ds_bpermute_b32 v12, v11, v0
	s_wait_dscnt 0x0
	v_add_f32_e32 v0, v0, v12
	ds_bpermute_b32 v13, v11, v1
	ds_bpermute_b32 v14, v11, v8
	;; [unrolled: 1-line block ×4, first 2 shown]
	s_wait_dscnt 0x2
	v_dual_add_f32 v10, v1, v13 :: v_dual_add_f32 v1, v8, v14
	s_wait_dscnt 0x1
	v_add_f32_e32 v9, v9, v11
	ds_bpermute_b32 v13, v15, v10
	ds_bpermute_b32 v8, v15, v1
	;; [unrolled: 1-line block ×3, first 2 shown]
	s_and_b32 exec_lo, exec_lo, vcc_lo
	s_cbranch_execz .LBB172_19
; %bb.15:
	s_load_b64 s[2:3], s[0:1], 0x38
	v_cmp_eq_f32_e32 vcc_lo, 0, v4
	s_wait_xcnt 0x0
	v_cmp_eq_f32_e64 s0, 0, v5
	s_wait_dscnt 0x2
	v_dual_add_f32 v0, v0, v12 :: v_dual_add_f32 v12, v10, v13
	s_wait_dscnt 0x1
	v_add_f32_e32 v8, v1, v8
	s_wait_dscnt 0x0
	v_add_f32_e32 v10, v9, v11
	s_and_b32 s0, vcc_lo, s0
	s_delay_alu instid0(SALU_CYCLE_1) | instskip(NEXT) | instid1(SALU_CYCLE_1)
	s_and_saveexec_b32 s1, s0
	s_xor_b32 s0, exec_lo, s1
	s_cbranch_execz .LBB172_17
; %bb.16:
	v_xor_b32_e32 v4, 0x80000000, v3
	v_dual_mov_b32 v5, v2 :: v_dual_lshlrev_b32 v6, 1, v6
	s_delay_alu instid0(VALU_DEP_1) | instskip(NEXT) | instid1(VALU_DEP_2)
	v_ashrrev_i32_e32 v7, 31, v6
	v_pk_mul_f32 v[12:13], v[12:13], v[4:5] op_sel_hi:[0,1]
	v_pk_mul_f32 v[4:5], v[10:11], v[4:5] op_sel_hi:[0,1]
                                        ; implicit-def: $vgpr10
	s_wait_kmcnt 0x0
	s_delay_alu instid0(VALU_DEP_3) | instskip(NEXT) | instid1(VALU_DEP_3)
	v_lshl_add_u64 v[6:7], v[6:7], 3, s[2:3]
	v_pk_fma_f32 v[0:1], v[2:3], v[0:1], v[12:13] op_sel_hi:[1,0,1]
	s_delay_alu instid0(VALU_DEP_3)
	v_pk_fma_f32 v[2:3], v[2:3], v[8:9], v[4:5] op_sel_hi:[1,0,1]
                                        ; implicit-def: $vgpr4_vgpr5
                                        ; implicit-def: $vgpr12
                                        ; implicit-def: $vgpr8
	global_store_b128 v[6:7], v[0:3], off
                                        ; implicit-def: $vgpr6
                                        ; implicit-def: $vgpr2_vgpr3
                                        ; implicit-def: $vgpr0
.LBB172_17:
	s_wait_xcnt 0x0
	s_and_not1_saveexec_b32 s0, s0
	s_cbranch_execz .LBB172_19
; %bb.18:
	v_dual_mov_b32 v19, v2 :: v_dual_lshlrev_b32 v6, 1, v6
	v_xor_b32_e32 v18, 0x80000000, v3
	s_delay_alu instid0(VALU_DEP_2) | instskip(NEXT) | instid1(VALU_DEP_2)
	v_ashrrev_i32_e32 v7, 31, v6
	v_pk_mul_f32 v[12:13], v[12:13], v[18:19] op_sel_hi:[0,1]
	v_pk_mul_f32 v[10:11], v[10:11], v[18:19] op_sel_hi:[0,1]
	s_delay_alu instid0(VALU_DEP_2) | instskip(NEXT) | instid1(VALU_DEP_2)
	v_pk_fma_f32 v[0:1], v[2:3], v[0:1], v[12:13] op_sel_hi:[1,0,1]
	v_pk_fma_f32 v[2:3], v[2:3], v[8:9], v[10:11] op_sel_hi:[1,0,1]
	v_mov_b32_e32 v9, v4
	s_wait_kmcnt 0x0
	v_lshl_add_u64 v[6:7], v[6:7], 3, s[2:3]
	v_xor_b32_e32 v8, 0x80000000, v5
	global_load_b128 v[14:17], v[6:7], off
	s_wait_loadcnt 0x0
	v_pk_fma_f32 v[0:1], v[4:5], v[14:15], v[0:1] op_sel_hi:[1,0,1]
	v_pk_fma_f32 v[2:3], v[4:5], v[16:17], v[2:3] op_sel_hi:[1,0,1]
	v_mov_b32_e32 v4, v17
	s_delay_alu instid0(VALU_DEP_3) | instskip(NEXT) | instid1(VALU_DEP_2)
	v_pk_fma_f32 v[0:1], v[8:9], v[14:15], v[0:1] op_sel:[0,1,0]
	v_pk_fma_f32 v[2:3], v[8:9], v[4:5], v[2:3] op_sel_hi:[1,0,1]
	global_store_b128 v[6:7], v[0:3], off
.LBB172_19:
	s_endpgm
	.section	.rodata,"a",@progbits
	.p2align	6, 0x0
	.amdhsa_kernel _ZN9rocsparseL19gebsrmvn_2xn_kernelILj128ELj6ELj4E21rocsparse_complex_numIfEEEvi20rocsparse_direction_NS_24const_host_device_scalarIT2_EEPKiS8_PKS5_SA_S6_PS5_21rocsparse_index_base_b
		.amdhsa_group_segment_fixed_size 0
		.amdhsa_private_segment_fixed_size 0
		.amdhsa_kernarg_size 72
		.amdhsa_user_sgpr_count 2
		.amdhsa_user_sgpr_dispatch_ptr 0
		.amdhsa_user_sgpr_queue_ptr 0
		.amdhsa_user_sgpr_kernarg_segment_ptr 1
		.amdhsa_user_sgpr_dispatch_id 0
		.amdhsa_user_sgpr_kernarg_preload_length 0
		.amdhsa_user_sgpr_kernarg_preload_offset 0
		.amdhsa_user_sgpr_private_segment_size 0
		.amdhsa_wavefront_size32 1
		.amdhsa_uses_dynamic_stack 0
		.amdhsa_enable_private_segment 0
		.amdhsa_system_sgpr_workgroup_id_x 1
		.amdhsa_system_sgpr_workgroup_id_y 0
		.amdhsa_system_sgpr_workgroup_id_z 0
		.amdhsa_system_sgpr_workgroup_info 0
		.amdhsa_system_vgpr_workitem_id 0
		.amdhsa_next_free_vgpr 56
		.amdhsa_next_free_sgpr 14
		.amdhsa_named_barrier_count 0
		.amdhsa_reserve_vcc 1
		.amdhsa_float_round_mode_32 0
		.amdhsa_float_round_mode_16_64 0
		.amdhsa_float_denorm_mode_32 3
		.amdhsa_float_denorm_mode_16_64 3
		.amdhsa_fp16_overflow 0
		.amdhsa_memory_ordered 1
		.amdhsa_forward_progress 1
		.amdhsa_inst_pref_size 18
		.amdhsa_round_robin_scheduling 0
		.amdhsa_exception_fp_ieee_invalid_op 0
		.amdhsa_exception_fp_denorm_src 0
		.amdhsa_exception_fp_ieee_div_zero 0
		.amdhsa_exception_fp_ieee_overflow 0
		.amdhsa_exception_fp_ieee_underflow 0
		.amdhsa_exception_fp_ieee_inexact 0
		.amdhsa_exception_int_div_zero 0
	.end_amdhsa_kernel
	.section	.text._ZN9rocsparseL19gebsrmvn_2xn_kernelILj128ELj6ELj4E21rocsparse_complex_numIfEEEvi20rocsparse_direction_NS_24const_host_device_scalarIT2_EEPKiS8_PKS5_SA_S6_PS5_21rocsparse_index_base_b,"axG",@progbits,_ZN9rocsparseL19gebsrmvn_2xn_kernelILj128ELj6ELj4E21rocsparse_complex_numIfEEEvi20rocsparse_direction_NS_24const_host_device_scalarIT2_EEPKiS8_PKS5_SA_S6_PS5_21rocsparse_index_base_b,comdat
.Lfunc_end172:
	.size	_ZN9rocsparseL19gebsrmvn_2xn_kernelILj128ELj6ELj4E21rocsparse_complex_numIfEEEvi20rocsparse_direction_NS_24const_host_device_scalarIT2_EEPKiS8_PKS5_SA_S6_PS5_21rocsparse_index_base_b, .Lfunc_end172-_ZN9rocsparseL19gebsrmvn_2xn_kernelILj128ELj6ELj4E21rocsparse_complex_numIfEEEvi20rocsparse_direction_NS_24const_host_device_scalarIT2_EEPKiS8_PKS5_SA_S6_PS5_21rocsparse_index_base_b
                                        ; -- End function
	.set _ZN9rocsparseL19gebsrmvn_2xn_kernelILj128ELj6ELj4E21rocsparse_complex_numIfEEEvi20rocsparse_direction_NS_24const_host_device_scalarIT2_EEPKiS8_PKS5_SA_S6_PS5_21rocsparse_index_base_b.num_vgpr, 56
	.set _ZN9rocsparseL19gebsrmvn_2xn_kernelILj128ELj6ELj4E21rocsparse_complex_numIfEEEvi20rocsparse_direction_NS_24const_host_device_scalarIT2_EEPKiS8_PKS5_SA_S6_PS5_21rocsparse_index_base_b.num_agpr, 0
	.set _ZN9rocsparseL19gebsrmvn_2xn_kernelILj128ELj6ELj4E21rocsparse_complex_numIfEEEvi20rocsparse_direction_NS_24const_host_device_scalarIT2_EEPKiS8_PKS5_SA_S6_PS5_21rocsparse_index_base_b.numbered_sgpr, 14
	.set _ZN9rocsparseL19gebsrmvn_2xn_kernelILj128ELj6ELj4E21rocsparse_complex_numIfEEEvi20rocsparse_direction_NS_24const_host_device_scalarIT2_EEPKiS8_PKS5_SA_S6_PS5_21rocsparse_index_base_b.num_named_barrier, 0
	.set _ZN9rocsparseL19gebsrmvn_2xn_kernelILj128ELj6ELj4E21rocsparse_complex_numIfEEEvi20rocsparse_direction_NS_24const_host_device_scalarIT2_EEPKiS8_PKS5_SA_S6_PS5_21rocsparse_index_base_b.private_seg_size, 0
	.set _ZN9rocsparseL19gebsrmvn_2xn_kernelILj128ELj6ELj4E21rocsparse_complex_numIfEEEvi20rocsparse_direction_NS_24const_host_device_scalarIT2_EEPKiS8_PKS5_SA_S6_PS5_21rocsparse_index_base_b.uses_vcc, 1
	.set _ZN9rocsparseL19gebsrmvn_2xn_kernelILj128ELj6ELj4E21rocsparse_complex_numIfEEEvi20rocsparse_direction_NS_24const_host_device_scalarIT2_EEPKiS8_PKS5_SA_S6_PS5_21rocsparse_index_base_b.uses_flat_scratch, 1
	.set _ZN9rocsparseL19gebsrmvn_2xn_kernelILj128ELj6ELj4E21rocsparse_complex_numIfEEEvi20rocsparse_direction_NS_24const_host_device_scalarIT2_EEPKiS8_PKS5_SA_S6_PS5_21rocsparse_index_base_b.has_dyn_sized_stack, 0
	.set _ZN9rocsparseL19gebsrmvn_2xn_kernelILj128ELj6ELj4E21rocsparse_complex_numIfEEEvi20rocsparse_direction_NS_24const_host_device_scalarIT2_EEPKiS8_PKS5_SA_S6_PS5_21rocsparse_index_base_b.has_recursion, 0
	.set _ZN9rocsparseL19gebsrmvn_2xn_kernelILj128ELj6ELj4E21rocsparse_complex_numIfEEEvi20rocsparse_direction_NS_24const_host_device_scalarIT2_EEPKiS8_PKS5_SA_S6_PS5_21rocsparse_index_base_b.has_indirect_call, 0
	.section	.AMDGPU.csdata,"",@progbits
; Kernel info:
; codeLenInByte = 2216
; TotalNumSgprs: 16
; NumVgprs: 56
; ScratchSize: 0
; MemoryBound: 0
; FloatMode: 240
; IeeeMode: 1
; LDSByteSize: 0 bytes/workgroup (compile time only)
; SGPRBlocks: 0
; VGPRBlocks: 3
; NumSGPRsForWavesPerEU: 16
; NumVGPRsForWavesPerEU: 56
; NamedBarCnt: 0
; Occupancy: 16
; WaveLimiterHint : 1
; COMPUTE_PGM_RSRC2:SCRATCH_EN: 0
; COMPUTE_PGM_RSRC2:USER_SGPR: 2
; COMPUTE_PGM_RSRC2:TRAP_HANDLER: 0
; COMPUTE_PGM_RSRC2:TGID_X_EN: 1
; COMPUTE_PGM_RSRC2:TGID_Y_EN: 0
; COMPUTE_PGM_RSRC2:TGID_Z_EN: 0
; COMPUTE_PGM_RSRC2:TIDIG_COMP_CNT: 0
	.section	.text._ZN9rocsparseL19gebsrmvn_2xn_kernelILj128ELj6ELj8E21rocsparse_complex_numIfEEEvi20rocsparse_direction_NS_24const_host_device_scalarIT2_EEPKiS8_PKS5_SA_S6_PS5_21rocsparse_index_base_b,"axG",@progbits,_ZN9rocsparseL19gebsrmvn_2xn_kernelILj128ELj6ELj8E21rocsparse_complex_numIfEEEvi20rocsparse_direction_NS_24const_host_device_scalarIT2_EEPKiS8_PKS5_SA_S6_PS5_21rocsparse_index_base_b,comdat
	.globl	_ZN9rocsparseL19gebsrmvn_2xn_kernelILj128ELj6ELj8E21rocsparse_complex_numIfEEEvi20rocsparse_direction_NS_24const_host_device_scalarIT2_EEPKiS8_PKS5_SA_S6_PS5_21rocsparse_index_base_b ; -- Begin function _ZN9rocsparseL19gebsrmvn_2xn_kernelILj128ELj6ELj8E21rocsparse_complex_numIfEEEvi20rocsparse_direction_NS_24const_host_device_scalarIT2_EEPKiS8_PKS5_SA_S6_PS5_21rocsparse_index_base_b
	.p2align	8
	.type	_ZN9rocsparseL19gebsrmvn_2xn_kernelILj128ELj6ELj8E21rocsparse_complex_numIfEEEvi20rocsparse_direction_NS_24const_host_device_scalarIT2_EEPKiS8_PKS5_SA_S6_PS5_21rocsparse_index_base_b,@function
_ZN9rocsparseL19gebsrmvn_2xn_kernelILj128ELj6ELj8E21rocsparse_complex_numIfEEEvi20rocsparse_direction_NS_24const_host_device_scalarIT2_EEPKiS8_PKS5_SA_S6_PS5_21rocsparse_index_base_b: ; @_ZN9rocsparseL19gebsrmvn_2xn_kernelILj128ELj6ELj8E21rocsparse_complex_numIfEEEvi20rocsparse_direction_NS_24const_host_device_scalarIT2_EEPKiS8_PKS5_SA_S6_PS5_21rocsparse_index_base_b
; %bb.0:
	s_clause 0x2
	s_load_b64 s[12:13], s[0:1], 0x40
	s_load_b64 s[2:3], s[0:1], 0x8
	;; [unrolled: 1-line block ×3, first 2 shown]
	v_mov_b32_e32 v1, 0
	s_add_nc_u64 s[6:7], s[0:1], 8
	s_add_nc_u64 s[8:9], s[0:1], 48
	s_wait_kmcnt 0x0
	s_bitcmp1_b32 s13, 0
	s_cselect_b32 s3, s7, s3
	s_cselect_b32 s2, s6, s2
	;; [unrolled: 1-line block ×4, first 2 shown]
	s_clause 0x1
	flat_load_b64 v[2:3], v1, s[2:3]
	flat_load_b64 v[4:5], v1, s[4:5]
	s_wait_loadcnt_dscnt 0x101
	v_cmp_eq_f32_e32 vcc_lo, 0, v2
	v_cmp_eq_f32_e64 s2, 0, v3
	s_wait_loadcnt_dscnt 0x0
	v_cmp_eq_f32_e64 s3, 1.0, v4
	v_cmp_eq_f32_e64 s4, 0, v5
	s_and_b32 s2, vcc_lo, s2
	s_and_b32 s3, s3, s4
	s_delay_alu instid0(SALU_CYCLE_1) | instskip(NEXT) | instid1(SALU_CYCLE_1)
	s_and_b32 s2, s2, s3
	s_xor_b32 s2, s2, -1
	s_delay_alu instid0(SALU_CYCLE_1)
	s_and_saveexec_b32 s3, s2
	s_cbranch_execz .LBB173_19
; %bb.1:
	s_load_b64 s[2:3], s[0:1], 0x0
	s_bfe_u32 s4, ttmp6, 0x4000c
	s_and_b32 s5, ttmp6, 15
	s_add_co_i32 s4, s4, 1
	s_getreg_b32 s6, hwreg(HW_REG_IB_STS2, 6, 4)
	s_mul_i32 s4, ttmp9, s4
	v_lshrrev_b32_e32 v1, 3, v0
	s_add_co_i32 s5, s5, s4
	s_cmp_eq_u32 s6, 0
	s_cselect_b32 s4, ttmp9, s5
	s_delay_alu instid0(VALU_DEP_1) | instid1(SALU_CYCLE_1)
	v_lshl_or_b32 v6, s4, 4, v1
	s_wait_kmcnt 0x0
	s_delay_alu instid0(VALU_DEP_1)
	v_cmp_gt_i32_e32 vcc_lo, s2, v6
	s_and_b32 exec_lo, exec_lo, vcc_lo
	s_cbranch_execz .LBB173_19
; %bb.2:
	s_load_b256 s[4:11], s[0:1], 0x10
	v_ashrrev_i32_e32 v7, 31, v6
	s_cmp_lg_u32 s3, 0
	s_wait_kmcnt 0x0
	s_delay_alu instid0(VALU_DEP_1)
	v_lshl_add_u64 v[8:9], v[6:7], 2, s[4:5]
	v_and_b32_e32 v7, 7, v0
	global_load_b64 v[8:9], v[8:9], off
	s_wait_loadcnt 0x0
	v_subrev_nc_u32_e32 v0, s12, v8
	v_subrev_nc_u32_e32 v14, s12, v9
	s_delay_alu instid0(VALU_DEP_2) | instskip(NEXT) | instid1(VALU_DEP_1)
	v_add_nc_u32_e32 v15, v0, v7
	v_cmp_lt_i32_e64 s2, v15, v14
	s_cbranch_scc0 .LBB173_8
; %bb.3:
	v_mov_b32_e32 v1, 0
	s_delay_alu instid0(VALU_DEP_1)
	v_dual_mov_b32 v0, v1 :: v_dual_mov_b32 v9, v1
	v_mov_b32_e32 v8, v1
	s_and_saveexec_b32 s3, s2
	s_cbranch_execz .LBB173_7
; %bb.4:
	v_mad_u32 v12, v15, 12, 10
	v_dual_mov_b32 v11, 0 :: v_dual_mov_b32 v16, v15
	s_mov_b32 s4, 0
	s_delay_alu instid0(VALU_DEP_1)
	v_dual_mov_b32 v8, v11 :: v_dual_mov_b32 v9, v11
	v_dual_mov_b32 v0, v11 :: v_dual_mov_b32 v1, v11
.LBB173_5:                              ; =>This Inner Loop Header: Depth=1
	global_load_b32 v10, v16, s[6:7] scale_offset
	v_dual_mov_b32 v43, v11 :: v_dual_mov_b32 v13, v11
	s_wait_xcnt 0x0
	v_add_nc_u32_e32 v16, 8, v16
	s_delay_alu instid0(VALU_DEP_1) | instskip(SKIP_3) | instid1(VALU_DEP_1)
	v_cmp_ge_i32_e32 vcc_lo, v16, v14
	s_or_b32 s4, vcc_lo, s4
	s_wait_loadcnt 0x0
	v_subrev_nc_u32_e32 v10, s12, v10
	v_mul_lo_u32 v42, v10, 6
	v_add_nc_u32_e32 v10, -10, v12
	s_delay_alu instid0(VALU_DEP_1) | instskip(SKIP_1) | instid1(VALU_DEP_4)
	v_lshl_add_u64 v[30:31], v[10:11], 3, s[8:9]
	v_add_nc_u32_e32 v10, -6, v12
	v_lshl_add_u64 v[32:33], v[42:43], 3, s[10:11]
	s_clause 0x1
	global_load_b128 v[18:21], v[30:31], off
	global_load_b128 v[22:25], v[30:31], off offset:16
	global_load_b128 v[26:29], v[32:33], off
	s_wait_xcnt 0x1
	v_lshl_add_u64 v[30:31], v[10:11], 3, s[8:9]
	v_add_nc_u32_e32 v10, 2, v42
	global_load_b128 v[30:33], v[30:31], off
	s_wait_loadcnt 0x3
	v_mov_b32_e32 v55, v20
	v_lshl_add_u64 v[34:35], v[10:11], 3, s[10:11]
	v_add_nc_u32_e32 v10, -4, v12
	s_wait_loadcnt 0x1
	v_pk_fma_f32 v[0:1], v[18:19], v[26:27], v[0:1] op_sel_hi:[1,0,1]
	v_xor_b32_e32 v54, 0x80000000, v21
	v_pk_fma_f32 v[8:9], v[20:21], v[26:27], v[8:9] op_sel_hi:[1,0,1]
	global_load_b128 v[34:37], v[34:35], off
	v_pk_fma_f32 v[0:1], v[18:19], v[26:27], v[0:1] op_sel:[1,1,0] op_sel_hi:[0,1,1] neg_lo:[1,0,0]
	v_mov_b32_e32 v19, v24
	v_lshl_add_u64 v[38:39], v[10:11], 3, s[8:9]
	v_add_nc_u32_e32 v10, -2, v12
	v_pk_fma_f32 v[8:9], v[54:55], v[26:27], v[8:9] op_sel:[0,1,0]
	v_xor_b32_e32 v18, 0x80000000, v25
	v_pk_fma_f32 v[0:1], v[22:23], v[28:29], v[0:1] op_sel_hi:[1,0,1]
	global_load_b128 v[38:41], v[38:39], off
	v_lshl_add_u64 v[50:51], v[10:11], 3, s[8:9]
	v_add_nc_u32_e32 v10, 4, v42
	v_pk_fma_f32 v[8:9], v[24:25], v[28:29], v[8:9] op_sel_hi:[1,0,1]
	s_delay_alu instid0(VALU_DEP_2)
	v_lshl_add_u64 v[52:53], v[10:11], 3, s[10:11]
	global_load_b128 v[42:45], v[50:51], off
	global_load_b128 v[46:49], v[52:53], off
	s_wait_xcnt 0x1
	v_lshl_add_u64 v[50:51], v[12:13], 3, s[8:9]
	v_mov_b32_e32 v10, v29
	v_add_nc_u32_e32 v12, 0x60, v12
	global_load_b128 v[50:53], v[50:51], off
	v_pk_fma_f32 v[0:1], v[22:23], v[10:11], v[0:1] op_sel:[1,0,0] op_sel_hi:[0,0,1] neg_lo:[1,0,0]
	v_pk_fma_f32 v[8:9], v[18:19], v[10:11], v[8:9] op_sel_hi:[1,0,1]
	s_wait_loadcnt 0x5
	v_xor_b32_e32 v18, 0x80000000, v33
	v_mov_b32_e32 v19, v32
	s_wait_loadcnt 0x4
	v_pk_fma_f32 v[0:1], v[30:31], v[34:35], v[0:1] op_sel_hi:[1,0,1]
	v_pk_fma_f32 v[8:9], v[32:33], v[34:35], v[8:9] op_sel_hi:[1,0,1]
	v_mov_b32_e32 v10, v37
	s_delay_alu instid0(VALU_DEP_3) | instskip(NEXT) | instid1(VALU_DEP_3)
	v_pk_fma_f32 v[0:1], v[30:31], v[34:35], v[0:1] op_sel:[1,1,0] op_sel_hi:[0,1,1] neg_lo:[1,0,0]
	v_pk_fma_f32 v[8:9], v[18:19], v[34:35], v[8:9] op_sel:[0,1,0]
	s_wait_loadcnt 0x3
	v_xor_b32_e32 v18, 0x80000000, v41
	v_mov_b32_e32 v19, v40
	v_pk_fma_f32 v[0:1], v[38:39], v[36:37], v[0:1] op_sel_hi:[1,0,1]
	v_pk_fma_f32 v[8:9], v[40:41], v[36:37], v[8:9] op_sel_hi:[1,0,1]
	s_delay_alu instid0(VALU_DEP_2) | instskip(NEXT) | instid1(VALU_DEP_2)
	v_pk_fma_f32 v[0:1], v[38:39], v[10:11], v[0:1] op_sel:[1,0,0] op_sel_hi:[0,0,1] neg_lo:[1,0,0]
	v_pk_fma_f32 v[8:9], v[18:19], v[10:11], v[8:9] op_sel_hi:[1,0,1]
	s_wait_loadcnt 0x2
	v_xor_b32_e32 v18, 0x80000000, v45
	v_mov_b32_e32 v19, v44
	s_wait_loadcnt 0x1
	v_pk_fma_f32 v[0:1], v[42:43], v[46:47], v[0:1] op_sel_hi:[1,0,1]
	v_pk_fma_f32 v[8:9], v[44:45], v[46:47], v[8:9] op_sel_hi:[1,0,1]
	v_mov_b32_e32 v10, v49
	s_delay_alu instid0(VALU_DEP_3) | instskip(NEXT) | instid1(VALU_DEP_3)
	v_pk_fma_f32 v[0:1], v[42:43], v[46:47], v[0:1] op_sel:[1,1,0] op_sel_hi:[0,1,1] neg_lo:[1,0,0]
	v_pk_fma_f32 v[8:9], v[18:19], v[46:47], v[8:9] op_sel:[0,1,0]
	s_wait_loadcnt 0x0
	v_xor_b32_e32 v18, 0x80000000, v53
	v_mov_b32_e32 v19, v52
	v_pk_fma_f32 v[0:1], v[50:51], v[48:49], v[0:1] op_sel_hi:[1,0,1]
	v_pk_fma_f32 v[8:9], v[52:53], v[48:49], v[8:9] op_sel_hi:[1,0,1]
	s_delay_alu instid0(VALU_DEP_2) | instskip(NEXT) | instid1(VALU_DEP_2)
	v_pk_fma_f32 v[0:1], v[50:51], v[10:11], v[0:1] op_sel:[1,0,0] op_sel_hi:[0,0,1] neg_lo:[1,0,0]
	v_pk_fma_f32 v[8:9], v[18:19], v[10:11], v[8:9] op_sel_hi:[1,0,1]
	s_and_not1_b32 exec_lo, exec_lo, s4
	s_cbranch_execnz .LBB173_5
; %bb.6:
	s_or_b32 exec_lo, exec_lo, s4
.LBB173_7:
	s_delay_alu instid0(SALU_CYCLE_1)
	s_or_b32 exec_lo, exec_lo, s3
	s_cbranch_execz .LBB173_9
	s_branch .LBB173_14
.LBB173_8:
                                        ; implicit-def: $vgpr1
                                        ; implicit-def: $vgpr9
.LBB173_9:
	v_mov_b32_e32 v1, 0
	s_delay_alu instid0(VALU_DEP_1)
	v_dual_mov_b32 v0, v1 :: v_dual_mov_b32 v9, v1
	v_mov_b32_e32 v8, v1
	s_and_saveexec_b32 s3, s2
	s_cbranch_execz .LBB173_13
; %bb.10:
	v_mad_u32 v12, v15, 12, 11
	v_mov_b32_e32 v11, 0
	s_mov_b32 s2, 0
	s_delay_alu instid0(VALU_DEP_1)
	v_dual_mov_b32 v8, v11 :: v_dual_mov_b32 v9, v11
	v_dual_mov_b32 v0, v11 :: v_dual_mov_b32 v1, v11
.LBB173_11:                             ; =>This Inner Loop Header: Depth=1
	global_load_b32 v10, v15, s[6:7] scale_offset
	v_dual_add_nc_u32 v13, -5, v12 :: v_dual_mov_b32 v33, v11
	s_wait_xcnt 0x0
	v_dual_add_nc_u32 v54, -1, v12 :: v_dual_add_nc_u32 v15, 8, v15
	s_delay_alu instid0(VALU_DEP_1) | instskip(SKIP_3) | instid1(VALU_DEP_1)
	v_cmp_ge_i32_e32 vcc_lo, v15, v14
	s_or_b32 s2, vcc_lo, s2
	s_wait_loadcnt 0x0
	v_subrev_nc_u32_e32 v10, s12, v10
	v_mul_lo_u32 v32, v10, 6
	v_add_nc_u32_e32 v10, -11, v12
	s_delay_alu instid0(VALU_DEP_1) | instskip(SKIP_1) | instid1(VALU_DEP_4)
	v_lshl_add_u64 v[34:35], v[10:11], 3, s[8:9]
	v_add_nc_u32_e32 v10, -4, v12
	v_lshl_add_u64 v[24:25], v[32:33], 3, s[10:11]
	s_clause 0x1
	global_load_b128 v[16:19], v[34:35], off
	global_load_b64 v[36:37], v13, s[8:9] scale_offset
	global_load_b128 v[20:23], v[24:25], off
	global_load_b64 v[38:39], v10, s[8:9] scale_offset
	s_wait_xcnt 0x0
	v_add_nc_u32_e32 v10, 2, v32
	v_add_nc_u32_e32 v13, -3, v12
	s_wait_loadcnt 0x1
	v_pk_fma_f32 v[0:1], v[16:17], v[20:21], v[0:1] op_sel_hi:[1,0,1]
	v_pk_fma_f32 v[8:9], v[36:37], v[20:21], v[8:9] op_sel_hi:[1,0,1]
	s_delay_alu instid0(VALU_DEP_2)
	v_pk_fma_f32 v[0:1], v[16:17], v[20:21], v[0:1] op_sel:[1,1,0] op_sel_hi:[0,1,1] neg_lo:[1,0,0]
	v_mov_b32_e32 v17, v18
	v_lshl_add_u64 v[40:41], v[10:11], 3, s[10:11]
	v_add_nc_u32_e32 v10, -7, v12
	s_clause 0x1
	global_load_b64 v[42:43], v13, s[8:9] scale_offset
	global_load_b128 v[24:27], v[34:35], off offset:16
	global_load_b128 v[28:31], v[40:41], off
	s_wait_xcnt 0x2
	v_add_nc_u32_e32 v13, -2, v12
	s_clause 0x1
	global_load_b64 v[40:41], v10, s[8:9] scale_offset
	global_load_b64 v[44:45], v13, s[8:9] scale_offset
	s_wait_xcnt 0x1
	v_add_nc_u32_e32 v10, 4, v32
	s_wait_xcnt 0x0
	v_add_nc_u32_e32 v13, -6, v12
	v_pk_fma_f32 v[8:9], v[36:37], v[20:21], v[8:9] op_sel:[1,1,0] op_sel_hi:[0,1,1] neg_lo:[1,0,0]
	v_xor_b32_e32 v16, 0x80000000, v19
	v_pk_fma_f32 v[0:1], v[18:19], v[22:23], v[0:1] op_sel_hi:[1,0,1]
	v_lshl_add_u64 v[46:47], v[10:11], 3, s[10:11]
	v_mov_b32_e32 v10, v23
	s_clause 0x2
	global_load_b64 v[48:49], v13, s[8:9] scale_offset
	global_load_b64 v[50:51], v12, s[8:9] scale_offset
	;; [unrolled: 1-line block ×3, first 2 shown]
	global_load_b128 v[32:35], v[46:47], off
	s_wait_loadcnt 0x9
	v_pk_fma_f32 v[8:9], v[38:39], v[22:23], v[8:9] op_sel_hi:[1,0,1]
	s_wait_xcnt 0x2
	v_add_nc_u32_e32 v12, 0x60, v12
	v_pk_fma_f32 v[0:1], v[16:17], v[10:11], v[0:1] op_sel_hi:[1,0,1]
	s_delay_alu instid0(VALU_DEP_3)
	v_pk_fma_f32 v[8:9], v[38:39], v[10:11], v[8:9] op_sel:[1,0,0] op_sel_hi:[0,0,1] neg_lo:[1,0,0]
	s_wait_loadcnt 0x7
	v_xor_b32_e32 v16, 0x80000000, v27
	s_wait_loadcnt 0x6
	v_pk_fma_f32 v[0:1], v[24:25], v[28:29], v[0:1] op_sel_hi:[1,0,1]
	v_pk_fma_f32 v[8:9], v[42:43], v[28:29], v[8:9] op_sel_hi:[1,0,1]
	v_dual_mov_b32 v17, v26 :: v_dual_mov_b32 v10, v31
	s_delay_alu instid0(VALU_DEP_3) | instskip(NEXT) | instid1(VALU_DEP_3)
	v_pk_fma_f32 v[0:1], v[24:25], v[28:29], v[0:1] op_sel:[1,1,0] op_sel_hi:[0,1,1] neg_lo:[1,0,0]
	v_pk_fma_f32 v[8:9], v[42:43], v[28:29], v[8:9] op_sel:[1,1,0] op_sel_hi:[0,1,1] neg_lo:[1,0,0]
	s_delay_alu instid0(VALU_DEP_2) | instskip(SKIP_1) | instid1(VALU_DEP_2)
	v_pk_fma_f32 v[0:1], v[26:27], v[30:31], v[0:1] op_sel_hi:[1,0,1]
	s_wait_loadcnt 0x4
	v_pk_fma_f32 v[8:9], v[44:45], v[30:31], v[8:9] op_sel_hi:[1,0,1]
	s_delay_alu instid0(VALU_DEP_2) | instskip(NEXT) | instid1(VALU_DEP_2)
	v_pk_fma_f32 v[0:1], v[16:17], v[10:11], v[0:1] op_sel_hi:[1,0,1]
	v_pk_fma_f32 v[8:9], v[44:45], v[10:11], v[8:9] op_sel:[1,0,0] op_sel_hi:[0,0,1] neg_lo:[1,0,0]
	s_wait_loadcnt 0x0
	v_mov_b32_e32 v10, v35
	s_delay_alu instid0(VALU_DEP_3) | instskip(NEXT) | instid1(VALU_DEP_3)
	v_pk_fma_f32 v[0:1], v[40:41], v[32:33], v[0:1] op_sel_hi:[1,0,1]
	v_pk_fma_f32 v[8:9], v[52:53], v[32:33], v[8:9] op_sel_hi:[1,0,1]
	s_delay_alu instid0(VALU_DEP_2) | instskip(NEXT) | instid1(VALU_DEP_2)
	v_pk_fma_f32 v[0:1], v[40:41], v[32:33], v[0:1] op_sel:[1,1,0] op_sel_hi:[0,1,1] neg_lo:[1,0,0]
	v_pk_fma_f32 v[8:9], v[52:53], v[32:33], v[8:9] op_sel:[1,1,0] op_sel_hi:[0,1,1] neg_lo:[1,0,0]
	s_delay_alu instid0(VALU_DEP_2) | instskip(NEXT) | instid1(VALU_DEP_2)
	v_pk_fma_f32 v[0:1], v[48:49], v[34:35], v[0:1] op_sel_hi:[1,0,1]
	v_pk_fma_f32 v[8:9], v[50:51], v[34:35], v[8:9] op_sel_hi:[1,0,1]
	s_delay_alu instid0(VALU_DEP_2) | instskip(NEXT) | instid1(VALU_DEP_2)
	v_pk_fma_f32 v[0:1], v[48:49], v[10:11], v[0:1] op_sel:[1,0,0] op_sel_hi:[0,0,1] neg_lo:[1,0,0]
	v_pk_fma_f32 v[8:9], v[50:51], v[10:11], v[8:9] op_sel:[1,0,0] op_sel_hi:[0,0,1] neg_lo:[1,0,0]
	s_and_not1_b32 exec_lo, exec_lo, s2
	s_cbranch_execnz .LBB173_11
; %bb.12:
	s_or_b32 exec_lo, exec_lo, s2
.LBB173_13:
	s_delay_alu instid0(SALU_CYCLE_1)
	s_or_b32 exec_lo, exec_lo, s3
.LBB173_14:
	v_mbcnt_lo_u32_b32 v10, -1, 0
	s_delay_alu instid0(VALU_DEP_1) | instskip(SKIP_1) | instid1(VALU_DEP_1)
	v_xor_b32_e32 v15, 2, v10
	v_xor_b32_e32 v11, 4, v10
	v_cmp_gt_i32_e32 vcc_lo, 32, v11
	v_cndmask_b32_e32 v11, v10, v11, vcc_lo
	s_delay_alu instid0(VALU_DEP_1)
	v_lshlrev_b32_e32 v11, 2, v11
	ds_bpermute_b32 v13, v11, v1
	s_wait_dscnt 0x0
	v_add_f32_e32 v1, v1, v13
	ds_bpermute_b32 v12, v11, v0
	ds_bpermute_b32 v14, v11, v8
	;; [unrolled: 1-line block ×3, first 2 shown]
	s_wait_dscnt 0x2
	v_add_f32_e32 v0, v0, v12
	s_wait_dscnt 0x0
	v_dual_add_f32 v12, v8, v14 :: v_dual_add_f32 v9, v9, v11
	v_cmp_gt_i32_e32 vcc_lo, 32, v15
	v_cndmask_b32_e32 v15, v10, v15, vcc_lo
	s_delay_alu instid0(VALU_DEP_1)
	v_lshlrev_b32_e32 v15, 2, v15
	ds_bpermute_b32 v8, v15, v0
	ds_bpermute_b32 v11, v15, v1
	;; [unrolled: 1-line block ×4, first 2 shown]
	s_wait_dscnt 0x3
	v_dual_add_f32 v0, v0, v8 :: v_dual_bitop2_b32 v15, 1, v10 bitop3:0x14
	s_delay_alu instid0(VALU_DEP_1)
	v_cmp_gt_i32_e32 vcc_lo, 32, v15
	s_wait_dscnt 0x1
	v_dual_add_f32 v8, v1, v11 :: v_dual_add_f32 v1, v12, v13
	s_wait_dscnt 0x0
	v_dual_add_f32 v9, v9, v14 :: v_dual_cndmask_b32 v10, v10, v15
	v_cmp_eq_u32_e32 vcc_lo, 7, v7
	s_delay_alu instid0(VALU_DEP_2)
	v_lshlrev_b32_e32 v15, 2, v10
	ds_bpermute_b32 v12, v15, v0
	ds_bpermute_b32 v13, v15, v8
	;; [unrolled: 1-line block ×4, first 2 shown]
	s_and_b32 exec_lo, exec_lo, vcc_lo
	s_cbranch_execz .LBB173_19
; %bb.15:
	s_load_b64 s[2:3], s[0:1], 0x38
	v_cmp_eq_f32_e32 vcc_lo, 0, v4
	s_wait_xcnt 0x0
	v_cmp_eq_f32_e64 s0, 0, v5
	s_wait_dscnt 0x3
	v_add_f32_e32 v0, v0, v12
	s_wait_dscnt 0x1
	v_dual_add_f32 v12, v8, v13 :: v_dual_add_f32 v8, v1, v10
	s_wait_dscnt 0x0
	v_add_f32_e32 v10, v9, v11
	s_and_b32 s0, vcc_lo, s0
	s_delay_alu instid0(SALU_CYCLE_1) | instskip(NEXT) | instid1(SALU_CYCLE_1)
	s_and_saveexec_b32 s1, s0
	s_xor_b32 s0, exec_lo, s1
	s_cbranch_execz .LBB173_17
; %bb.16:
	v_xor_b32_e32 v4, 0x80000000, v3
	v_dual_mov_b32 v5, v2 :: v_dual_lshlrev_b32 v6, 1, v6
	s_delay_alu instid0(VALU_DEP_1) | instskip(NEXT) | instid1(VALU_DEP_2)
	v_ashrrev_i32_e32 v7, 31, v6
	v_pk_mul_f32 v[12:13], v[12:13], v[4:5] op_sel_hi:[0,1]
	v_pk_mul_f32 v[4:5], v[10:11], v[4:5] op_sel_hi:[0,1]
                                        ; implicit-def: $vgpr10
	s_wait_kmcnt 0x0
	s_delay_alu instid0(VALU_DEP_3) | instskip(NEXT) | instid1(VALU_DEP_3)
	v_lshl_add_u64 v[6:7], v[6:7], 3, s[2:3]
	v_pk_fma_f32 v[0:1], v[2:3], v[0:1], v[12:13] op_sel_hi:[1,0,1]
	s_delay_alu instid0(VALU_DEP_3)
	v_pk_fma_f32 v[2:3], v[2:3], v[8:9], v[4:5] op_sel_hi:[1,0,1]
                                        ; implicit-def: $vgpr4_vgpr5
                                        ; implicit-def: $vgpr12
                                        ; implicit-def: $vgpr8
	global_store_b128 v[6:7], v[0:3], off
                                        ; implicit-def: $vgpr6
                                        ; implicit-def: $vgpr2_vgpr3
                                        ; implicit-def: $vgpr0
.LBB173_17:
	s_wait_xcnt 0x0
	s_and_not1_saveexec_b32 s0, s0
	s_cbranch_execz .LBB173_19
; %bb.18:
	v_dual_mov_b32 v19, v2 :: v_dual_lshlrev_b32 v6, 1, v6
	v_xor_b32_e32 v18, 0x80000000, v3
	s_delay_alu instid0(VALU_DEP_2) | instskip(NEXT) | instid1(VALU_DEP_2)
	v_ashrrev_i32_e32 v7, 31, v6
	v_pk_mul_f32 v[12:13], v[12:13], v[18:19] op_sel_hi:[0,1]
	v_pk_mul_f32 v[10:11], v[10:11], v[18:19] op_sel_hi:[0,1]
	s_delay_alu instid0(VALU_DEP_2) | instskip(NEXT) | instid1(VALU_DEP_2)
	v_pk_fma_f32 v[0:1], v[2:3], v[0:1], v[12:13] op_sel_hi:[1,0,1]
	v_pk_fma_f32 v[2:3], v[2:3], v[8:9], v[10:11] op_sel_hi:[1,0,1]
	v_mov_b32_e32 v9, v4
	s_wait_kmcnt 0x0
	v_lshl_add_u64 v[6:7], v[6:7], 3, s[2:3]
	v_xor_b32_e32 v8, 0x80000000, v5
	global_load_b128 v[14:17], v[6:7], off
	s_wait_loadcnt 0x0
	v_pk_fma_f32 v[0:1], v[4:5], v[14:15], v[0:1] op_sel_hi:[1,0,1]
	v_pk_fma_f32 v[2:3], v[4:5], v[16:17], v[2:3] op_sel_hi:[1,0,1]
	v_mov_b32_e32 v4, v17
	s_delay_alu instid0(VALU_DEP_3) | instskip(NEXT) | instid1(VALU_DEP_2)
	v_pk_fma_f32 v[0:1], v[8:9], v[14:15], v[0:1] op_sel:[0,1,0]
	v_pk_fma_f32 v[2:3], v[8:9], v[4:5], v[2:3] op_sel_hi:[1,0,1]
	global_store_b128 v[6:7], v[0:3], off
.LBB173_19:
	s_endpgm
	.section	.rodata,"a",@progbits
	.p2align	6, 0x0
	.amdhsa_kernel _ZN9rocsparseL19gebsrmvn_2xn_kernelILj128ELj6ELj8E21rocsparse_complex_numIfEEEvi20rocsparse_direction_NS_24const_host_device_scalarIT2_EEPKiS8_PKS5_SA_S6_PS5_21rocsparse_index_base_b
		.amdhsa_group_segment_fixed_size 0
		.amdhsa_private_segment_fixed_size 0
		.amdhsa_kernarg_size 72
		.amdhsa_user_sgpr_count 2
		.amdhsa_user_sgpr_dispatch_ptr 0
		.amdhsa_user_sgpr_queue_ptr 0
		.amdhsa_user_sgpr_kernarg_segment_ptr 1
		.amdhsa_user_sgpr_dispatch_id 0
		.amdhsa_user_sgpr_kernarg_preload_length 0
		.amdhsa_user_sgpr_kernarg_preload_offset 0
		.amdhsa_user_sgpr_private_segment_size 0
		.amdhsa_wavefront_size32 1
		.amdhsa_uses_dynamic_stack 0
		.amdhsa_enable_private_segment 0
		.amdhsa_system_sgpr_workgroup_id_x 1
		.amdhsa_system_sgpr_workgroup_id_y 0
		.amdhsa_system_sgpr_workgroup_id_z 0
		.amdhsa_system_sgpr_workgroup_info 0
		.amdhsa_system_vgpr_workitem_id 0
		.amdhsa_next_free_vgpr 56
		.amdhsa_next_free_sgpr 14
		.amdhsa_named_barrier_count 0
		.amdhsa_reserve_vcc 1
		.amdhsa_float_round_mode_32 0
		.amdhsa_float_round_mode_16_64 0
		.amdhsa_float_denorm_mode_32 3
		.amdhsa_float_denorm_mode_16_64 3
		.amdhsa_fp16_overflow 0
		.amdhsa_memory_ordered 1
		.amdhsa_forward_progress 1
		.amdhsa_inst_pref_size 19
		.amdhsa_round_robin_scheduling 0
		.amdhsa_exception_fp_ieee_invalid_op 0
		.amdhsa_exception_fp_denorm_src 0
		.amdhsa_exception_fp_ieee_div_zero 0
		.amdhsa_exception_fp_ieee_overflow 0
		.amdhsa_exception_fp_ieee_underflow 0
		.amdhsa_exception_fp_ieee_inexact 0
		.amdhsa_exception_int_div_zero 0
	.end_amdhsa_kernel
	.section	.text._ZN9rocsparseL19gebsrmvn_2xn_kernelILj128ELj6ELj8E21rocsparse_complex_numIfEEEvi20rocsparse_direction_NS_24const_host_device_scalarIT2_EEPKiS8_PKS5_SA_S6_PS5_21rocsparse_index_base_b,"axG",@progbits,_ZN9rocsparseL19gebsrmvn_2xn_kernelILj128ELj6ELj8E21rocsparse_complex_numIfEEEvi20rocsparse_direction_NS_24const_host_device_scalarIT2_EEPKiS8_PKS5_SA_S6_PS5_21rocsparse_index_base_b,comdat
.Lfunc_end173:
	.size	_ZN9rocsparseL19gebsrmvn_2xn_kernelILj128ELj6ELj8E21rocsparse_complex_numIfEEEvi20rocsparse_direction_NS_24const_host_device_scalarIT2_EEPKiS8_PKS5_SA_S6_PS5_21rocsparse_index_base_b, .Lfunc_end173-_ZN9rocsparseL19gebsrmvn_2xn_kernelILj128ELj6ELj8E21rocsparse_complex_numIfEEEvi20rocsparse_direction_NS_24const_host_device_scalarIT2_EEPKiS8_PKS5_SA_S6_PS5_21rocsparse_index_base_b
                                        ; -- End function
	.set _ZN9rocsparseL19gebsrmvn_2xn_kernelILj128ELj6ELj8E21rocsparse_complex_numIfEEEvi20rocsparse_direction_NS_24const_host_device_scalarIT2_EEPKiS8_PKS5_SA_S6_PS5_21rocsparse_index_base_b.num_vgpr, 56
	.set _ZN9rocsparseL19gebsrmvn_2xn_kernelILj128ELj6ELj8E21rocsparse_complex_numIfEEEvi20rocsparse_direction_NS_24const_host_device_scalarIT2_EEPKiS8_PKS5_SA_S6_PS5_21rocsparse_index_base_b.num_agpr, 0
	.set _ZN9rocsparseL19gebsrmvn_2xn_kernelILj128ELj6ELj8E21rocsparse_complex_numIfEEEvi20rocsparse_direction_NS_24const_host_device_scalarIT2_EEPKiS8_PKS5_SA_S6_PS5_21rocsparse_index_base_b.numbered_sgpr, 14
	.set _ZN9rocsparseL19gebsrmvn_2xn_kernelILj128ELj6ELj8E21rocsparse_complex_numIfEEEvi20rocsparse_direction_NS_24const_host_device_scalarIT2_EEPKiS8_PKS5_SA_S6_PS5_21rocsparse_index_base_b.num_named_barrier, 0
	.set _ZN9rocsparseL19gebsrmvn_2xn_kernelILj128ELj6ELj8E21rocsparse_complex_numIfEEEvi20rocsparse_direction_NS_24const_host_device_scalarIT2_EEPKiS8_PKS5_SA_S6_PS5_21rocsparse_index_base_b.private_seg_size, 0
	.set _ZN9rocsparseL19gebsrmvn_2xn_kernelILj128ELj6ELj8E21rocsparse_complex_numIfEEEvi20rocsparse_direction_NS_24const_host_device_scalarIT2_EEPKiS8_PKS5_SA_S6_PS5_21rocsparse_index_base_b.uses_vcc, 1
	.set _ZN9rocsparseL19gebsrmvn_2xn_kernelILj128ELj6ELj8E21rocsparse_complex_numIfEEEvi20rocsparse_direction_NS_24const_host_device_scalarIT2_EEPKiS8_PKS5_SA_S6_PS5_21rocsparse_index_base_b.uses_flat_scratch, 1
	.set _ZN9rocsparseL19gebsrmvn_2xn_kernelILj128ELj6ELj8E21rocsparse_complex_numIfEEEvi20rocsparse_direction_NS_24const_host_device_scalarIT2_EEPKiS8_PKS5_SA_S6_PS5_21rocsparse_index_base_b.has_dyn_sized_stack, 0
	.set _ZN9rocsparseL19gebsrmvn_2xn_kernelILj128ELj6ELj8E21rocsparse_complex_numIfEEEvi20rocsparse_direction_NS_24const_host_device_scalarIT2_EEPKiS8_PKS5_SA_S6_PS5_21rocsparse_index_base_b.has_recursion, 0
	.set _ZN9rocsparseL19gebsrmvn_2xn_kernelILj128ELj6ELj8E21rocsparse_complex_numIfEEEvi20rocsparse_direction_NS_24const_host_device_scalarIT2_EEPKiS8_PKS5_SA_S6_PS5_21rocsparse_index_base_b.has_indirect_call, 0
	.section	.AMDGPU.csdata,"",@progbits
; Kernel info:
; codeLenInByte = 2308
; TotalNumSgprs: 16
; NumVgprs: 56
; ScratchSize: 0
; MemoryBound: 0
; FloatMode: 240
; IeeeMode: 1
; LDSByteSize: 0 bytes/workgroup (compile time only)
; SGPRBlocks: 0
; VGPRBlocks: 3
; NumSGPRsForWavesPerEU: 16
; NumVGPRsForWavesPerEU: 56
; NamedBarCnt: 0
; Occupancy: 16
; WaveLimiterHint : 1
; COMPUTE_PGM_RSRC2:SCRATCH_EN: 0
; COMPUTE_PGM_RSRC2:USER_SGPR: 2
; COMPUTE_PGM_RSRC2:TRAP_HANDLER: 0
; COMPUTE_PGM_RSRC2:TGID_X_EN: 1
; COMPUTE_PGM_RSRC2:TGID_Y_EN: 0
; COMPUTE_PGM_RSRC2:TGID_Z_EN: 0
; COMPUTE_PGM_RSRC2:TIDIG_COMP_CNT: 0
	.section	.text._ZN9rocsparseL19gebsrmvn_2xn_kernelILj128ELj6ELj16E21rocsparse_complex_numIfEEEvi20rocsparse_direction_NS_24const_host_device_scalarIT2_EEPKiS8_PKS5_SA_S6_PS5_21rocsparse_index_base_b,"axG",@progbits,_ZN9rocsparseL19gebsrmvn_2xn_kernelILj128ELj6ELj16E21rocsparse_complex_numIfEEEvi20rocsparse_direction_NS_24const_host_device_scalarIT2_EEPKiS8_PKS5_SA_S6_PS5_21rocsparse_index_base_b,comdat
	.globl	_ZN9rocsparseL19gebsrmvn_2xn_kernelILj128ELj6ELj16E21rocsparse_complex_numIfEEEvi20rocsparse_direction_NS_24const_host_device_scalarIT2_EEPKiS8_PKS5_SA_S6_PS5_21rocsparse_index_base_b ; -- Begin function _ZN9rocsparseL19gebsrmvn_2xn_kernelILj128ELj6ELj16E21rocsparse_complex_numIfEEEvi20rocsparse_direction_NS_24const_host_device_scalarIT2_EEPKiS8_PKS5_SA_S6_PS5_21rocsparse_index_base_b
	.p2align	8
	.type	_ZN9rocsparseL19gebsrmvn_2xn_kernelILj128ELj6ELj16E21rocsparse_complex_numIfEEEvi20rocsparse_direction_NS_24const_host_device_scalarIT2_EEPKiS8_PKS5_SA_S6_PS5_21rocsparse_index_base_b,@function
_ZN9rocsparseL19gebsrmvn_2xn_kernelILj128ELj6ELj16E21rocsparse_complex_numIfEEEvi20rocsparse_direction_NS_24const_host_device_scalarIT2_EEPKiS8_PKS5_SA_S6_PS5_21rocsparse_index_base_b: ; @_ZN9rocsparseL19gebsrmvn_2xn_kernelILj128ELj6ELj16E21rocsparse_complex_numIfEEEvi20rocsparse_direction_NS_24const_host_device_scalarIT2_EEPKiS8_PKS5_SA_S6_PS5_21rocsparse_index_base_b
; %bb.0:
	s_clause 0x2
	s_load_b64 s[12:13], s[0:1], 0x40
	s_load_b64 s[2:3], s[0:1], 0x8
	s_load_b64 s[4:5], s[0:1], 0x30
	v_mov_b32_e32 v1, 0
	s_add_nc_u64 s[6:7], s[0:1], 8
	s_add_nc_u64 s[8:9], s[0:1], 48
	s_wait_kmcnt 0x0
	s_bitcmp1_b32 s13, 0
	s_cselect_b32 s3, s7, s3
	s_cselect_b32 s2, s6, s2
	;; [unrolled: 1-line block ×4, first 2 shown]
	s_clause 0x1
	flat_load_b64 v[2:3], v1, s[2:3]
	flat_load_b64 v[4:5], v1, s[4:5]
	s_wait_loadcnt_dscnt 0x101
	v_cmp_eq_f32_e32 vcc_lo, 0, v2
	v_cmp_eq_f32_e64 s2, 0, v3
	s_wait_loadcnt_dscnt 0x0
	v_cmp_eq_f32_e64 s3, 1.0, v4
	v_cmp_eq_f32_e64 s4, 0, v5
	s_and_b32 s2, vcc_lo, s2
	s_and_b32 s3, s3, s4
	s_delay_alu instid0(SALU_CYCLE_1) | instskip(NEXT) | instid1(SALU_CYCLE_1)
	s_and_b32 s2, s2, s3
	s_xor_b32 s2, s2, -1
	s_delay_alu instid0(SALU_CYCLE_1)
	s_and_saveexec_b32 s3, s2
	s_cbranch_execz .LBB174_19
; %bb.1:
	s_load_b64 s[2:3], s[0:1], 0x0
	s_bfe_u32 s4, ttmp6, 0x4000c
	s_and_b32 s5, ttmp6, 15
	s_add_co_i32 s4, s4, 1
	s_getreg_b32 s6, hwreg(HW_REG_IB_STS2, 6, 4)
	s_mul_i32 s4, ttmp9, s4
	v_lshrrev_b32_e32 v1, 4, v0
	s_add_co_i32 s5, s5, s4
	s_cmp_eq_u32 s6, 0
	s_cselect_b32 s4, ttmp9, s5
	s_delay_alu instid0(VALU_DEP_1) | instid1(SALU_CYCLE_1)
	v_lshl_or_b32 v6, s4, 3, v1
	s_wait_kmcnt 0x0
	s_delay_alu instid0(VALU_DEP_1)
	v_cmp_gt_i32_e32 vcc_lo, s2, v6
	s_and_b32 exec_lo, exec_lo, vcc_lo
	s_cbranch_execz .LBB174_19
; %bb.2:
	s_load_b256 s[4:11], s[0:1], 0x10
	v_ashrrev_i32_e32 v7, 31, v6
	s_cmp_lg_u32 s3, 0
	s_wait_kmcnt 0x0
	s_delay_alu instid0(VALU_DEP_1)
	v_lshl_add_u64 v[8:9], v[6:7], 2, s[4:5]
	v_and_b32_e32 v7, 15, v0
	global_load_b64 v[8:9], v[8:9], off
	s_wait_loadcnt 0x0
	v_subrev_nc_u32_e32 v0, s12, v8
	v_subrev_nc_u32_e32 v14, s12, v9
	s_delay_alu instid0(VALU_DEP_2) | instskip(NEXT) | instid1(VALU_DEP_1)
	v_add_nc_u32_e32 v15, v0, v7
	v_cmp_lt_i32_e64 s2, v15, v14
	s_cbranch_scc0 .LBB174_8
; %bb.3:
	v_mov_b32_e32 v1, 0
	s_delay_alu instid0(VALU_DEP_1)
	v_dual_mov_b32 v0, v1 :: v_dual_mov_b32 v9, v1
	v_mov_b32_e32 v8, v1
	s_and_saveexec_b32 s3, s2
	s_cbranch_execz .LBB174_7
; %bb.4:
	v_mad_u32 v12, v15, 12, 10
	v_dual_mov_b32 v11, 0 :: v_dual_mov_b32 v16, v15
	s_mov_b32 s4, 0
	s_delay_alu instid0(VALU_DEP_1)
	v_dual_mov_b32 v8, v11 :: v_dual_mov_b32 v9, v11
	v_dual_mov_b32 v0, v11 :: v_dual_mov_b32 v1, v11
.LBB174_5:                              ; =>This Inner Loop Header: Depth=1
	global_load_b32 v10, v16, s[6:7] scale_offset
	v_dual_mov_b32 v43, v11 :: v_dual_mov_b32 v13, v11
	s_wait_xcnt 0x0
	v_add_nc_u32_e32 v16, 16, v16
	s_delay_alu instid0(VALU_DEP_1) | instskip(SKIP_3) | instid1(VALU_DEP_1)
	v_cmp_ge_i32_e32 vcc_lo, v16, v14
	s_or_b32 s4, vcc_lo, s4
	s_wait_loadcnt 0x0
	v_subrev_nc_u32_e32 v10, s12, v10
	v_mul_lo_u32 v42, v10, 6
	v_add_nc_u32_e32 v10, -10, v12
	s_delay_alu instid0(VALU_DEP_1) | instskip(SKIP_1) | instid1(VALU_DEP_4)
	v_lshl_add_u64 v[30:31], v[10:11], 3, s[8:9]
	v_add_nc_u32_e32 v10, -6, v12
	v_lshl_add_u64 v[32:33], v[42:43], 3, s[10:11]
	s_clause 0x1
	global_load_b128 v[18:21], v[30:31], off
	global_load_b128 v[22:25], v[30:31], off offset:16
	global_load_b128 v[26:29], v[32:33], off
	s_wait_xcnt 0x1
	v_lshl_add_u64 v[30:31], v[10:11], 3, s[8:9]
	v_add_nc_u32_e32 v10, 2, v42
	global_load_b128 v[30:33], v[30:31], off
	s_wait_loadcnt 0x3
	v_mov_b32_e32 v55, v20
	v_lshl_add_u64 v[34:35], v[10:11], 3, s[10:11]
	v_add_nc_u32_e32 v10, -4, v12
	s_wait_loadcnt 0x1
	v_pk_fma_f32 v[0:1], v[18:19], v[26:27], v[0:1] op_sel_hi:[1,0,1]
	v_xor_b32_e32 v54, 0x80000000, v21
	v_pk_fma_f32 v[8:9], v[20:21], v[26:27], v[8:9] op_sel_hi:[1,0,1]
	global_load_b128 v[34:37], v[34:35], off
	v_pk_fma_f32 v[0:1], v[18:19], v[26:27], v[0:1] op_sel:[1,1,0] op_sel_hi:[0,1,1] neg_lo:[1,0,0]
	v_mov_b32_e32 v19, v24
	v_lshl_add_u64 v[38:39], v[10:11], 3, s[8:9]
	v_add_nc_u32_e32 v10, -2, v12
	v_pk_fma_f32 v[8:9], v[54:55], v[26:27], v[8:9] op_sel:[0,1,0]
	v_xor_b32_e32 v18, 0x80000000, v25
	v_pk_fma_f32 v[0:1], v[22:23], v[28:29], v[0:1] op_sel_hi:[1,0,1]
	global_load_b128 v[38:41], v[38:39], off
	v_lshl_add_u64 v[50:51], v[10:11], 3, s[8:9]
	v_add_nc_u32_e32 v10, 4, v42
	v_pk_fma_f32 v[8:9], v[24:25], v[28:29], v[8:9] op_sel_hi:[1,0,1]
	s_delay_alu instid0(VALU_DEP_2)
	v_lshl_add_u64 v[52:53], v[10:11], 3, s[10:11]
	global_load_b128 v[42:45], v[50:51], off
	global_load_b128 v[46:49], v[52:53], off
	s_wait_xcnt 0x1
	v_lshl_add_u64 v[50:51], v[12:13], 3, s[8:9]
	v_mov_b32_e32 v10, v29
	v_add_nc_u32_e32 v12, 0xc0, v12
	global_load_b128 v[50:53], v[50:51], off
	v_pk_fma_f32 v[0:1], v[22:23], v[10:11], v[0:1] op_sel:[1,0,0] op_sel_hi:[0,0,1] neg_lo:[1,0,0]
	v_pk_fma_f32 v[8:9], v[18:19], v[10:11], v[8:9] op_sel_hi:[1,0,1]
	s_wait_loadcnt 0x5
	v_xor_b32_e32 v18, 0x80000000, v33
	v_mov_b32_e32 v19, v32
	s_wait_loadcnt 0x4
	v_pk_fma_f32 v[0:1], v[30:31], v[34:35], v[0:1] op_sel_hi:[1,0,1]
	v_pk_fma_f32 v[8:9], v[32:33], v[34:35], v[8:9] op_sel_hi:[1,0,1]
	v_mov_b32_e32 v10, v37
	s_delay_alu instid0(VALU_DEP_3) | instskip(NEXT) | instid1(VALU_DEP_3)
	v_pk_fma_f32 v[0:1], v[30:31], v[34:35], v[0:1] op_sel:[1,1,0] op_sel_hi:[0,1,1] neg_lo:[1,0,0]
	v_pk_fma_f32 v[8:9], v[18:19], v[34:35], v[8:9] op_sel:[0,1,0]
	s_wait_loadcnt 0x3
	v_xor_b32_e32 v18, 0x80000000, v41
	v_mov_b32_e32 v19, v40
	v_pk_fma_f32 v[0:1], v[38:39], v[36:37], v[0:1] op_sel_hi:[1,0,1]
	v_pk_fma_f32 v[8:9], v[40:41], v[36:37], v[8:9] op_sel_hi:[1,0,1]
	s_delay_alu instid0(VALU_DEP_2) | instskip(NEXT) | instid1(VALU_DEP_2)
	v_pk_fma_f32 v[0:1], v[38:39], v[10:11], v[0:1] op_sel:[1,0,0] op_sel_hi:[0,0,1] neg_lo:[1,0,0]
	v_pk_fma_f32 v[8:9], v[18:19], v[10:11], v[8:9] op_sel_hi:[1,0,1]
	s_wait_loadcnt 0x2
	v_xor_b32_e32 v18, 0x80000000, v45
	v_mov_b32_e32 v19, v44
	s_wait_loadcnt 0x1
	v_pk_fma_f32 v[0:1], v[42:43], v[46:47], v[0:1] op_sel_hi:[1,0,1]
	v_pk_fma_f32 v[8:9], v[44:45], v[46:47], v[8:9] op_sel_hi:[1,0,1]
	v_mov_b32_e32 v10, v49
	s_delay_alu instid0(VALU_DEP_3) | instskip(NEXT) | instid1(VALU_DEP_3)
	v_pk_fma_f32 v[0:1], v[42:43], v[46:47], v[0:1] op_sel:[1,1,0] op_sel_hi:[0,1,1] neg_lo:[1,0,0]
	v_pk_fma_f32 v[8:9], v[18:19], v[46:47], v[8:9] op_sel:[0,1,0]
	s_wait_loadcnt 0x0
	v_xor_b32_e32 v18, 0x80000000, v53
	v_mov_b32_e32 v19, v52
	v_pk_fma_f32 v[0:1], v[50:51], v[48:49], v[0:1] op_sel_hi:[1,0,1]
	v_pk_fma_f32 v[8:9], v[52:53], v[48:49], v[8:9] op_sel_hi:[1,0,1]
	s_delay_alu instid0(VALU_DEP_2) | instskip(NEXT) | instid1(VALU_DEP_2)
	v_pk_fma_f32 v[0:1], v[50:51], v[10:11], v[0:1] op_sel:[1,0,0] op_sel_hi:[0,0,1] neg_lo:[1,0,0]
	v_pk_fma_f32 v[8:9], v[18:19], v[10:11], v[8:9] op_sel_hi:[1,0,1]
	s_and_not1_b32 exec_lo, exec_lo, s4
	s_cbranch_execnz .LBB174_5
; %bb.6:
	s_or_b32 exec_lo, exec_lo, s4
.LBB174_7:
	s_delay_alu instid0(SALU_CYCLE_1)
	s_or_b32 exec_lo, exec_lo, s3
	s_cbranch_execz .LBB174_9
	s_branch .LBB174_14
.LBB174_8:
                                        ; implicit-def: $vgpr1
                                        ; implicit-def: $vgpr9
.LBB174_9:
	v_mov_b32_e32 v1, 0
	s_delay_alu instid0(VALU_DEP_1)
	v_dual_mov_b32 v0, v1 :: v_dual_mov_b32 v9, v1
	v_mov_b32_e32 v8, v1
	s_and_saveexec_b32 s3, s2
	s_cbranch_execz .LBB174_13
; %bb.10:
	v_mad_u32 v12, v15, 12, 11
	v_mov_b32_e32 v11, 0
	s_mov_b32 s2, 0
	s_delay_alu instid0(VALU_DEP_1)
	v_dual_mov_b32 v8, v11 :: v_dual_mov_b32 v9, v11
	v_dual_mov_b32 v0, v11 :: v_dual_mov_b32 v1, v11
.LBB174_11:                             ; =>This Inner Loop Header: Depth=1
	global_load_b32 v10, v15, s[6:7] scale_offset
	v_dual_add_nc_u32 v13, -5, v12 :: v_dual_mov_b32 v33, v11
	s_wait_xcnt 0x0
	v_dual_add_nc_u32 v54, -1, v12 :: v_dual_add_nc_u32 v15, 16, v15
	s_delay_alu instid0(VALU_DEP_1) | instskip(SKIP_3) | instid1(VALU_DEP_1)
	v_cmp_ge_i32_e32 vcc_lo, v15, v14
	s_or_b32 s2, vcc_lo, s2
	s_wait_loadcnt 0x0
	v_subrev_nc_u32_e32 v10, s12, v10
	v_mul_lo_u32 v32, v10, 6
	v_add_nc_u32_e32 v10, -11, v12
	s_delay_alu instid0(VALU_DEP_1) | instskip(SKIP_1) | instid1(VALU_DEP_4)
	v_lshl_add_u64 v[34:35], v[10:11], 3, s[8:9]
	v_add_nc_u32_e32 v10, -4, v12
	v_lshl_add_u64 v[24:25], v[32:33], 3, s[10:11]
	s_clause 0x1
	global_load_b128 v[16:19], v[34:35], off
	global_load_b64 v[36:37], v13, s[8:9] scale_offset
	global_load_b128 v[20:23], v[24:25], off
	global_load_b64 v[38:39], v10, s[8:9] scale_offset
	s_wait_xcnt 0x0
	v_add_nc_u32_e32 v10, 2, v32
	v_add_nc_u32_e32 v13, -3, v12
	s_wait_loadcnt 0x1
	v_pk_fma_f32 v[0:1], v[16:17], v[20:21], v[0:1] op_sel_hi:[1,0,1]
	v_pk_fma_f32 v[8:9], v[36:37], v[20:21], v[8:9] op_sel_hi:[1,0,1]
	s_delay_alu instid0(VALU_DEP_2)
	v_pk_fma_f32 v[0:1], v[16:17], v[20:21], v[0:1] op_sel:[1,1,0] op_sel_hi:[0,1,1] neg_lo:[1,0,0]
	v_mov_b32_e32 v17, v18
	v_lshl_add_u64 v[40:41], v[10:11], 3, s[10:11]
	v_add_nc_u32_e32 v10, -7, v12
	s_clause 0x1
	global_load_b64 v[42:43], v13, s[8:9] scale_offset
	global_load_b128 v[24:27], v[34:35], off offset:16
	global_load_b128 v[28:31], v[40:41], off
	s_wait_xcnt 0x2
	v_add_nc_u32_e32 v13, -2, v12
	s_clause 0x1
	global_load_b64 v[40:41], v10, s[8:9] scale_offset
	global_load_b64 v[44:45], v13, s[8:9] scale_offset
	s_wait_xcnt 0x1
	v_add_nc_u32_e32 v10, 4, v32
	s_wait_xcnt 0x0
	v_add_nc_u32_e32 v13, -6, v12
	v_pk_fma_f32 v[8:9], v[36:37], v[20:21], v[8:9] op_sel:[1,1,0] op_sel_hi:[0,1,1] neg_lo:[1,0,0]
	v_xor_b32_e32 v16, 0x80000000, v19
	v_pk_fma_f32 v[0:1], v[18:19], v[22:23], v[0:1] op_sel_hi:[1,0,1]
	v_lshl_add_u64 v[46:47], v[10:11], 3, s[10:11]
	v_mov_b32_e32 v10, v23
	s_clause 0x2
	global_load_b64 v[48:49], v13, s[8:9] scale_offset
	global_load_b64 v[50:51], v12, s[8:9] scale_offset
	;; [unrolled: 1-line block ×3, first 2 shown]
	global_load_b128 v[32:35], v[46:47], off
	s_wait_loadcnt 0x9
	v_pk_fma_f32 v[8:9], v[38:39], v[22:23], v[8:9] op_sel_hi:[1,0,1]
	s_wait_xcnt 0x2
	v_add_nc_u32_e32 v12, 0xc0, v12
	v_pk_fma_f32 v[0:1], v[16:17], v[10:11], v[0:1] op_sel_hi:[1,0,1]
	s_delay_alu instid0(VALU_DEP_3)
	v_pk_fma_f32 v[8:9], v[38:39], v[10:11], v[8:9] op_sel:[1,0,0] op_sel_hi:[0,0,1] neg_lo:[1,0,0]
	s_wait_loadcnt 0x7
	v_xor_b32_e32 v16, 0x80000000, v27
	s_wait_loadcnt 0x6
	v_pk_fma_f32 v[0:1], v[24:25], v[28:29], v[0:1] op_sel_hi:[1,0,1]
	v_pk_fma_f32 v[8:9], v[42:43], v[28:29], v[8:9] op_sel_hi:[1,0,1]
	v_dual_mov_b32 v17, v26 :: v_dual_mov_b32 v10, v31
	s_delay_alu instid0(VALU_DEP_3) | instskip(NEXT) | instid1(VALU_DEP_3)
	v_pk_fma_f32 v[0:1], v[24:25], v[28:29], v[0:1] op_sel:[1,1,0] op_sel_hi:[0,1,1] neg_lo:[1,0,0]
	v_pk_fma_f32 v[8:9], v[42:43], v[28:29], v[8:9] op_sel:[1,1,0] op_sel_hi:[0,1,1] neg_lo:[1,0,0]
	s_delay_alu instid0(VALU_DEP_2) | instskip(SKIP_1) | instid1(VALU_DEP_2)
	v_pk_fma_f32 v[0:1], v[26:27], v[30:31], v[0:1] op_sel_hi:[1,0,1]
	s_wait_loadcnt 0x4
	v_pk_fma_f32 v[8:9], v[44:45], v[30:31], v[8:9] op_sel_hi:[1,0,1]
	s_delay_alu instid0(VALU_DEP_2) | instskip(NEXT) | instid1(VALU_DEP_2)
	v_pk_fma_f32 v[0:1], v[16:17], v[10:11], v[0:1] op_sel_hi:[1,0,1]
	v_pk_fma_f32 v[8:9], v[44:45], v[10:11], v[8:9] op_sel:[1,0,0] op_sel_hi:[0,0,1] neg_lo:[1,0,0]
	s_wait_loadcnt 0x0
	v_mov_b32_e32 v10, v35
	s_delay_alu instid0(VALU_DEP_3) | instskip(NEXT) | instid1(VALU_DEP_3)
	v_pk_fma_f32 v[0:1], v[40:41], v[32:33], v[0:1] op_sel_hi:[1,0,1]
	v_pk_fma_f32 v[8:9], v[52:53], v[32:33], v[8:9] op_sel_hi:[1,0,1]
	s_delay_alu instid0(VALU_DEP_2) | instskip(NEXT) | instid1(VALU_DEP_2)
	v_pk_fma_f32 v[0:1], v[40:41], v[32:33], v[0:1] op_sel:[1,1,0] op_sel_hi:[0,1,1] neg_lo:[1,0,0]
	v_pk_fma_f32 v[8:9], v[52:53], v[32:33], v[8:9] op_sel:[1,1,0] op_sel_hi:[0,1,1] neg_lo:[1,0,0]
	s_delay_alu instid0(VALU_DEP_2) | instskip(NEXT) | instid1(VALU_DEP_2)
	v_pk_fma_f32 v[0:1], v[48:49], v[34:35], v[0:1] op_sel_hi:[1,0,1]
	v_pk_fma_f32 v[8:9], v[50:51], v[34:35], v[8:9] op_sel_hi:[1,0,1]
	s_delay_alu instid0(VALU_DEP_2) | instskip(NEXT) | instid1(VALU_DEP_2)
	v_pk_fma_f32 v[0:1], v[48:49], v[10:11], v[0:1] op_sel:[1,0,0] op_sel_hi:[0,0,1] neg_lo:[1,0,0]
	v_pk_fma_f32 v[8:9], v[50:51], v[10:11], v[8:9] op_sel:[1,0,0] op_sel_hi:[0,0,1] neg_lo:[1,0,0]
	s_and_not1_b32 exec_lo, exec_lo, s2
	s_cbranch_execnz .LBB174_11
; %bb.12:
	s_or_b32 exec_lo, exec_lo, s2
.LBB174_13:
	s_delay_alu instid0(SALU_CYCLE_1)
	s_or_b32 exec_lo, exec_lo, s3
.LBB174_14:
	v_mbcnt_lo_u32_b32 v10, -1, 0
	s_delay_alu instid0(VALU_DEP_1) | instskip(SKIP_1) | instid1(VALU_DEP_1)
	v_xor_b32_e32 v15, 4, v10
	v_xor_b32_e32 v11, 8, v10
	v_cmp_gt_i32_e32 vcc_lo, 32, v11
	v_cndmask_b32_e32 v11, v10, v11, vcc_lo
	s_delay_alu instid0(VALU_DEP_1)
	v_lshlrev_b32_e32 v11, 2, v11
	ds_bpermute_b32 v13, v11, v1
	s_wait_dscnt 0x0
	v_add_f32_e32 v1, v1, v13
	ds_bpermute_b32 v12, v11, v0
	ds_bpermute_b32 v14, v11, v8
	;; [unrolled: 1-line block ×3, first 2 shown]
	s_wait_dscnt 0x2
	v_add_f32_e32 v0, v0, v12
	s_wait_dscnt 0x0
	v_dual_add_f32 v8, v8, v14 :: v_dual_add_f32 v9, v9, v11
	v_cmp_gt_i32_e32 vcc_lo, 32, v15
	v_cndmask_b32_e32 v15, v10, v15, vcc_lo
	s_delay_alu instid0(VALU_DEP_1)
	v_lshlrev_b32_e32 v15, 2, v15
	ds_bpermute_b32 v11, v15, v0
	ds_bpermute_b32 v12, v15, v1
	ds_bpermute_b32 v13, v15, v8
	ds_bpermute_b32 v14, v15, v9
	s_wait_dscnt 0x3
	v_dual_add_f32 v0, v0, v11 :: v_dual_bitop2_b32 v15, 2, v10 bitop3:0x14
	s_delay_alu instid0(VALU_DEP_1)
	v_cmp_gt_i32_e32 vcc_lo, 32, v15
	s_wait_dscnt 0x2
	v_add_f32_e32 v1, v1, v12
	s_wait_dscnt 0x0
	v_dual_add_f32 v9, v9, v14 :: v_dual_add_f32 v11, v8, v13
	v_cndmask_b32_e32 v15, v10, v15, vcc_lo
	s_delay_alu instid0(VALU_DEP_1)
	v_lshlrev_b32_e32 v15, 2, v15
	ds_bpermute_b32 v8, v15, v0
	ds_bpermute_b32 v12, v15, v1
	;; [unrolled: 1-line block ×4, first 2 shown]
	s_wait_dscnt 0x3
	v_dual_add_f32 v0, v0, v8 :: v_dual_bitop2_b32 v15, 1, v10 bitop3:0x14
	s_delay_alu instid0(VALU_DEP_1)
	v_cmp_gt_i32_e32 vcc_lo, 32, v15
	s_wait_dscnt 0x2
	v_dual_add_f32 v8, v1, v12 :: v_dual_cndmask_b32 v10, v10, v15, vcc_lo
	s_wait_dscnt 0x0
	v_dual_add_f32 v1, v11, v13 :: v_dual_add_f32 v9, v9, v14
	v_cmp_eq_u32_e32 vcc_lo, 15, v7
	s_delay_alu instid0(VALU_DEP_3)
	v_lshlrev_b32_e32 v15, 2, v10
	ds_bpermute_b32 v12, v15, v0
	ds_bpermute_b32 v13, v15, v8
	;; [unrolled: 1-line block ×4, first 2 shown]
	s_and_b32 exec_lo, exec_lo, vcc_lo
	s_cbranch_execz .LBB174_19
; %bb.15:
	s_load_b64 s[2:3], s[0:1], 0x38
	v_cmp_eq_f32_e32 vcc_lo, 0, v4
	s_wait_xcnt 0x0
	v_cmp_eq_f32_e64 s0, 0, v5
	s_wait_dscnt 0x3
	v_add_f32_e32 v0, v0, v12
	s_wait_dscnt 0x1
	v_dual_add_f32 v12, v8, v13 :: v_dual_add_f32 v8, v1, v10
	s_wait_dscnt 0x0
	v_add_f32_e32 v10, v9, v11
	s_and_b32 s0, vcc_lo, s0
	s_delay_alu instid0(SALU_CYCLE_1) | instskip(NEXT) | instid1(SALU_CYCLE_1)
	s_and_saveexec_b32 s1, s0
	s_xor_b32 s0, exec_lo, s1
	s_cbranch_execz .LBB174_17
; %bb.16:
	v_xor_b32_e32 v4, 0x80000000, v3
	v_dual_mov_b32 v5, v2 :: v_dual_lshlrev_b32 v6, 1, v6
	s_delay_alu instid0(VALU_DEP_1) | instskip(NEXT) | instid1(VALU_DEP_2)
	v_ashrrev_i32_e32 v7, 31, v6
	v_pk_mul_f32 v[12:13], v[12:13], v[4:5] op_sel_hi:[0,1]
	v_pk_mul_f32 v[4:5], v[10:11], v[4:5] op_sel_hi:[0,1]
                                        ; implicit-def: $vgpr10
	s_wait_kmcnt 0x0
	s_delay_alu instid0(VALU_DEP_3) | instskip(NEXT) | instid1(VALU_DEP_3)
	v_lshl_add_u64 v[6:7], v[6:7], 3, s[2:3]
	v_pk_fma_f32 v[0:1], v[2:3], v[0:1], v[12:13] op_sel_hi:[1,0,1]
	s_delay_alu instid0(VALU_DEP_3)
	v_pk_fma_f32 v[2:3], v[2:3], v[8:9], v[4:5] op_sel_hi:[1,0,1]
                                        ; implicit-def: $vgpr4_vgpr5
                                        ; implicit-def: $vgpr12
                                        ; implicit-def: $vgpr8
	global_store_b128 v[6:7], v[0:3], off
                                        ; implicit-def: $vgpr6
                                        ; implicit-def: $vgpr2_vgpr3
                                        ; implicit-def: $vgpr0
.LBB174_17:
	s_wait_xcnt 0x0
	s_and_not1_saveexec_b32 s0, s0
	s_cbranch_execz .LBB174_19
; %bb.18:
	v_dual_mov_b32 v19, v2 :: v_dual_lshlrev_b32 v6, 1, v6
	v_xor_b32_e32 v18, 0x80000000, v3
	s_delay_alu instid0(VALU_DEP_2) | instskip(NEXT) | instid1(VALU_DEP_2)
	v_ashrrev_i32_e32 v7, 31, v6
	v_pk_mul_f32 v[12:13], v[12:13], v[18:19] op_sel_hi:[0,1]
	v_pk_mul_f32 v[10:11], v[10:11], v[18:19] op_sel_hi:[0,1]
	s_delay_alu instid0(VALU_DEP_2) | instskip(NEXT) | instid1(VALU_DEP_2)
	v_pk_fma_f32 v[0:1], v[2:3], v[0:1], v[12:13] op_sel_hi:[1,0,1]
	v_pk_fma_f32 v[2:3], v[2:3], v[8:9], v[10:11] op_sel_hi:[1,0,1]
	v_mov_b32_e32 v9, v4
	s_wait_kmcnt 0x0
	v_lshl_add_u64 v[6:7], v[6:7], 3, s[2:3]
	v_xor_b32_e32 v8, 0x80000000, v5
	global_load_b128 v[14:17], v[6:7], off
	s_wait_loadcnt 0x0
	v_pk_fma_f32 v[0:1], v[4:5], v[14:15], v[0:1] op_sel_hi:[1,0,1]
	v_pk_fma_f32 v[2:3], v[4:5], v[16:17], v[2:3] op_sel_hi:[1,0,1]
	v_mov_b32_e32 v4, v17
	s_delay_alu instid0(VALU_DEP_3) | instskip(NEXT) | instid1(VALU_DEP_2)
	v_pk_fma_f32 v[0:1], v[8:9], v[14:15], v[0:1] op_sel:[0,1,0]
	v_pk_fma_f32 v[2:3], v[8:9], v[4:5], v[2:3] op_sel_hi:[1,0,1]
	global_store_b128 v[6:7], v[0:3], off
.LBB174_19:
	s_endpgm
	.section	.rodata,"a",@progbits
	.p2align	6, 0x0
	.amdhsa_kernel _ZN9rocsparseL19gebsrmvn_2xn_kernelILj128ELj6ELj16E21rocsparse_complex_numIfEEEvi20rocsparse_direction_NS_24const_host_device_scalarIT2_EEPKiS8_PKS5_SA_S6_PS5_21rocsparse_index_base_b
		.amdhsa_group_segment_fixed_size 0
		.amdhsa_private_segment_fixed_size 0
		.amdhsa_kernarg_size 72
		.amdhsa_user_sgpr_count 2
		.amdhsa_user_sgpr_dispatch_ptr 0
		.amdhsa_user_sgpr_queue_ptr 0
		.amdhsa_user_sgpr_kernarg_segment_ptr 1
		.amdhsa_user_sgpr_dispatch_id 0
		.amdhsa_user_sgpr_kernarg_preload_length 0
		.amdhsa_user_sgpr_kernarg_preload_offset 0
		.amdhsa_user_sgpr_private_segment_size 0
		.amdhsa_wavefront_size32 1
		.amdhsa_uses_dynamic_stack 0
		.amdhsa_enable_private_segment 0
		.amdhsa_system_sgpr_workgroup_id_x 1
		.amdhsa_system_sgpr_workgroup_id_y 0
		.amdhsa_system_sgpr_workgroup_id_z 0
		.amdhsa_system_sgpr_workgroup_info 0
		.amdhsa_system_vgpr_workitem_id 0
		.amdhsa_next_free_vgpr 56
		.amdhsa_next_free_sgpr 14
		.amdhsa_named_barrier_count 0
		.amdhsa_reserve_vcc 1
		.amdhsa_float_round_mode_32 0
		.amdhsa_float_round_mode_16_64 0
		.amdhsa_float_denorm_mode_32 3
		.amdhsa_float_denorm_mode_16_64 3
		.amdhsa_fp16_overflow 0
		.amdhsa_memory_ordered 1
		.amdhsa_forward_progress 1
		.amdhsa_inst_pref_size 19
		.amdhsa_round_robin_scheduling 0
		.amdhsa_exception_fp_ieee_invalid_op 0
		.amdhsa_exception_fp_denorm_src 0
		.amdhsa_exception_fp_ieee_div_zero 0
		.amdhsa_exception_fp_ieee_overflow 0
		.amdhsa_exception_fp_ieee_underflow 0
		.amdhsa_exception_fp_ieee_inexact 0
		.amdhsa_exception_int_div_zero 0
	.end_amdhsa_kernel
	.section	.text._ZN9rocsparseL19gebsrmvn_2xn_kernelILj128ELj6ELj16E21rocsparse_complex_numIfEEEvi20rocsparse_direction_NS_24const_host_device_scalarIT2_EEPKiS8_PKS5_SA_S6_PS5_21rocsparse_index_base_b,"axG",@progbits,_ZN9rocsparseL19gebsrmvn_2xn_kernelILj128ELj6ELj16E21rocsparse_complex_numIfEEEvi20rocsparse_direction_NS_24const_host_device_scalarIT2_EEPKiS8_PKS5_SA_S6_PS5_21rocsparse_index_base_b,comdat
.Lfunc_end174:
	.size	_ZN9rocsparseL19gebsrmvn_2xn_kernelILj128ELj6ELj16E21rocsparse_complex_numIfEEEvi20rocsparse_direction_NS_24const_host_device_scalarIT2_EEPKiS8_PKS5_SA_S6_PS5_21rocsparse_index_base_b, .Lfunc_end174-_ZN9rocsparseL19gebsrmvn_2xn_kernelILj128ELj6ELj16E21rocsparse_complex_numIfEEEvi20rocsparse_direction_NS_24const_host_device_scalarIT2_EEPKiS8_PKS5_SA_S6_PS5_21rocsparse_index_base_b
                                        ; -- End function
	.set _ZN9rocsparseL19gebsrmvn_2xn_kernelILj128ELj6ELj16E21rocsparse_complex_numIfEEEvi20rocsparse_direction_NS_24const_host_device_scalarIT2_EEPKiS8_PKS5_SA_S6_PS5_21rocsparse_index_base_b.num_vgpr, 56
	.set _ZN9rocsparseL19gebsrmvn_2xn_kernelILj128ELj6ELj16E21rocsparse_complex_numIfEEEvi20rocsparse_direction_NS_24const_host_device_scalarIT2_EEPKiS8_PKS5_SA_S6_PS5_21rocsparse_index_base_b.num_agpr, 0
	.set _ZN9rocsparseL19gebsrmvn_2xn_kernelILj128ELj6ELj16E21rocsparse_complex_numIfEEEvi20rocsparse_direction_NS_24const_host_device_scalarIT2_EEPKiS8_PKS5_SA_S6_PS5_21rocsparse_index_base_b.numbered_sgpr, 14
	.set _ZN9rocsparseL19gebsrmvn_2xn_kernelILj128ELj6ELj16E21rocsparse_complex_numIfEEEvi20rocsparse_direction_NS_24const_host_device_scalarIT2_EEPKiS8_PKS5_SA_S6_PS5_21rocsparse_index_base_b.num_named_barrier, 0
	.set _ZN9rocsparseL19gebsrmvn_2xn_kernelILj128ELj6ELj16E21rocsparse_complex_numIfEEEvi20rocsparse_direction_NS_24const_host_device_scalarIT2_EEPKiS8_PKS5_SA_S6_PS5_21rocsparse_index_base_b.private_seg_size, 0
	.set _ZN9rocsparseL19gebsrmvn_2xn_kernelILj128ELj6ELj16E21rocsparse_complex_numIfEEEvi20rocsparse_direction_NS_24const_host_device_scalarIT2_EEPKiS8_PKS5_SA_S6_PS5_21rocsparse_index_base_b.uses_vcc, 1
	.set _ZN9rocsparseL19gebsrmvn_2xn_kernelILj128ELj6ELj16E21rocsparse_complex_numIfEEEvi20rocsparse_direction_NS_24const_host_device_scalarIT2_EEPKiS8_PKS5_SA_S6_PS5_21rocsparse_index_base_b.uses_flat_scratch, 1
	.set _ZN9rocsparseL19gebsrmvn_2xn_kernelILj128ELj6ELj16E21rocsparse_complex_numIfEEEvi20rocsparse_direction_NS_24const_host_device_scalarIT2_EEPKiS8_PKS5_SA_S6_PS5_21rocsparse_index_base_b.has_dyn_sized_stack, 0
	.set _ZN9rocsparseL19gebsrmvn_2xn_kernelILj128ELj6ELj16E21rocsparse_complex_numIfEEEvi20rocsparse_direction_NS_24const_host_device_scalarIT2_EEPKiS8_PKS5_SA_S6_PS5_21rocsparse_index_base_b.has_recursion, 0
	.set _ZN9rocsparseL19gebsrmvn_2xn_kernelILj128ELj6ELj16E21rocsparse_complex_numIfEEEvi20rocsparse_direction_NS_24const_host_device_scalarIT2_EEPKiS8_PKS5_SA_S6_PS5_21rocsparse_index_base_b.has_indirect_call, 0
	.section	.AMDGPU.csdata,"",@progbits
; Kernel info:
; codeLenInByte = 2408
; TotalNumSgprs: 16
; NumVgprs: 56
; ScratchSize: 0
; MemoryBound: 0
; FloatMode: 240
; IeeeMode: 1
; LDSByteSize: 0 bytes/workgroup (compile time only)
; SGPRBlocks: 0
; VGPRBlocks: 3
; NumSGPRsForWavesPerEU: 16
; NumVGPRsForWavesPerEU: 56
; NamedBarCnt: 0
; Occupancy: 16
; WaveLimiterHint : 1
; COMPUTE_PGM_RSRC2:SCRATCH_EN: 0
; COMPUTE_PGM_RSRC2:USER_SGPR: 2
; COMPUTE_PGM_RSRC2:TRAP_HANDLER: 0
; COMPUTE_PGM_RSRC2:TGID_X_EN: 1
; COMPUTE_PGM_RSRC2:TGID_Y_EN: 0
; COMPUTE_PGM_RSRC2:TGID_Z_EN: 0
; COMPUTE_PGM_RSRC2:TIDIG_COMP_CNT: 0
	.section	.text._ZN9rocsparseL19gebsrmvn_2xn_kernelILj128ELj6ELj32E21rocsparse_complex_numIfEEEvi20rocsparse_direction_NS_24const_host_device_scalarIT2_EEPKiS8_PKS5_SA_S6_PS5_21rocsparse_index_base_b,"axG",@progbits,_ZN9rocsparseL19gebsrmvn_2xn_kernelILj128ELj6ELj32E21rocsparse_complex_numIfEEEvi20rocsparse_direction_NS_24const_host_device_scalarIT2_EEPKiS8_PKS5_SA_S6_PS5_21rocsparse_index_base_b,comdat
	.globl	_ZN9rocsparseL19gebsrmvn_2xn_kernelILj128ELj6ELj32E21rocsparse_complex_numIfEEEvi20rocsparse_direction_NS_24const_host_device_scalarIT2_EEPKiS8_PKS5_SA_S6_PS5_21rocsparse_index_base_b ; -- Begin function _ZN9rocsparseL19gebsrmvn_2xn_kernelILj128ELj6ELj32E21rocsparse_complex_numIfEEEvi20rocsparse_direction_NS_24const_host_device_scalarIT2_EEPKiS8_PKS5_SA_S6_PS5_21rocsparse_index_base_b
	.p2align	8
	.type	_ZN9rocsparseL19gebsrmvn_2xn_kernelILj128ELj6ELj32E21rocsparse_complex_numIfEEEvi20rocsparse_direction_NS_24const_host_device_scalarIT2_EEPKiS8_PKS5_SA_S6_PS5_21rocsparse_index_base_b,@function
_ZN9rocsparseL19gebsrmvn_2xn_kernelILj128ELj6ELj32E21rocsparse_complex_numIfEEEvi20rocsparse_direction_NS_24const_host_device_scalarIT2_EEPKiS8_PKS5_SA_S6_PS5_21rocsparse_index_base_b: ; @_ZN9rocsparseL19gebsrmvn_2xn_kernelILj128ELj6ELj32E21rocsparse_complex_numIfEEEvi20rocsparse_direction_NS_24const_host_device_scalarIT2_EEPKiS8_PKS5_SA_S6_PS5_21rocsparse_index_base_b
; %bb.0:
	s_clause 0x2
	s_load_b64 s[12:13], s[0:1], 0x40
	s_load_b64 s[2:3], s[0:1], 0x8
	;; [unrolled: 1-line block ×3, first 2 shown]
	v_mov_b32_e32 v1, 0
	s_add_nc_u64 s[6:7], s[0:1], 8
	s_add_nc_u64 s[8:9], s[0:1], 48
	s_wait_kmcnt 0x0
	s_bitcmp1_b32 s13, 0
	s_cselect_b32 s3, s7, s3
	s_cselect_b32 s2, s6, s2
	;; [unrolled: 1-line block ×4, first 2 shown]
	s_clause 0x1
	flat_load_b64 v[2:3], v1, s[2:3]
	flat_load_b64 v[4:5], v1, s[4:5]
	s_wait_loadcnt_dscnt 0x101
	v_cmp_eq_f32_e32 vcc_lo, 0, v2
	v_cmp_eq_f32_e64 s2, 0, v3
	s_wait_loadcnt_dscnt 0x0
	v_cmp_eq_f32_e64 s3, 1.0, v4
	v_cmp_eq_f32_e64 s4, 0, v5
	s_and_b32 s2, vcc_lo, s2
	s_and_b32 s3, s3, s4
	s_delay_alu instid0(SALU_CYCLE_1) | instskip(NEXT) | instid1(SALU_CYCLE_1)
	s_and_b32 s2, s2, s3
	s_xor_b32 s2, s2, -1
	s_delay_alu instid0(SALU_CYCLE_1)
	s_and_saveexec_b32 s3, s2
	s_cbranch_execz .LBB175_19
; %bb.1:
	s_load_b64 s[2:3], s[0:1], 0x0
	s_bfe_u32 s4, ttmp6, 0x4000c
	s_and_b32 s5, ttmp6, 15
	s_add_co_i32 s4, s4, 1
	s_getreg_b32 s6, hwreg(HW_REG_IB_STS2, 6, 4)
	s_mul_i32 s4, ttmp9, s4
	v_lshrrev_b32_e32 v1, 5, v0
	s_add_co_i32 s5, s5, s4
	s_cmp_eq_u32 s6, 0
	s_cselect_b32 s4, ttmp9, s5
	s_delay_alu instid0(VALU_DEP_1) | instid1(SALU_CYCLE_1)
	v_lshl_or_b32 v6, s4, 2, v1
	s_wait_kmcnt 0x0
	s_delay_alu instid0(VALU_DEP_1)
	v_cmp_gt_i32_e32 vcc_lo, s2, v6
	s_and_b32 exec_lo, exec_lo, vcc_lo
	s_cbranch_execz .LBB175_19
; %bb.2:
	s_load_b256 s[4:11], s[0:1], 0x10
	v_ashrrev_i32_e32 v7, 31, v6
	s_cmp_lg_u32 s3, 0
	s_wait_kmcnt 0x0
	s_delay_alu instid0(VALU_DEP_1)
	v_lshl_add_u64 v[8:9], v[6:7], 2, s[4:5]
	v_and_b32_e32 v7, 31, v0
	global_load_b64 v[8:9], v[8:9], off
	s_wait_loadcnt 0x0
	v_subrev_nc_u32_e32 v0, s12, v8
	v_subrev_nc_u32_e32 v14, s12, v9
	s_delay_alu instid0(VALU_DEP_2) | instskip(NEXT) | instid1(VALU_DEP_1)
	v_add_nc_u32_e32 v15, v0, v7
	v_cmp_lt_i32_e64 s2, v15, v14
	s_cbranch_scc0 .LBB175_8
; %bb.3:
	v_mov_b32_e32 v1, 0
	s_delay_alu instid0(VALU_DEP_1)
	v_dual_mov_b32 v0, v1 :: v_dual_mov_b32 v9, v1
	v_mov_b32_e32 v8, v1
	s_and_saveexec_b32 s3, s2
	s_cbranch_execz .LBB175_7
; %bb.4:
	v_mad_u32 v12, v15, 12, 10
	v_dual_mov_b32 v11, 0 :: v_dual_mov_b32 v16, v15
	s_mov_b32 s4, 0
	s_delay_alu instid0(VALU_DEP_1)
	v_dual_mov_b32 v8, v11 :: v_dual_mov_b32 v9, v11
	v_dual_mov_b32 v0, v11 :: v_dual_mov_b32 v1, v11
.LBB175_5:                              ; =>This Inner Loop Header: Depth=1
	global_load_b32 v10, v16, s[6:7] scale_offset
	v_dual_mov_b32 v43, v11 :: v_dual_mov_b32 v13, v11
	s_wait_xcnt 0x0
	v_add_nc_u32_e32 v16, 32, v16
	s_delay_alu instid0(VALU_DEP_1) | instskip(SKIP_3) | instid1(VALU_DEP_1)
	v_cmp_ge_i32_e32 vcc_lo, v16, v14
	s_or_b32 s4, vcc_lo, s4
	s_wait_loadcnt 0x0
	v_subrev_nc_u32_e32 v10, s12, v10
	v_mul_lo_u32 v42, v10, 6
	v_add_nc_u32_e32 v10, -10, v12
	s_delay_alu instid0(VALU_DEP_1) | instskip(SKIP_1) | instid1(VALU_DEP_4)
	v_lshl_add_u64 v[30:31], v[10:11], 3, s[8:9]
	v_add_nc_u32_e32 v10, -6, v12
	v_lshl_add_u64 v[32:33], v[42:43], 3, s[10:11]
	s_clause 0x1
	global_load_b128 v[18:21], v[30:31], off
	global_load_b128 v[22:25], v[30:31], off offset:16
	global_load_b128 v[26:29], v[32:33], off
	s_wait_xcnt 0x1
	v_lshl_add_u64 v[30:31], v[10:11], 3, s[8:9]
	v_add_nc_u32_e32 v10, 2, v42
	global_load_b128 v[30:33], v[30:31], off
	s_wait_loadcnt 0x3
	v_mov_b32_e32 v55, v20
	v_lshl_add_u64 v[34:35], v[10:11], 3, s[10:11]
	v_add_nc_u32_e32 v10, -4, v12
	s_wait_loadcnt 0x1
	v_pk_fma_f32 v[0:1], v[18:19], v[26:27], v[0:1] op_sel_hi:[1,0,1]
	v_xor_b32_e32 v54, 0x80000000, v21
	v_pk_fma_f32 v[8:9], v[20:21], v[26:27], v[8:9] op_sel_hi:[1,0,1]
	global_load_b128 v[34:37], v[34:35], off
	v_pk_fma_f32 v[0:1], v[18:19], v[26:27], v[0:1] op_sel:[1,1,0] op_sel_hi:[0,1,1] neg_lo:[1,0,0]
	v_mov_b32_e32 v19, v24
	v_lshl_add_u64 v[38:39], v[10:11], 3, s[8:9]
	v_add_nc_u32_e32 v10, -2, v12
	v_pk_fma_f32 v[8:9], v[54:55], v[26:27], v[8:9] op_sel:[0,1,0]
	v_xor_b32_e32 v18, 0x80000000, v25
	v_pk_fma_f32 v[0:1], v[22:23], v[28:29], v[0:1] op_sel_hi:[1,0,1]
	global_load_b128 v[38:41], v[38:39], off
	v_lshl_add_u64 v[50:51], v[10:11], 3, s[8:9]
	v_add_nc_u32_e32 v10, 4, v42
	v_pk_fma_f32 v[8:9], v[24:25], v[28:29], v[8:9] op_sel_hi:[1,0,1]
	s_delay_alu instid0(VALU_DEP_2)
	v_lshl_add_u64 v[52:53], v[10:11], 3, s[10:11]
	global_load_b128 v[42:45], v[50:51], off
	global_load_b128 v[46:49], v[52:53], off
	s_wait_xcnt 0x1
	v_lshl_add_u64 v[50:51], v[12:13], 3, s[8:9]
	v_mov_b32_e32 v10, v29
	v_add_nc_u32_e32 v12, 0x180, v12
	global_load_b128 v[50:53], v[50:51], off
	v_pk_fma_f32 v[0:1], v[22:23], v[10:11], v[0:1] op_sel:[1,0,0] op_sel_hi:[0,0,1] neg_lo:[1,0,0]
	v_pk_fma_f32 v[8:9], v[18:19], v[10:11], v[8:9] op_sel_hi:[1,0,1]
	s_wait_loadcnt 0x5
	v_xor_b32_e32 v18, 0x80000000, v33
	v_mov_b32_e32 v19, v32
	s_wait_loadcnt 0x4
	v_pk_fma_f32 v[0:1], v[30:31], v[34:35], v[0:1] op_sel_hi:[1,0,1]
	v_pk_fma_f32 v[8:9], v[32:33], v[34:35], v[8:9] op_sel_hi:[1,0,1]
	v_mov_b32_e32 v10, v37
	s_delay_alu instid0(VALU_DEP_3) | instskip(NEXT) | instid1(VALU_DEP_3)
	v_pk_fma_f32 v[0:1], v[30:31], v[34:35], v[0:1] op_sel:[1,1,0] op_sel_hi:[0,1,1] neg_lo:[1,0,0]
	v_pk_fma_f32 v[8:9], v[18:19], v[34:35], v[8:9] op_sel:[0,1,0]
	s_wait_loadcnt 0x3
	v_xor_b32_e32 v18, 0x80000000, v41
	v_mov_b32_e32 v19, v40
	v_pk_fma_f32 v[0:1], v[38:39], v[36:37], v[0:1] op_sel_hi:[1,0,1]
	v_pk_fma_f32 v[8:9], v[40:41], v[36:37], v[8:9] op_sel_hi:[1,0,1]
	s_delay_alu instid0(VALU_DEP_2) | instskip(NEXT) | instid1(VALU_DEP_2)
	v_pk_fma_f32 v[0:1], v[38:39], v[10:11], v[0:1] op_sel:[1,0,0] op_sel_hi:[0,0,1] neg_lo:[1,0,0]
	v_pk_fma_f32 v[8:9], v[18:19], v[10:11], v[8:9] op_sel_hi:[1,0,1]
	s_wait_loadcnt 0x2
	v_xor_b32_e32 v18, 0x80000000, v45
	v_mov_b32_e32 v19, v44
	s_wait_loadcnt 0x1
	v_pk_fma_f32 v[0:1], v[42:43], v[46:47], v[0:1] op_sel_hi:[1,0,1]
	v_pk_fma_f32 v[8:9], v[44:45], v[46:47], v[8:9] op_sel_hi:[1,0,1]
	v_mov_b32_e32 v10, v49
	s_delay_alu instid0(VALU_DEP_3) | instskip(NEXT) | instid1(VALU_DEP_3)
	v_pk_fma_f32 v[0:1], v[42:43], v[46:47], v[0:1] op_sel:[1,1,0] op_sel_hi:[0,1,1] neg_lo:[1,0,0]
	v_pk_fma_f32 v[8:9], v[18:19], v[46:47], v[8:9] op_sel:[0,1,0]
	s_wait_loadcnt 0x0
	v_xor_b32_e32 v18, 0x80000000, v53
	v_mov_b32_e32 v19, v52
	v_pk_fma_f32 v[0:1], v[50:51], v[48:49], v[0:1] op_sel_hi:[1,0,1]
	v_pk_fma_f32 v[8:9], v[52:53], v[48:49], v[8:9] op_sel_hi:[1,0,1]
	s_delay_alu instid0(VALU_DEP_2) | instskip(NEXT) | instid1(VALU_DEP_2)
	v_pk_fma_f32 v[0:1], v[50:51], v[10:11], v[0:1] op_sel:[1,0,0] op_sel_hi:[0,0,1] neg_lo:[1,0,0]
	v_pk_fma_f32 v[8:9], v[18:19], v[10:11], v[8:9] op_sel_hi:[1,0,1]
	s_and_not1_b32 exec_lo, exec_lo, s4
	s_cbranch_execnz .LBB175_5
; %bb.6:
	s_or_b32 exec_lo, exec_lo, s4
.LBB175_7:
	s_delay_alu instid0(SALU_CYCLE_1)
	s_or_b32 exec_lo, exec_lo, s3
	s_cbranch_execz .LBB175_9
	s_branch .LBB175_14
.LBB175_8:
                                        ; implicit-def: $vgpr1
                                        ; implicit-def: $vgpr9
.LBB175_9:
	v_mov_b32_e32 v1, 0
	s_delay_alu instid0(VALU_DEP_1)
	v_dual_mov_b32 v0, v1 :: v_dual_mov_b32 v9, v1
	v_mov_b32_e32 v8, v1
	s_and_saveexec_b32 s3, s2
	s_cbranch_execz .LBB175_13
; %bb.10:
	v_mad_u32 v12, v15, 12, 11
	v_mov_b32_e32 v11, 0
	s_mov_b32 s2, 0
	s_delay_alu instid0(VALU_DEP_1)
	v_dual_mov_b32 v8, v11 :: v_dual_mov_b32 v9, v11
	v_dual_mov_b32 v0, v11 :: v_dual_mov_b32 v1, v11
.LBB175_11:                             ; =>This Inner Loop Header: Depth=1
	global_load_b32 v10, v15, s[6:7] scale_offset
	v_dual_add_nc_u32 v13, -5, v12 :: v_dual_mov_b32 v33, v11
	s_wait_xcnt 0x0
	v_dual_add_nc_u32 v54, -1, v12 :: v_dual_add_nc_u32 v15, 32, v15
	s_delay_alu instid0(VALU_DEP_1) | instskip(SKIP_3) | instid1(VALU_DEP_1)
	v_cmp_ge_i32_e32 vcc_lo, v15, v14
	s_or_b32 s2, vcc_lo, s2
	s_wait_loadcnt 0x0
	v_subrev_nc_u32_e32 v10, s12, v10
	v_mul_lo_u32 v32, v10, 6
	v_add_nc_u32_e32 v10, -11, v12
	s_delay_alu instid0(VALU_DEP_1) | instskip(SKIP_1) | instid1(VALU_DEP_4)
	v_lshl_add_u64 v[34:35], v[10:11], 3, s[8:9]
	v_add_nc_u32_e32 v10, -4, v12
	v_lshl_add_u64 v[24:25], v[32:33], 3, s[10:11]
	s_clause 0x1
	global_load_b128 v[16:19], v[34:35], off
	global_load_b64 v[36:37], v13, s[8:9] scale_offset
	global_load_b128 v[20:23], v[24:25], off
	global_load_b64 v[38:39], v10, s[8:9] scale_offset
	s_wait_xcnt 0x0
	v_add_nc_u32_e32 v10, 2, v32
	v_add_nc_u32_e32 v13, -3, v12
	s_wait_loadcnt 0x1
	v_pk_fma_f32 v[0:1], v[16:17], v[20:21], v[0:1] op_sel_hi:[1,0,1]
	v_pk_fma_f32 v[8:9], v[36:37], v[20:21], v[8:9] op_sel_hi:[1,0,1]
	s_delay_alu instid0(VALU_DEP_2)
	v_pk_fma_f32 v[0:1], v[16:17], v[20:21], v[0:1] op_sel:[1,1,0] op_sel_hi:[0,1,1] neg_lo:[1,0,0]
	v_mov_b32_e32 v17, v18
	v_lshl_add_u64 v[40:41], v[10:11], 3, s[10:11]
	v_add_nc_u32_e32 v10, -7, v12
	s_clause 0x1
	global_load_b64 v[42:43], v13, s[8:9] scale_offset
	global_load_b128 v[24:27], v[34:35], off offset:16
	global_load_b128 v[28:31], v[40:41], off
	s_wait_xcnt 0x2
	v_add_nc_u32_e32 v13, -2, v12
	s_clause 0x1
	global_load_b64 v[40:41], v10, s[8:9] scale_offset
	global_load_b64 v[44:45], v13, s[8:9] scale_offset
	s_wait_xcnt 0x1
	v_add_nc_u32_e32 v10, 4, v32
	s_wait_xcnt 0x0
	v_add_nc_u32_e32 v13, -6, v12
	v_pk_fma_f32 v[8:9], v[36:37], v[20:21], v[8:9] op_sel:[1,1,0] op_sel_hi:[0,1,1] neg_lo:[1,0,0]
	v_xor_b32_e32 v16, 0x80000000, v19
	v_pk_fma_f32 v[0:1], v[18:19], v[22:23], v[0:1] op_sel_hi:[1,0,1]
	v_lshl_add_u64 v[46:47], v[10:11], 3, s[10:11]
	v_mov_b32_e32 v10, v23
	s_clause 0x2
	global_load_b64 v[48:49], v13, s[8:9] scale_offset
	global_load_b64 v[50:51], v12, s[8:9] scale_offset
	global_load_b64 v[52:53], v54, s[8:9] scale_offset
	global_load_b128 v[32:35], v[46:47], off
	s_wait_loadcnt 0x9
	v_pk_fma_f32 v[8:9], v[38:39], v[22:23], v[8:9] op_sel_hi:[1,0,1]
	s_wait_xcnt 0x2
	v_add_nc_u32_e32 v12, 0x180, v12
	v_pk_fma_f32 v[0:1], v[16:17], v[10:11], v[0:1] op_sel_hi:[1,0,1]
	s_delay_alu instid0(VALU_DEP_3)
	v_pk_fma_f32 v[8:9], v[38:39], v[10:11], v[8:9] op_sel:[1,0,0] op_sel_hi:[0,0,1] neg_lo:[1,0,0]
	s_wait_loadcnt 0x7
	v_xor_b32_e32 v16, 0x80000000, v27
	s_wait_loadcnt 0x6
	v_pk_fma_f32 v[0:1], v[24:25], v[28:29], v[0:1] op_sel_hi:[1,0,1]
	v_pk_fma_f32 v[8:9], v[42:43], v[28:29], v[8:9] op_sel_hi:[1,0,1]
	v_dual_mov_b32 v17, v26 :: v_dual_mov_b32 v10, v31
	s_delay_alu instid0(VALU_DEP_3) | instskip(NEXT) | instid1(VALU_DEP_3)
	v_pk_fma_f32 v[0:1], v[24:25], v[28:29], v[0:1] op_sel:[1,1,0] op_sel_hi:[0,1,1] neg_lo:[1,0,0]
	v_pk_fma_f32 v[8:9], v[42:43], v[28:29], v[8:9] op_sel:[1,1,0] op_sel_hi:[0,1,1] neg_lo:[1,0,0]
	s_delay_alu instid0(VALU_DEP_2) | instskip(SKIP_1) | instid1(VALU_DEP_2)
	v_pk_fma_f32 v[0:1], v[26:27], v[30:31], v[0:1] op_sel_hi:[1,0,1]
	s_wait_loadcnt 0x4
	v_pk_fma_f32 v[8:9], v[44:45], v[30:31], v[8:9] op_sel_hi:[1,0,1]
	s_delay_alu instid0(VALU_DEP_2) | instskip(NEXT) | instid1(VALU_DEP_2)
	v_pk_fma_f32 v[0:1], v[16:17], v[10:11], v[0:1] op_sel_hi:[1,0,1]
	v_pk_fma_f32 v[8:9], v[44:45], v[10:11], v[8:9] op_sel:[1,0,0] op_sel_hi:[0,0,1] neg_lo:[1,0,0]
	s_wait_loadcnt 0x0
	v_mov_b32_e32 v10, v35
	s_delay_alu instid0(VALU_DEP_3) | instskip(NEXT) | instid1(VALU_DEP_3)
	v_pk_fma_f32 v[0:1], v[40:41], v[32:33], v[0:1] op_sel_hi:[1,0,1]
	v_pk_fma_f32 v[8:9], v[52:53], v[32:33], v[8:9] op_sel_hi:[1,0,1]
	s_delay_alu instid0(VALU_DEP_2) | instskip(NEXT) | instid1(VALU_DEP_2)
	v_pk_fma_f32 v[0:1], v[40:41], v[32:33], v[0:1] op_sel:[1,1,0] op_sel_hi:[0,1,1] neg_lo:[1,0,0]
	v_pk_fma_f32 v[8:9], v[52:53], v[32:33], v[8:9] op_sel:[1,1,0] op_sel_hi:[0,1,1] neg_lo:[1,0,0]
	s_delay_alu instid0(VALU_DEP_2) | instskip(NEXT) | instid1(VALU_DEP_2)
	v_pk_fma_f32 v[0:1], v[48:49], v[34:35], v[0:1] op_sel_hi:[1,0,1]
	v_pk_fma_f32 v[8:9], v[50:51], v[34:35], v[8:9] op_sel_hi:[1,0,1]
	s_delay_alu instid0(VALU_DEP_2) | instskip(NEXT) | instid1(VALU_DEP_2)
	v_pk_fma_f32 v[0:1], v[48:49], v[10:11], v[0:1] op_sel:[1,0,0] op_sel_hi:[0,0,1] neg_lo:[1,0,0]
	v_pk_fma_f32 v[8:9], v[50:51], v[10:11], v[8:9] op_sel:[1,0,0] op_sel_hi:[0,0,1] neg_lo:[1,0,0]
	s_and_not1_b32 exec_lo, exec_lo, s2
	s_cbranch_execnz .LBB175_11
; %bb.12:
	s_or_b32 exec_lo, exec_lo, s2
.LBB175_13:
	s_delay_alu instid0(SALU_CYCLE_1)
	s_or_b32 exec_lo, exec_lo, s3
.LBB175_14:
	v_mbcnt_lo_u32_b32 v10, -1, 0
	s_delay_alu instid0(VALU_DEP_1) | instskip(SKIP_1) | instid1(VALU_DEP_1)
	v_xor_b32_e32 v15, 8, v10
	v_xor_b32_e32 v11, 16, v10
	v_cmp_gt_i32_e32 vcc_lo, 32, v11
	v_cndmask_b32_e32 v11, v10, v11, vcc_lo
	s_delay_alu instid0(VALU_DEP_1)
	v_lshlrev_b32_e32 v11, 2, v11
	ds_bpermute_b32 v13, v11, v1
	s_wait_dscnt 0x0
	v_add_f32_e32 v1, v1, v13
	ds_bpermute_b32 v12, v11, v0
	ds_bpermute_b32 v14, v11, v8
	;; [unrolled: 1-line block ×3, first 2 shown]
	s_wait_dscnt 0x2
	v_add_f32_e32 v0, v0, v12
	s_wait_dscnt 0x0
	v_dual_add_f32 v8, v8, v14 :: v_dual_add_f32 v9, v9, v11
	v_cmp_gt_i32_e32 vcc_lo, 32, v15
	v_cndmask_b32_e32 v15, v10, v15, vcc_lo
	s_delay_alu instid0(VALU_DEP_1)
	v_lshlrev_b32_e32 v15, 2, v15
	ds_bpermute_b32 v11, v15, v0
	ds_bpermute_b32 v12, v15, v1
	;; [unrolled: 1-line block ×4, first 2 shown]
	s_wait_dscnt 0x3
	v_dual_add_f32 v0, v0, v11 :: v_dual_bitop2_b32 v15, 4, v10 bitop3:0x14
	s_delay_alu instid0(VALU_DEP_1)
	v_cmp_gt_i32_e32 vcc_lo, 32, v15
	s_wait_dscnt 0x2
	v_add_f32_e32 v1, v1, v12
	s_wait_dscnt 0x0
	v_dual_add_f32 v9, v9, v14 :: v_dual_add_f32 v8, v8, v13
	v_cndmask_b32_e32 v15, v10, v15, vcc_lo
	s_delay_alu instid0(VALU_DEP_1)
	v_lshlrev_b32_e32 v15, 2, v15
	ds_bpermute_b32 v11, v15, v0
	ds_bpermute_b32 v12, v15, v1
	;; [unrolled: 1-line block ×4, first 2 shown]
	s_wait_dscnt 0x3
	v_dual_add_f32 v0, v0, v11 :: v_dual_bitop2_b32 v15, 2, v10 bitop3:0x14
	s_delay_alu instid0(VALU_DEP_1) | instskip(SKIP_4) | instid1(VALU_DEP_2)
	v_cmp_gt_i32_e32 vcc_lo, 32, v15
	s_wait_dscnt 0x2
	v_dual_add_f32 v1, v1, v12 :: v_dual_cndmask_b32 v15, v10, v15, vcc_lo
	s_wait_dscnt 0x0
	v_dual_add_f32 v11, v8, v13 :: v_dual_add_f32 v9, v9, v14
	v_lshlrev_b32_e32 v15, 2, v15
	ds_bpermute_b32 v8, v15, v0
	ds_bpermute_b32 v12, v15, v1
	;; [unrolled: 1-line block ×4, first 2 shown]
	s_wait_dscnt 0x3
	v_dual_add_f32 v0, v0, v8 :: v_dual_bitop2_b32 v15, 1, v10 bitop3:0x14
	s_delay_alu instid0(VALU_DEP_1)
	v_cmp_gt_i32_e32 vcc_lo, 32, v15
	s_wait_dscnt 0x1
	v_dual_add_f32 v8, v1, v12 :: v_dual_add_f32 v1, v11, v13
	s_wait_dscnt 0x0
	v_dual_add_f32 v9, v9, v14 :: v_dual_cndmask_b32 v10, v10, v15
	v_cmp_eq_u32_e32 vcc_lo, 31, v7
	s_delay_alu instid0(VALU_DEP_2)
	v_lshlrev_b32_e32 v15, 2, v10
	ds_bpermute_b32 v12, v15, v0
	ds_bpermute_b32 v13, v15, v8
	ds_bpermute_b32 v10, v15, v1
	ds_bpermute_b32 v11, v15, v9
	s_and_b32 exec_lo, exec_lo, vcc_lo
	s_cbranch_execz .LBB175_19
; %bb.15:
	s_load_b64 s[2:3], s[0:1], 0x38
	v_cmp_eq_f32_e32 vcc_lo, 0, v4
	s_wait_xcnt 0x0
	v_cmp_eq_f32_e64 s0, 0, v5
	s_wait_dscnt 0x3
	v_add_f32_e32 v0, v0, v12
	s_wait_dscnt 0x1
	v_dual_add_f32 v12, v8, v13 :: v_dual_add_f32 v8, v1, v10
	s_wait_dscnt 0x0
	v_add_f32_e32 v10, v9, v11
	s_and_b32 s0, vcc_lo, s0
	s_delay_alu instid0(SALU_CYCLE_1) | instskip(NEXT) | instid1(SALU_CYCLE_1)
	s_and_saveexec_b32 s1, s0
	s_xor_b32 s0, exec_lo, s1
	s_cbranch_execz .LBB175_17
; %bb.16:
	v_xor_b32_e32 v4, 0x80000000, v3
	v_dual_mov_b32 v5, v2 :: v_dual_lshlrev_b32 v6, 1, v6
	s_delay_alu instid0(VALU_DEP_1) | instskip(NEXT) | instid1(VALU_DEP_2)
	v_ashrrev_i32_e32 v7, 31, v6
	v_pk_mul_f32 v[12:13], v[12:13], v[4:5] op_sel_hi:[0,1]
	v_pk_mul_f32 v[4:5], v[10:11], v[4:5] op_sel_hi:[0,1]
                                        ; implicit-def: $vgpr10
	s_wait_kmcnt 0x0
	s_delay_alu instid0(VALU_DEP_3) | instskip(NEXT) | instid1(VALU_DEP_3)
	v_lshl_add_u64 v[6:7], v[6:7], 3, s[2:3]
	v_pk_fma_f32 v[0:1], v[2:3], v[0:1], v[12:13] op_sel_hi:[1,0,1]
	s_delay_alu instid0(VALU_DEP_3)
	v_pk_fma_f32 v[2:3], v[2:3], v[8:9], v[4:5] op_sel_hi:[1,0,1]
                                        ; implicit-def: $vgpr4_vgpr5
                                        ; implicit-def: $vgpr12
                                        ; implicit-def: $vgpr8
	global_store_b128 v[6:7], v[0:3], off
                                        ; implicit-def: $vgpr6
                                        ; implicit-def: $vgpr2_vgpr3
                                        ; implicit-def: $vgpr0
.LBB175_17:
	s_wait_xcnt 0x0
	s_and_not1_saveexec_b32 s0, s0
	s_cbranch_execz .LBB175_19
; %bb.18:
	v_dual_mov_b32 v19, v2 :: v_dual_lshlrev_b32 v6, 1, v6
	v_xor_b32_e32 v18, 0x80000000, v3
	s_delay_alu instid0(VALU_DEP_2) | instskip(NEXT) | instid1(VALU_DEP_2)
	v_ashrrev_i32_e32 v7, 31, v6
	v_pk_mul_f32 v[12:13], v[12:13], v[18:19] op_sel_hi:[0,1]
	v_pk_mul_f32 v[10:11], v[10:11], v[18:19] op_sel_hi:[0,1]
	s_delay_alu instid0(VALU_DEP_2) | instskip(NEXT) | instid1(VALU_DEP_2)
	v_pk_fma_f32 v[0:1], v[2:3], v[0:1], v[12:13] op_sel_hi:[1,0,1]
	v_pk_fma_f32 v[2:3], v[2:3], v[8:9], v[10:11] op_sel_hi:[1,0,1]
	v_mov_b32_e32 v9, v4
	s_wait_kmcnt 0x0
	v_lshl_add_u64 v[6:7], v[6:7], 3, s[2:3]
	v_xor_b32_e32 v8, 0x80000000, v5
	global_load_b128 v[14:17], v[6:7], off
	s_wait_loadcnt 0x0
	v_pk_fma_f32 v[0:1], v[4:5], v[14:15], v[0:1] op_sel_hi:[1,0,1]
	v_pk_fma_f32 v[2:3], v[4:5], v[16:17], v[2:3] op_sel_hi:[1,0,1]
	v_mov_b32_e32 v4, v17
	s_delay_alu instid0(VALU_DEP_3) | instskip(NEXT) | instid1(VALU_DEP_2)
	v_pk_fma_f32 v[0:1], v[8:9], v[14:15], v[0:1] op_sel:[0,1,0]
	v_pk_fma_f32 v[2:3], v[8:9], v[4:5], v[2:3] op_sel_hi:[1,0,1]
	global_store_b128 v[6:7], v[0:3], off
.LBB175_19:
	s_endpgm
	.section	.rodata,"a",@progbits
	.p2align	6, 0x0
	.amdhsa_kernel _ZN9rocsparseL19gebsrmvn_2xn_kernelILj128ELj6ELj32E21rocsparse_complex_numIfEEEvi20rocsparse_direction_NS_24const_host_device_scalarIT2_EEPKiS8_PKS5_SA_S6_PS5_21rocsparse_index_base_b
		.amdhsa_group_segment_fixed_size 0
		.amdhsa_private_segment_fixed_size 0
		.amdhsa_kernarg_size 72
		.amdhsa_user_sgpr_count 2
		.amdhsa_user_sgpr_dispatch_ptr 0
		.amdhsa_user_sgpr_queue_ptr 0
		.amdhsa_user_sgpr_kernarg_segment_ptr 1
		.amdhsa_user_sgpr_dispatch_id 0
		.amdhsa_user_sgpr_kernarg_preload_length 0
		.amdhsa_user_sgpr_kernarg_preload_offset 0
		.amdhsa_user_sgpr_private_segment_size 0
		.amdhsa_wavefront_size32 1
		.amdhsa_uses_dynamic_stack 0
		.amdhsa_enable_private_segment 0
		.amdhsa_system_sgpr_workgroup_id_x 1
		.amdhsa_system_sgpr_workgroup_id_y 0
		.amdhsa_system_sgpr_workgroup_id_z 0
		.amdhsa_system_sgpr_workgroup_info 0
		.amdhsa_system_vgpr_workitem_id 0
		.amdhsa_next_free_vgpr 56
		.amdhsa_next_free_sgpr 14
		.amdhsa_named_barrier_count 0
		.amdhsa_reserve_vcc 1
		.amdhsa_float_round_mode_32 0
		.amdhsa_float_round_mode_16_64 0
		.amdhsa_float_denorm_mode_32 3
		.amdhsa_float_denorm_mode_16_64 3
		.amdhsa_fp16_overflow 0
		.amdhsa_memory_ordered 1
		.amdhsa_forward_progress 1
		.amdhsa_inst_pref_size 20
		.amdhsa_round_robin_scheduling 0
		.amdhsa_exception_fp_ieee_invalid_op 0
		.amdhsa_exception_fp_denorm_src 0
		.amdhsa_exception_fp_ieee_div_zero 0
		.amdhsa_exception_fp_ieee_overflow 0
		.amdhsa_exception_fp_ieee_underflow 0
		.amdhsa_exception_fp_ieee_inexact 0
		.amdhsa_exception_int_div_zero 0
	.end_amdhsa_kernel
	.section	.text._ZN9rocsparseL19gebsrmvn_2xn_kernelILj128ELj6ELj32E21rocsparse_complex_numIfEEEvi20rocsparse_direction_NS_24const_host_device_scalarIT2_EEPKiS8_PKS5_SA_S6_PS5_21rocsparse_index_base_b,"axG",@progbits,_ZN9rocsparseL19gebsrmvn_2xn_kernelILj128ELj6ELj32E21rocsparse_complex_numIfEEEvi20rocsparse_direction_NS_24const_host_device_scalarIT2_EEPKiS8_PKS5_SA_S6_PS5_21rocsparse_index_base_b,comdat
.Lfunc_end175:
	.size	_ZN9rocsparseL19gebsrmvn_2xn_kernelILj128ELj6ELj32E21rocsparse_complex_numIfEEEvi20rocsparse_direction_NS_24const_host_device_scalarIT2_EEPKiS8_PKS5_SA_S6_PS5_21rocsparse_index_base_b, .Lfunc_end175-_ZN9rocsparseL19gebsrmvn_2xn_kernelILj128ELj6ELj32E21rocsparse_complex_numIfEEEvi20rocsparse_direction_NS_24const_host_device_scalarIT2_EEPKiS8_PKS5_SA_S6_PS5_21rocsparse_index_base_b
                                        ; -- End function
	.set _ZN9rocsparseL19gebsrmvn_2xn_kernelILj128ELj6ELj32E21rocsparse_complex_numIfEEEvi20rocsparse_direction_NS_24const_host_device_scalarIT2_EEPKiS8_PKS5_SA_S6_PS5_21rocsparse_index_base_b.num_vgpr, 56
	.set _ZN9rocsparseL19gebsrmvn_2xn_kernelILj128ELj6ELj32E21rocsparse_complex_numIfEEEvi20rocsparse_direction_NS_24const_host_device_scalarIT2_EEPKiS8_PKS5_SA_S6_PS5_21rocsparse_index_base_b.num_agpr, 0
	.set _ZN9rocsparseL19gebsrmvn_2xn_kernelILj128ELj6ELj32E21rocsparse_complex_numIfEEEvi20rocsparse_direction_NS_24const_host_device_scalarIT2_EEPKiS8_PKS5_SA_S6_PS5_21rocsparse_index_base_b.numbered_sgpr, 14
	.set _ZN9rocsparseL19gebsrmvn_2xn_kernelILj128ELj6ELj32E21rocsparse_complex_numIfEEEvi20rocsparse_direction_NS_24const_host_device_scalarIT2_EEPKiS8_PKS5_SA_S6_PS5_21rocsparse_index_base_b.num_named_barrier, 0
	.set _ZN9rocsparseL19gebsrmvn_2xn_kernelILj128ELj6ELj32E21rocsparse_complex_numIfEEEvi20rocsparse_direction_NS_24const_host_device_scalarIT2_EEPKiS8_PKS5_SA_S6_PS5_21rocsparse_index_base_b.private_seg_size, 0
	.set _ZN9rocsparseL19gebsrmvn_2xn_kernelILj128ELj6ELj32E21rocsparse_complex_numIfEEEvi20rocsparse_direction_NS_24const_host_device_scalarIT2_EEPKiS8_PKS5_SA_S6_PS5_21rocsparse_index_base_b.uses_vcc, 1
	.set _ZN9rocsparseL19gebsrmvn_2xn_kernelILj128ELj6ELj32E21rocsparse_complex_numIfEEEvi20rocsparse_direction_NS_24const_host_device_scalarIT2_EEPKiS8_PKS5_SA_S6_PS5_21rocsparse_index_base_b.uses_flat_scratch, 1
	.set _ZN9rocsparseL19gebsrmvn_2xn_kernelILj128ELj6ELj32E21rocsparse_complex_numIfEEEvi20rocsparse_direction_NS_24const_host_device_scalarIT2_EEPKiS8_PKS5_SA_S6_PS5_21rocsparse_index_base_b.has_dyn_sized_stack, 0
	.set _ZN9rocsparseL19gebsrmvn_2xn_kernelILj128ELj6ELj32E21rocsparse_complex_numIfEEEvi20rocsparse_direction_NS_24const_host_device_scalarIT2_EEPKiS8_PKS5_SA_S6_PS5_21rocsparse_index_base_b.has_recursion, 0
	.set _ZN9rocsparseL19gebsrmvn_2xn_kernelILj128ELj6ELj32E21rocsparse_complex_numIfEEEvi20rocsparse_direction_NS_24const_host_device_scalarIT2_EEPKiS8_PKS5_SA_S6_PS5_21rocsparse_index_base_b.has_indirect_call, 0
	.section	.AMDGPU.csdata,"",@progbits
; Kernel info:
; codeLenInByte = 2488
; TotalNumSgprs: 16
; NumVgprs: 56
; ScratchSize: 0
; MemoryBound: 0
; FloatMode: 240
; IeeeMode: 1
; LDSByteSize: 0 bytes/workgroup (compile time only)
; SGPRBlocks: 0
; VGPRBlocks: 3
; NumSGPRsForWavesPerEU: 16
; NumVGPRsForWavesPerEU: 56
; NamedBarCnt: 0
; Occupancy: 16
; WaveLimiterHint : 1
; COMPUTE_PGM_RSRC2:SCRATCH_EN: 0
; COMPUTE_PGM_RSRC2:USER_SGPR: 2
; COMPUTE_PGM_RSRC2:TRAP_HANDLER: 0
; COMPUTE_PGM_RSRC2:TGID_X_EN: 1
; COMPUTE_PGM_RSRC2:TGID_Y_EN: 0
; COMPUTE_PGM_RSRC2:TGID_Z_EN: 0
; COMPUTE_PGM_RSRC2:TIDIG_COMP_CNT: 0
	.section	.text._ZN9rocsparseL19gebsrmvn_2xn_kernelILj128ELj6ELj64E21rocsparse_complex_numIfEEEvi20rocsparse_direction_NS_24const_host_device_scalarIT2_EEPKiS8_PKS5_SA_S6_PS5_21rocsparse_index_base_b,"axG",@progbits,_ZN9rocsparseL19gebsrmvn_2xn_kernelILj128ELj6ELj64E21rocsparse_complex_numIfEEEvi20rocsparse_direction_NS_24const_host_device_scalarIT2_EEPKiS8_PKS5_SA_S6_PS5_21rocsparse_index_base_b,comdat
	.globl	_ZN9rocsparseL19gebsrmvn_2xn_kernelILj128ELj6ELj64E21rocsparse_complex_numIfEEEvi20rocsparse_direction_NS_24const_host_device_scalarIT2_EEPKiS8_PKS5_SA_S6_PS5_21rocsparse_index_base_b ; -- Begin function _ZN9rocsparseL19gebsrmvn_2xn_kernelILj128ELj6ELj64E21rocsparse_complex_numIfEEEvi20rocsparse_direction_NS_24const_host_device_scalarIT2_EEPKiS8_PKS5_SA_S6_PS5_21rocsparse_index_base_b
	.p2align	8
	.type	_ZN9rocsparseL19gebsrmvn_2xn_kernelILj128ELj6ELj64E21rocsparse_complex_numIfEEEvi20rocsparse_direction_NS_24const_host_device_scalarIT2_EEPKiS8_PKS5_SA_S6_PS5_21rocsparse_index_base_b,@function
_ZN9rocsparseL19gebsrmvn_2xn_kernelILj128ELj6ELj64E21rocsparse_complex_numIfEEEvi20rocsparse_direction_NS_24const_host_device_scalarIT2_EEPKiS8_PKS5_SA_S6_PS5_21rocsparse_index_base_b: ; @_ZN9rocsparseL19gebsrmvn_2xn_kernelILj128ELj6ELj64E21rocsparse_complex_numIfEEEvi20rocsparse_direction_NS_24const_host_device_scalarIT2_EEPKiS8_PKS5_SA_S6_PS5_21rocsparse_index_base_b
; %bb.0:
	s_clause 0x2
	s_load_b64 s[12:13], s[0:1], 0x40
	s_load_b64 s[2:3], s[0:1], 0x8
	;; [unrolled: 1-line block ×3, first 2 shown]
	v_mov_b32_e32 v1, 0
	s_add_nc_u64 s[6:7], s[0:1], 8
	s_add_nc_u64 s[8:9], s[0:1], 48
	s_wait_kmcnt 0x0
	s_bitcmp1_b32 s13, 0
	s_cselect_b32 s3, s7, s3
	s_cselect_b32 s2, s6, s2
	;; [unrolled: 1-line block ×4, first 2 shown]
	s_clause 0x1
	flat_load_b64 v[2:3], v1, s[2:3]
	flat_load_b64 v[4:5], v1, s[4:5]
	s_wait_loadcnt_dscnt 0x101
	v_cmp_eq_f32_e32 vcc_lo, 0, v2
	v_cmp_eq_f32_e64 s2, 0, v3
	s_wait_loadcnt_dscnt 0x0
	v_cmp_eq_f32_e64 s3, 1.0, v4
	v_cmp_eq_f32_e64 s4, 0, v5
	s_and_b32 s2, vcc_lo, s2
	s_and_b32 s3, s3, s4
	s_delay_alu instid0(SALU_CYCLE_1) | instskip(NEXT) | instid1(SALU_CYCLE_1)
	s_and_b32 s2, s2, s3
	s_xor_b32 s2, s2, -1
	s_delay_alu instid0(SALU_CYCLE_1)
	s_and_saveexec_b32 s3, s2
	s_cbranch_execz .LBB176_19
; %bb.1:
	s_load_b64 s[2:3], s[0:1], 0x0
	s_bfe_u32 s4, ttmp6, 0x4000c
	s_and_b32 s5, ttmp6, 15
	s_add_co_i32 s4, s4, 1
	s_getreg_b32 s6, hwreg(HW_REG_IB_STS2, 6, 4)
	s_mul_i32 s4, ttmp9, s4
	v_lshrrev_b32_e32 v1, 6, v0
	s_add_co_i32 s5, s5, s4
	s_cmp_eq_u32 s6, 0
	s_cselect_b32 s4, ttmp9, s5
	s_delay_alu instid0(VALU_DEP_1) | instid1(SALU_CYCLE_1)
	v_lshl_or_b32 v6, s4, 1, v1
	s_wait_kmcnt 0x0
	s_delay_alu instid0(VALU_DEP_1)
	v_cmp_gt_i32_e32 vcc_lo, s2, v6
	s_and_b32 exec_lo, exec_lo, vcc_lo
	s_cbranch_execz .LBB176_19
; %bb.2:
	s_load_b256 s[4:11], s[0:1], 0x10
	v_ashrrev_i32_e32 v7, 31, v6
	s_cmp_lg_u32 s3, 0
	s_wait_kmcnt 0x0
	s_delay_alu instid0(VALU_DEP_1)
	v_lshl_add_u64 v[8:9], v[6:7], 2, s[4:5]
	v_and_b32_e32 v7, 63, v0
	global_load_b64 v[8:9], v[8:9], off
	s_wait_loadcnt 0x0
	v_subrev_nc_u32_e32 v0, s12, v8
	v_subrev_nc_u32_e32 v14, s12, v9
	s_delay_alu instid0(VALU_DEP_2) | instskip(NEXT) | instid1(VALU_DEP_1)
	v_add_nc_u32_e32 v15, v0, v7
	v_cmp_lt_i32_e64 s2, v15, v14
	s_cbranch_scc0 .LBB176_8
; %bb.3:
	v_mov_b32_e32 v1, 0
	s_delay_alu instid0(VALU_DEP_1)
	v_dual_mov_b32 v0, v1 :: v_dual_mov_b32 v9, v1
	v_mov_b32_e32 v8, v1
	s_and_saveexec_b32 s3, s2
	s_cbranch_execz .LBB176_7
; %bb.4:
	v_mad_u32 v12, v15, 12, 10
	v_dual_mov_b32 v11, 0 :: v_dual_mov_b32 v16, v15
	s_mov_b32 s4, 0
	s_delay_alu instid0(VALU_DEP_1)
	v_dual_mov_b32 v8, v11 :: v_dual_mov_b32 v9, v11
	v_dual_mov_b32 v0, v11 :: v_dual_mov_b32 v1, v11
.LBB176_5:                              ; =>This Inner Loop Header: Depth=1
	global_load_b32 v10, v16, s[6:7] scale_offset
	v_dual_mov_b32 v43, v11 :: v_dual_mov_b32 v13, v11
	s_wait_xcnt 0x0
	v_add_nc_u32_e32 v16, 64, v16
	s_delay_alu instid0(VALU_DEP_1) | instskip(SKIP_3) | instid1(VALU_DEP_1)
	v_cmp_ge_i32_e32 vcc_lo, v16, v14
	s_or_b32 s4, vcc_lo, s4
	s_wait_loadcnt 0x0
	v_subrev_nc_u32_e32 v10, s12, v10
	v_mul_lo_u32 v42, v10, 6
	v_add_nc_u32_e32 v10, -10, v12
	s_delay_alu instid0(VALU_DEP_1) | instskip(SKIP_1) | instid1(VALU_DEP_4)
	v_lshl_add_u64 v[30:31], v[10:11], 3, s[8:9]
	v_add_nc_u32_e32 v10, -6, v12
	v_lshl_add_u64 v[32:33], v[42:43], 3, s[10:11]
	s_clause 0x1
	global_load_b128 v[18:21], v[30:31], off
	global_load_b128 v[22:25], v[30:31], off offset:16
	global_load_b128 v[26:29], v[32:33], off
	s_wait_xcnt 0x1
	v_lshl_add_u64 v[30:31], v[10:11], 3, s[8:9]
	v_add_nc_u32_e32 v10, 2, v42
	global_load_b128 v[30:33], v[30:31], off
	s_wait_loadcnt 0x3
	v_mov_b32_e32 v55, v20
	v_lshl_add_u64 v[34:35], v[10:11], 3, s[10:11]
	v_add_nc_u32_e32 v10, -4, v12
	s_wait_loadcnt 0x1
	v_pk_fma_f32 v[0:1], v[18:19], v[26:27], v[0:1] op_sel_hi:[1,0,1]
	v_xor_b32_e32 v54, 0x80000000, v21
	v_pk_fma_f32 v[8:9], v[20:21], v[26:27], v[8:9] op_sel_hi:[1,0,1]
	global_load_b128 v[34:37], v[34:35], off
	v_pk_fma_f32 v[0:1], v[18:19], v[26:27], v[0:1] op_sel:[1,1,0] op_sel_hi:[0,1,1] neg_lo:[1,0,0]
	v_mov_b32_e32 v19, v24
	v_lshl_add_u64 v[38:39], v[10:11], 3, s[8:9]
	v_add_nc_u32_e32 v10, -2, v12
	v_pk_fma_f32 v[8:9], v[54:55], v[26:27], v[8:9] op_sel:[0,1,0]
	v_xor_b32_e32 v18, 0x80000000, v25
	v_pk_fma_f32 v[0:1], v[22:23], v[28:29], v[0:1] op_sel_hi:[1,0,1]
	global_load_b128 v[38:41], v[38:39], off
	v_lshl_add_u64 v[50:51], v[10:11], 3, s[8:9]
	v_add_nc_u32_e32 v10, 4, v42
	v_pk_fma_f32 v[8:9], v[24:25], v[28:29], v[8:9] op_sel_hi:[1,0,1]
	s_delay_alu instid0(VALU_DEP_2)
	v_lshl_add_u64 v[52:53], v[10:11], 3, s[10:11]
	global_load_b128 v[42:45], v[50:51], off
	global_load_b128 v[46:49], v[52:53], off
	s_wait_xcnt 0x1
	v_lshl_add_u64 v[50:51], v[12:13], 3, s[8:9]
	v_mov_b32_e32 v10, v29
	v_add_nc_u32_e32 v12, 0x300, v12
	global_load_b128 v[50:53], v[50:51], off
	v_pk_fma_f32 v[0:1], v[22:23], v[10:11], v[0:1] op_sel:[1,0,0] op_sel_hi:[0,0,1] neg_lo:[1,0,0]
	v_pk_fma_f32 v[8:9], v[18:19], v[10:11], v[8:9] op_sel_hi:[1,0,1]
	s_wait_loadcnt 0x5
	v_xor_b32_e32 v18, 0x80000000, v33
	v_mov_b32_e32 v19, v32
	s_wait_loadcnt 0x4
	v_pk_fma_f32 v[0:1], v[30:31], v[34:35], v[0:1] op_sel_hi:[1,0,1]
	v_pk_fma_f32 v[8:9], v[32:33], v[34:35], v[8:9] op_sel_hi:[1,0,1]
	v_mov_b32_e32 v10, v37
	s_delay_alu instid0(VALU_DEP_3) | instskip(NEXT) | instid1(VALU_DEP_3)
	v_pk_fma_f32 v[0:1], v[30:31], v[34:35], v[0:1] op_sel:[1,1,0] op_sel_hi:[0,1,1] neg_lo:[1,0,0]
	v_pk_fma_f32 v[8:9], v[18:19], v[34:35], v[8:9] op_sel:[0,1,0]
	s_wait_loadcnt 0x3
	v_xor_b32_e32 v18, 0x80000000, v41
	v_mov_b32_e32 v19, v40
	v_pk_fma_f32 v[0:1], v[38:39], v[36:37], v[0:1] op_sel_hi:[1,0,1]
	v_pk_fma_f32 v[8:9], v[40:41], v[36:37], v[8:9] op_sel_hi:[1,0,1]
	s_delay_alu instid0(VALU_DEP_2) | instskip(NEXT) | instid1(VALU_DEP_2)
	v_pk_fma_f32 v[0:1], v[38:39], v[10:11], v[0:1] op_sel:[1,0,0] op_sel_hi:[0,0,1] neg_lo:[1,0,0]
	v_pk_fma_f32 v[8:9], v[18:19], v[10:11], v[8:9] op_sel_hi:[1,0,1]
	s_wait_loadcnt 0x2
	v_xor_b32_e32 v18, 0x80000000, v45
	v_mov_b32_e32 v19, v44
	s_wait_loadcnt 0x1
	v_pk_fma_f32 v[0:1], v[42:43], v[46:47], v[0:1] op_sel_hi:[1,0,1]
	v_pk_fma_f32 v[8:9], v[44:45], v[46:47], v[8:9] op_sel_hi:[1,0,1]
	v_mov_b32_e32 v10, v49
	s_delay_alu instid0(VALU_DEP_3) | instskip(NEXT) | instid1(VALU_DEP_3)
	v_pk_fma_f32 v[0:1], v[42:43], v[46:47], v[0:1] op_sel:[1,1,0] op_sel_hi:[0,1,1] neg_lo:[1,0,0]
	v_pk_fma_f32 v[8:9], v[18:19], v[46:47], v[8:9] op_sel:[0,1,0]
	s_wait_loadcnt 0x0
	v_xor_b32_e32 v18, 0x80000000, v53
	v_mov_b32_e32 v19, v52
	v_pk_fma_f32 v[0:1], v[50:51], v[48:49], v[0:1] op_sel_hi:[1,0,1]
	v_pk_fma_f32 v[8:9], v[52:53], v[48:49], v[8:9] op_sel_hi:[1,0,1]
	s_delay_alu instid0(VALU_DEP_2) | instskip(NEXT) | instid1(VALU_DEP_2)
	v_pk_fma_f32 v[0:1], v[50:51], v[10:11], v[0:1] op_sel:[1,0,0] op_sel_hi:[0,0,1] neg_lo:[1,0,0]
	v_pk_fma_f32 v[8:9], v[18:19], v[10:11], v[8:9] op_sel_hi:[1,0,1]
	s_and_not1_b32 exec_lo, exec_lo, s4
	s_cbranch_execnz .LBB176_5
; %bb.6:
	s_or_b32 exec_lo, exec_lo, s4
.LBB176_7:
	s_delay_alu instid0(SALU_CYCLE_1)
	s_or_b32 exec_lo, exec_lo, s3
	s_cbranch_execz .LBB176_9
	s_branch .LBB176_14
.LBB176_8:
                                        ; implicit-def: $vgpr1
                                        ; implicit-def: $vgpr9
.LBB176_9:
	v_mov_b32_e32 v1, 0
	s_delay_alu instid0(VALU_DEP_1)
	v_dual_mov_b32 v0, v1 :: v_dual_mov_b32 v9, v1
	v_mov_b32_e32 v8, v1
	s_and_saveexec_b32 s3, s2
	s_cbranch_execz .LBB176_13
; %bb.10:
	v_mad_u32 v12, v15, 12, 11
	v_mov_b32_e32 v11, 0
	s_mov_b32 s2, 0
	s_delay_alu instid0(VALU_DEP_1)
	v_dual_mov_b32 v8, v11 :: v_dual_mov_b32 v9, v11
	v_dual_mov_b32 v0, v11 :: v_dual_mov_b32 v1, v11
.LBB176_11:                             ; =>This Inner Loop Header: Depth=1
	global_load_b32 v10, v15, s[6:7] scale_offset
	v_dual_add_nc_u32 v13, -5, v12 :: v_dual_mov_b32 v33, v11
	s_wait_xcnt 0x0
	v_dual_add_nc_u32 v54, -1, v12 :: v_dual_add_nc_u32 v15, 64, v15
	s_delay_alu instid0(VALU_DEP_1) | instskip(SKIP_3) | instid1(VALU_DEP_1)
	v_cmp_ge_i32_e32 vcc_lo, v15, v14
	s_or_b32 s2, vcc_lo, s2
	s_wait_loadcnt 0x0
	v_subrev_nc_u32_e32 v10, s12, v10
	v_mul_lo_u32 v32, v10, 6
	v_add_nc_u32_e32 v10, -11, v12
	s_delay_alu instid0(VALU_DEP_1) | instskip(SKIP_1) | instid1(VALU_DEP_4)
	v_lshl_add_u64 v[34:35], v[10:11], 3, s[8:9]
	v_add_nc_u32_e32 v10, -4, v12
	v_lshl_add_u64 v[24:25], v[32:33], 3, s[10:11]
	s_clause 0x1
	global_load_b128 v[16:19], v[34:35], off
	global_load_b64 v[36:37], v13, s[8:9] scale_offset
	global_load_b128 v[20:23], v[24:25], off
	global_load_b64 v[38:39], v10, s[8:9] scale_offset
	s_wait_xcnt 0x0
	v_add_nc_u32_e32 v10, 2, v32
	v_add_nc_u32_e32 v13, -3, v12
	s_wait_loadcnt 0x1
	v_pk_fma_f32 v[0:1], v[16:17], v[20:21], v[0:1] op_sel_hi:[1,0,1]
	v_pk_fma_f32 v[8:9], v[36:37], v[20:21], v[8:9] op_sel_hi:[1,0,1]
	s_delay_alu instid0(VALU_DEP_2)
	v_pk_fma_f32 v[0:1], v[16:17], v[20:21], v[0:1] op_sel:[1,1,0] op_sel_hi:[0,1,1] neg_lo:[1,0,0]
	v_mov_b32_e32 v17, v18
	v_lshl_add_u64 v[40:41], v[10:11], 3, s[10:11]
	v_add_nc_u32_e32 v10, -7, v12
	s_clause 0x1
	global_load_b64 v[42:43], v13, s[8:9] scale_offset
	global_load_b128 v[24:27], v[34:35], off offset:16
	global_load_b128 v[28:31], v[40:41], off
	s_wait_xcnt 0x2
	v_add_nc_u32_e32 v13, -2, v12
	s_clause 0x1
	global_load_b64 v[40:41], v10, s[8:9] scale_offset
	global_load_b64 v[44:45], v13, s[8:9] scale_offset
	s_wait_xcnt 0x1
	v_add_nc_u32_e32 v10, 4, v32
	s_wait_xcnt 0x0
	v_add_nc_u32_e32 v13, -6, v12
	v_pk_fma_f32 v[8:9], v[36:37], v[20:21], v[8:9] op_sel:[1,1,0] op_sel_hi:[0,1,1] neg_lo:[1,0,0]
	v_xor_b32_e32 v16, 0x80000000, v19
	v_pk_fma_f32 v[0:1], v[18:19], v[22:23], v[0:1] op_sel_hi:[1,0,1]
	v_lshl_add_u64 v[46:47], v[10:11], 3, s[10:11]
	v_mov_b32_e32 v10, v23
	s_clause 0x2
	global_load_b64 v[48:49], v13, s[8:9] scale_offset
	global_load_b64 v[50:51], v12, s[8:9] scale_offset
	;; [unrolled: 1-line block ×3, first 2 shown]
	global_load_b128 v[32:35], v[46:47], off
	s_wait_loadcnt 0x9
	v_pk_fma_f32 v[8:9], v[38:39], v[22:23], v[8:9] op_sel_hi:[1,0,1]
	s_wait_xcnt 0x2
	v_add_nc_u32_e32 v12, 0x300, v12
	v_pk_fma_f32 v[0:1], v[16:17], v[10:11], v[0:1] op_sel_hi:[1,0,1]
	s_delay_alu instid0(VALU_DEP_3)
	v_pk_fma_f32 v[8:9], v[38:39], v[10:11], v[8:9] op_sel:[1,0,0] op_sel_hi:[0,0,1] neg_lo:[1,0,0]
	s_wait_loadcnt 0x7
	v_xor_b32_e32 v16, 0x80000000, v27
	s_wait_loadcnt 0x6
	v_pk_fma_f32 v[0:1], v[24:25], v[28:29], v[0:1] op_sel_hi:[1,0,1]
	v_pk_fma_f32 v[8:9], v[42:43], v[28:29], v[8:9] op_sel_hi:[1,0,1]
	v_dual_mov_b32 v17, v26 :: v_dual_mov_b32 v10, v31
	s_delay_alu instid0(VALU_DEP_3) | instskip(NEXT) | instid1(VALU_DEP_3)
	v_pk_fma_f32 v[0:1], v[24:25], v[28:29], v[0:1] op_sel:[1,1,0] op_sel_hi:[0,1,1] neg_lo:[1,0,0]
	v_pk_fma_f32 v[8:9], v[42:43], v[28:29], v[8:9] op_sel:[1,1,0] op_sel_hi:[0,1,1] neg_lo:[1,0,0]
	s_delay_alu instid0(VALU_DEP_2) | instskip(SKIP_1) | instid1(VALU_DEP_2)
	v_pk_fma_f32 v[0:1], v[26:27], v[30:31], v[0:1] op_sel_hi:[1,0,1]
	s_wait_loadcnt 0x4
	v_pk_fma_f32 v[8:9], v[44:45], v[30:31], v[8:9] op_sel_hi:[1,0,1]
	s_delay_alu instid0(VALU_DEP_2) | instskip(NEXT) | instid1(VALU_DEP_2)
	v_pk_fma_f32 v[0:1], v[16:17], v[10:11], v[0:1] op_sel_hi:[1,0,1]
	v_pk_fma_f32 v[8:9], v[44:45], v[10:11], v[8:9] op_sel:[1,0,0] op_sel_hi:[0,0,1] neg_lo:[1,0,0]
	s_wait_loadcnt 0x0
	v_mov_b32_e32 v10, v35
	s_delay_alu instid0(VALU_DEP_3) | instskip(NEXT) | instid1(VALU_DEP_3)
	v_pk_fma_f32 v[0:1], v[40:41], v[32:33], v[0:1] op_sel_hi:[1,0,1]
	v_pk_fma_f32 v[8:9], v[52:53], v[32:33], v[8:9] op_sel_hi:[1,0,1]
	s_delay_alu instid0(VALU_DEP_2) | instskip(NEXT) | instid1(VALU_DEP_2)
	v_pk_fma_f32 v[0:1], v[40:41], v[32:33], v[0:1] op_sel:[1,1,0] op_sel_hi:[0,1,1] neg_lo:[1,0,0]
	v_pk_fma_f32 v[8:9], v[52:53], v[32:33], v[8:9] op_sel:[1,1,0] op_sel_hi:[0,1,1] neg_lo:[1,0,0]
	s_delay_alu instid0(VALU_DEP_2) | instskip(NEXT) | instid1(VALU_DEP_2)
	v_pk_fma_f32 v[0:1], v[48:49], v[34:35], v[0:1] op_sel_hi:[1,0,1]
	v_pk_fma_f32 v[8:9], v[50:51], v[34:35], v[8:9] op_sel_hi:[1,0,1]
	s_delay_alu instid0(VALU_DEP_2) | instskip(NEXT) | instid1(VALU_DEP_2)
	v_pk_fma_f32 v[0:1], v[48:49], v[10:11], v[0:1] op_sel:[1,0,0] op_sel_hi:[0,0,1] neg_lo:[1,0,0]
	v_pk_fma_f32 v[8:9], v[50:51], v[10:11], v[8:9] op_sel:[1,0,0] op_sel_hi:[0,0,1] neg_lo:[1,0,0]
	s_and_not1_b32 exec_lo, exec_lo, s2
	s_cbranch_execnz .LBB176_11
; %bb.12:
	s_or_b32 exec_lo, exec_lo, s2
.LBB176_13:
	s_delay_alu instid0(SALU_CYCLE_1)
	s_or_b32 exec_lo, exec_lo, s3
.LBB176_14:
	v_mbcnt_lo_u32_b32 v10, -1, 0
	s_delay_alu instid0(VALU_DEP_1) | instskip(SKIP_1) | instid1(VALU_DEP_1)
	v_xor_b32_e32 v15, 16, v10
	v_or_b32_e32 v11, 32, v10
	v_cmp_gt_i32_e32 vcc_lo, 32, v11
	v_cndmask_b32_e32 v11, v10, v11, vcc_lo
	s_delay_alu instid0(VALU_DEP_1)
	v_lshlrev_b32_e32 v11, 2, v11
	ds_bpermute_b32 v13, v11, v1
	s_wait_dscnt 0x0
	v_add_f32_e32 v1, v1, v13
	ds_bpermute_b32 v12, v11, v0
	ds_bpermute_b32 v14, v11, v8
	;; [unrolled: 1-line block ×3, first 2 shown]
	s_wait_dscnt 0x2
	v_add_f32_e32 v0, v0, v12
	s_wait_dscnt 0x0
	v_dual_add_f32 v8, v8, v14 :: v_dual_add_f32 v9, v9, v11
	v_cmp_gt_i32_e32 vcc_lo, 32, v15
	v_cndmask_b32_e32 v15, v10, v15, vcc_lo
	s_delay_alu instid0(VALU_DEP_1)
	v_lshlrev_b32_e32 v15, 2, v15
	ds_bpermute_b32 v11, v15, v0
	ds_bpermute_b32 v12, v15, v1
	;; [unrolled: 1-line block ×4, first 2 shown]
	s_wait_dscnt 0x3
	v_dual_add_f32 v0, v0, v11 :: v_dual_bitop2_b32 v15, 8, v10 bitop3:0x14
	s_delay_alu instid0(VALU_DEP_1)
	v_cmp_gt_i32_e32 vcc_lo, 32, v15
	s_wait_dscnt 0x2
	v_add_f32_e32 v1, v1, v12
	s_wait_dscnt 0x0
	v_dual_add_f32 v9, v9, v14 :: v_dual_add_f32 v8, v8, v13
	v_cndmask_b32_e32 v15, v10, v15, vcc_lo
	s_delay_alu instid0(VALU_DEP_1)
	v_lshlrev_b32_e32 v15, 2, v15
	ds_bpermute_b32 v11, v15, v0
	ds_bpermute_b32 v12, v15, v1
	;; [unrolled: 1-line block ×4, first 2 shown]
	s_wait_dscnt 0x3
	v_dual_add_f32 v0, v0, v11 :: v_dual_bitop2_b32 v15, 4, v10 bitop3:0x14
	s_delay_alu instid0(VALU_DEP_1) | instskip(SKIP_4) | instid1(VALU_DEP_2)
	v_cmp_gt_i32_e32 vcc_lo, 32, v15
	s_wait_dscnt 0x2
	v_dual_add_f32 v1, v1, v12 :: v_dual_cndmask_b32 v15, v10, v15, vcc_lo
	s_wait_dscnt 0x0
	v_dual_add_f32 v8, v8, v13 :: v_dual_add_f32 v9, v9, v14
	v_lshlrev_b32_e32 v15, 2, v15
	ds_bpermute_b32 v11, v15, v0
	ds_bpermute_b32 v12, v15, v1
	;; [unrolled: 1-line block ×4, first 2 shown]
	s_wait_dscnt 0x3
	v_dual_add_f32 v0, v0, v11 :: v_dual_bitop2_b32 v15, 2, v10 bitop3:0x14
	s_delay_alu instid0(VALU_DEP_1) | instskip(SKIP_4) | instid1(VALU_DEP_1)
	v_cmp_gt_i32_e32 vcc_lo, 32, v15
	s_wait_dscnt 0x1
	v_dual_add_f32 v1, v1, v12 :: v_dual_add_f32 v11, v8, v13
	s_wait_dscnt 0x0
	v_dual_add_f32 v9, v9, v14 :: v_dual_cndmask_b32 v15, v10, v15, vcc_lo
	v_lshlrev_b32_e32 v15, 2, v15
	ds_bpermute_b32 v8, v15, v0
	ds_bpermute_b32 v12, v15, v1
	ds_bpermute_b32 v13, v15, v11
	ds_bpermute_b32 v14, v15, v9
	s_wait_dscnt 0x3
	v_dual_add_f32 v0, v0, v8 :: v_dual_bitop2_b32 v15, 1, v10 bitop3:0x14
	s_delay_alu instid0(VALU_DEP_1)
	v_cmp_gt_i32_e32 vcc_lo, 32, v15
	s_wait_dscnt 0x2
	v_dual_add_f32 v8, v1, v12 :: v_dual_cndmask_b32 v10, v10, v15, vcc_lo
	s_wait_dscnt 0x0
	v_dual_add_f32 v1, v11, v13 :: v_dual_add_f32 v9, v9, v14
	v_cmp_eq_u32_e32 vcc_lo, 63, v7
	s_delay_alu instid0(VALU_DEP_3)
	v_lshlrev_b32_e32 v15, 2, v10
	ds_bpermute_b32 v12, v15, v0
	ds_bpermute_b32 v13, v15, v8
	ds_bpermute_b32 v10, v15, v1
	ds_bpermute_b32 v11, v15, v9
	s_and_b32 exec_lo, exec_lo, vcc_lo
	s_cbranch_execz .LBB176_19
; %bb.15:
	s_load_b64 s[2:3], s[0:1], 0x38
	v_cmp_eq_f32_e32 vcc_lo, 0, v4
	s_wait_xcnt 0x0
	v_cmp_eq_f32_e64 s0, 0, v5
	s_wait_dscnt 0x3
	v_add_f32_e32 v0, v0, v12
	s_wait_dscnt 0x1
	v_dual_add_f32 v12, v8, v13 :: v_dual_add_f32 v8, v1, v10
	s_wait_dscnt 0x0
	v_add_f32_e32 v10, v9, v11
	s_and_b32 s0, vcc_lo, s0
	s_delay_alu instid0(SALU_CYCLE_1) | instskip(NEXT) | instid1(SALU_CYCLE_1)
	s_and_saveexec_b32 s1, s0
	s_xor_b32 s0, exec_lo, s1
	s_cbranch_execz .LBB176_17
; %bb.16:
	v_xor_b32_e32 v4, 0x80000000, v3
	v_dual_mov_b32 v5, v2 :: v_dual_lshlrev_b32 v6, 1, v6
	s_delay_alu instid0(VALU_DEP_1) | instskip(NEXT) | instid1(VALU_DEP_2)
	v_ashrrev_i32_e32 v7, 31, v6
	v_pk_mul_f32 v[12:13], v[12:13], v[4:5] op_sel_hi:[0,1]
	v_pk_mul_f32 v[4:5], v[10:11], v[4:5] op_sel_hi:[0,1]
                                        ; implicit-def: $vgpr10
	s_wait_kmcnt 0x0
	s_delay_alu instid0(VALU_DEP_3) | instskip(NEXT) | instid1(VALU_DEP_3)
	v_lshl_add_u64 v[6:7], v[6:7], 3, s[2:3]
	v_pk_fma_f32 v[0:1], v[2:3], v[0:1], v[12:13] op_sel_hi:[1,0,1]
	s_delay_alu instid0(VALU_DEP_3)
	v_pk_fma_f32 v[2:3], v[2:3], v[8:9], v[4:5] op_sel_hi:[1,0,1]
                                        ; implicit-def: $vgpr4_vgpr5
                                        ; implicit-def: $vgpr12
                                        ; implicit-def: $vgpr8
	global_store_b128 v[6:7], v[0:3], off
                                        ; implicit-def: $vgpr6
                                        ; implicit-def: $vgpr2_vgpr3
                                        ; implicit-def: $vgpr0
.LBB176_17:
	s_wait_xcnt 0x0
	s_and_not1_saveexec_b32 s0, s0
	s_cbranch_execz .LBB176_19
; %bb.18:
	v_dual_mov_b32 v19, v2 :: v_dual_lshlrev_b32 v6, 1, v6
	v_xor_b32_e32 v18, 0x80000000, v3
	s_delay_alu instid0(VALU_DEP_2) | instskip(NEXT) | instid1(VALU_DEP_2)
	v_ashrrev_i32_e32 v7, 31, v6
	v_pk_mul_f32 v[12:13], v[12:13], v[18:19] op_sel_hi:[0,1]
	v_pk_mul_f32 v[10:11], v[10:11], v[18:19] op_sel_hi:[0,1]
	s_delay_alu instid0(VALU_DEP_2) | instskip(NEXT) | instid1(VALU_DEP_2)
	v_pk_fma_f32 v[0:1], v[2:3], v[0:1], v[12:13] op_sel_hi:[1,0,1]
	v_pk_fma_f32 v[2:3], v[2:3], v[8:9], v[10:11] op_sel_hi:[1,0,1]
	v_mov_b32_e32 v9, v4
	s_wait_kmcnt 0x0
	v_lshl_add_u64 v[6:7], v[6:7], 3, s[2:3]
	v_xor_b32_e32 v8, 0x80000000, v5
	global_load_b128 v[14:17], v[6:7], off
	s_wait_loadcnt 0x0
	v_pk_fma_f32 v[0:1], v[4:5], v[14:15], v[0:1] op_sel_hi:[1,0,1]
	v_pk_fma_f32 v[2:3], v[4:5], v[16:17], v[2:3] op_sel_hi:[1,0,1]
	v_mov_b32_e32 v4, v17
	s_delay_alu instid0(VALU_DEP_3) | instskip(NEXT) | instid1(VALU_DEP_2)
	v_pk_fma_f32 v[0:1], v[8:9], v[14:15], v[0:1] op_sel:[0,1,0]
	v_pk_fma_f32 v[2:3], v[8:9], v[4:5], v[2:3] op_sel_hi:[1,0,1]
	global_store_b128 v[6:7], v[0:3], off
.LBB176_19:
	s_endpgm
	.section	.rodata,"a",@progbits
	.p2align	6, 0x0
	.amdhsa_kernel _ZN9rocsparseL19gebsrmvn_2xn_kernelILj128ELj6ELj64E21rocsparse_complex_numIfEEEvi20rocsparse_direction_NS_24const_host_device_scalarIT2_EEPKiS8_PKS5_SA_S6_PS5_21rocsparse_index_base_b
		.amdhsa_group_segment_fixed_size 0
		.amdhsa_private_segment_fixed_size 0
		.amdhsa_kernarg_size 72
		.amdhsa_user_sgpr_count 2
		.amdhsa_user_sgpr_dispatch_ptr 0
		.amdhsa_user_sgpr_queue_ptr 0
		.amdhsa_user_sgpr_kernarg_segment_ptr 1
		.amdhsa_user_sgpr_dispatch_id 0
		.amdhsa_user_sgpr_kernarg_preload_length 0
		.amdhsa_user_sgpr_kernarg_preload_offset 0
		.amdhsa_user_sgpr_private_segment_size 0
		.amdhsa_wavefront_size32 1
		.amdhsa_uses_dynamic_stack 0
		.amdhsa_enable_private_segment 0
		.amdhsa_system_sgpr_workgroup_id_x 1
		.amdhsa_system_sgpr_workgroup_id_y 0
		.amdhsa_system_sgpr_workgroup_id_z 0
		.amdhsa_system_sgpr_workgroup_info 0
		.amdhsa_system_vgpr_workitem_id 0
		.amdhsa_next_free_vgpr 56
		.amdhsa_next_free_sgpr 14
		.amdhsa_named_barrier_count 0
		.amdhsa_reserve_vcc 1
		.amdhsa_float_round_mode_32 0
		.amdhsa_float_round_mode_16_64 0
		.amdhsa_float_denorm_mode_32 3
		.amdhsa_float_denorm_mode_16_64 3
		.amdhsa_fp16_overflow 0
		.amdhsa_memory_ordered 1
		.amdhsa_forward_progress 1
		.amdhsa_inst_pref_size 21
		.amdhsa_round_robin_scheduling 0
		.amdhsa_exception_fp_ieee_invalid_op 0
		.amdhsa_exception_fp_denorm_src 0
		.amdhsa_exception_fp_ieee_div_zero 0
		.amdhsa_exception_fp_ieee_overflow 0
		.amdhsa_exception_fp_ieee_underflow 0
		.amdhsa_exception_fp_ieee_inexact 0
		.amdhsa_exception_int_div_zero 0
	.end_amdhsa_kernel
	.section	.text._ZN9rocsparseL19gebsrmvn_2xn_kernelILj128ELj6ELj64E21rocsparse_complex_numIfEEEvi20rocsparse_direction_NS_24const_host_device_scalarIT2_EEPKiS8_PKS5_SA_S6_PS5_21rocsparse_index_base_b,"axG",@progbits,_ZN9rocsparseL19gebsrmvn_2xn_kernelILj128ELj6ELj64E21rocsparse_complex_numIfEEEvi20rocsparse_direction_NS_24const_host_device_scalarIT2_EEPKiS8_PKS5_SA_S6_PS5_21rocsparse_index_base_b,comdat
.Lfunc_end176:
	.size	_ZN9rocsparseL19gebsrmvn_2xn_kernelILj128ELj6ELj64E21rocsparse_complex_numIfEEEvi20rocsparse_direction_NS_24const_host_device_scalarIT2_EEPKiS8_PKS5_SA_S6_PS5_21rocsparse_index_base_b, .Lfunc_end176-_ZN9rocsparseL19gebsrmvn_2xn_kernelILj128ELj6ELj64E21rocsparse_complex_numIfEEEvi20rocsparse_direction_NS_24const_host_device_scalarIT2_EEPKiS8_PKS5_SA_S6_PS5_21rocsparse_index_base_b
                                        ; -- End function
	.set _ZN9rocsparseL19gebsrmvn_2xn_kernelILj128ELj6ELj64E21rocsparse_complex_numIfEEEvi20rocsparse_direction_NS_24const_host_device_scalarIT2_EEPKiS8_PKS5_SA_S6_PS5_21rocsparse_index_base_b.num_vgpr, 56
	.set _ZN9rocsparseL19gebsrmvn_2xn_kernelILj128ELj6ELj64E21rocsparse_complex_numIfEEEvi20rocsparse_direction_NS_24const_host_device_scalarIT2_EEPKiS8_PKS5_SA_S6_PS5_21rocsparse_index_base_b.num_agpr, 0
	.set _ZN9rocsparseL19gebsrmvn_2xn_kernelILj128ELj6ELj64E21rocsparse_complex_numIfEEEvi20rocsparse_direction_NS_24const_host_device_scalarIT2_EEPKiS8_PKS5_SA_S6_PS5_21rocsparse_index_base_b.numbered_sgpr, 14
	.set _ZN9rocsparseL19gebsrmvn_2xn_kernelILj128ELj6ELj64E21rocsparse_complex_numIfEEEvi20rocsparse_direction_NS_24const_host_device_scalarIT2_EEPKiS8_PKS5_SA_S6_PS5_21rocsparse_index_base_b.num_named_barrier, 0
	.set _ZN9rocsparseL19gebsrmvn_2xn_kernelILj128ELj6ELj64E21rocsparse_complex_numIfEEEvi20rocsparse_direction_NS_24const_host_device_scalarIT2_EEPKiS8_PKS5_SA_S6_PS5_21rocsparse_index_base_b.private_seg_size, 0
	.set _ZN9rocsparseL19gebsrmvn_2xn_kernelILj128ELj6ELj64E21rocsparse_complex_numIfEEEvi20rocsparse_direction_NS_24const_host_device_scalarIT2_EEPKiS8_PKS5_SA_S6_PS5_21rocsparse_index_base_b.uses_vcc, 1
	.set _ZN9rocsparseL19gebsrmvn_2xn_kernelILj128ELj6ELj64E21rocsparse_complex_numIfEEEvi20rocsparse_direction_NS_24const_host_device_scalarIT2_EEPKiS8_PKS5_SA_S6_PS5_21rocsparse_index_base_b.uses_flat_scratch, 1
	.set _ZN9rocsparseL19gebsrmvn_2xn_kernelILj128ELj6ELj64E21rocsparse_complex_numIfEEEvi20rocsparse_direction_NS_24const_host_device_scalarIT2_EEPKiS8_PKS5_SA_S6_PS5_21rocsparse_index_base_b.has_dyn_sized_stack, 0
	.set _ZN9rocsparseL19gebsrmvn_2xn_kernelILj128ELj6ELj64E21rocsparse_complex_numIfEEEvi20rocsparse_direction_NS_24const_host_device_scalarIT2_EEPKiS8_PKS5_SA_S6_PS5_21rocsparse_index_base_b.has_recursion, 0
	.set _ZN9rocsparseL19gebsrmvn_2xn_kernelILj128ELj6ELj64E21rocsparse_complex_numIfEEEvi20rocsparse_direction_NS_24const_host_device_scalarIT2_EEPKiS8_PKS5_SA_S6_PS5_21rocsparse_index_base_b.has_indirect_call, 0
	.section	.AMDGPU.csdata,"",@progbits
; Kernel info:
; codeLenInByte = 2584
; TotalNumSgprs: 16
; NumVgprs: 56
; ScratchSize: 0
; MemoryBound: 0
; FloatMode: 240
; IeeeMode: 1
; LDSByteSize: 0 bytes/workgroup (compile time only)
; SGPRBlocks: 0
; VGPRBlocks: 3
; NumSGPRsForWavesPerEU: 16
; NumVGPRsForWavesPerEU: 56
; NamedBarCnt: 0
; Occupancy: 16
; WaveLimiterHint : 1
; COMPUTE_PGM_RSRC2:SCRATCH_EN: 0
; COMPUTE_PGM_RSRC2:USER_SGPR: 2
; COMPUTE_PGM_RSRC2:TRAP_HANDLER: 0
; COMPUTE_PGM_RSRC2:TGID_X_EN: 1
; COMPUTE_PGM_RSRC2:TGID_Y_EN: 0
; COMPUTE_PGM_RSRC2:TGID_Z_EN: 0
; COMPUTE_PGM_RSRC2:TIDIG_COMP_CNT: 0
	.section	.text._ZN9rocsparseL19gebsrmvn_2xn_kernelILj128ELj7ELj4E21rocsparse_complex_numIfEEEvi20rocsparse_direction_NS_24const_host_device_scalarIT2_EEPKiS8_PKS5_SA_S6_PS5_21rocsparse_index_base_b,"axG",@progbits,_ZN9rocsparseL19gebsrmvn_2xn_kernelILj128ELj7ELj4E21rocsparse_complex_numIfEEEvi20rocsparse_direction_NS_24const_host_device_scalarIT2_EEPKiS8_PKS5_SA_S6_PS5_21rocsparse_index_base_b,comdat
	.globl	_ZN9rocsparseL19gebsrmvn_2xn_kernelILj128ELj7ELj4E21rocsparse_complex_numIfEEEvi20rocsparse_direction_NS_24const_host_device_scalarIT2_EEPKiS8_PKS5_SA_S6_PS5_21rocsparse_index_base_b ; -- Begin function _ZN9rocsparseL19gebsrmvn_2xn_kernelILj128ELj7ELj4E21rocsparse_complex_numIfEEEvi20rocsparse_direction_NS_24const_host_device_scalarIT2_EEPKiS8_PKS5_SA_S6_PS5_21rocsparse_index_base_b
	.p2align	8
	.type	_ZN9rocsparseL19gebsrmvn_2xn_kernelILj128ELj7ELj4E21rocsparse_complex_numIfEEEvi20rocsparse_direction_NS_24const_host_device_scalarIT2_EEPKiS8_PKS5_SA_S6_PS5_21rocsparse_index_base_b,@function
_ZN9rocsparseL19gebsrmvn_2xn_kernelILj128ELj7ELj4E21rocsparse_complex_numIfEEEvi20rocsparse_direction_NS_24const_host_device_scalarIT2_EEPKiS8_PKS5_SA_S6_PS5_21rocsparse_index_base_b: ; @_ZN9rocsparseL19gebsrmvn_2xn_kernelILj128ELj7ELj4E21rocsparse_complex_numIfEEEvi20rocsparse_direction_NS_24const_host_device_scalarIT2_EEPKiS8_PKS5_SA_S6_PS5_21rocsparse_index_base_b
; %bb.0:
	s_clause 0x2
	s_load_b64 s[12:13], s[0:1], 0x40
	s_load_b64 s[2:3], s[0:1], 0x8
	;; [unrolled: 1-line block ×3, first 2 shown]
	v_mov_b32_e32 v1, 0
	s_add_nc_u64 s[6:7], s[0:1], 8
	s_add_nc_u64 s[8:9], s[0:1], 48
	s_wait_kmcnt 0x0
	s_bitcmp1_b32 s13, 0
	s_cselect_b32 s3, s7, s3
	s_cselect_b32 s2, s6, s2
	s_cselect_b32 s5, s9, s5
	s_cselect_b32 s4, s8, s4
	s_clause 0x1
	flat_load_b64 v[2:3], v1, s[2:3]
	flat_load_b64 v[4:5], v1, s[4:5]
	s_wait_loadcnt_dscnt 0x101
	v_cmp_eq_f32_e32 vcc_lo, 0, v2
	v_cmp_eq_f32_e64 s2, 0, v3
	s_wait_loadcnt_dscnt 0x0
	v_cmp_eq_f32_e64 s3, 1.0, v4
	v_cmp_eq_f32_e64 s4, 0, v5
	s_and_b32 s2, vcc_lo, s2
	s_and_b32 s3, s3, s4
	s_delay_alu instid0(SALU_CYCLE_1) | instskip(NEXT) | instid1(SALU_CYCLE_1)
	s_and_b32 s2, s2, s3
	s_xor_b32 s2, s2, -1
	s_delay_alu instid0(SALU_CYCLE_1)
	s_and_saveexec_b32 s3, s2
	s_cbranch_execz .LBB177_19
; %bb.1:
	s_load_b64 s[2:3], s[0:1], 0x0
	s_bfe_u32 s4, ttmp6, 0x4000c
	s_and_b32 s5, ttmp6, 15
	s_add_co_i32 s4, s4, 1
	s_getreg_b32 s6, hwreg(HW_REG_IB_STS2, 6, 4)
	s_mul_i32 s4, ttmp9, s4
	v_lshrrev_b32_e32 v1, 2, v0
	s_add_co_i32 s5, s5, s4
	s_cmp_eq_u32 s6, 0
	s_cselect_b32 s4, ttmp9, s5
	s_delay_alu instid0(VALU_DEP_1) | instid1(SALU_CYCLE_1)
	v_lshl_or_b32 v6, s4, 5, v1
	s_wait_kmcnt 0x0
	s_delay_alu instid0(VALU_DEP_1)
	v_cmp_gt_i32_e32 vcc_lo, s2, v6
	s_and_b32 exec_lo, exec_lo, vcc_lo
	s_cbranch_execz .LBB177_19
; %bb.2:
	s_load_b256 s[4:11], s[0:1], 0x10
	v_ashrrev_i32_e32 v7, 31, v6
	s_cmp_lg_u32 s3, 0
	s_wait_kmcnt 0x0
	s_delay_alu instid0(VALU_DEP_1)
	v_lshl_add_u64 v[8:9], v[6:7], 2, s[4:5]
	v_and_b32_e32 v7, 3, v0
	global_load_b64 v[8:9], v[8:9], off
	s_wait_loadcnt 0x0
	v_subrev_nc_u32_e32 v0, s12, v8
	v_subrev_nc_u32_e32 v14, s12, v9
	s_delay_alu instid0(VALU_DEP_2) | instskip(NEXT) | instid1(VALU_DEP_1)
	v_add_nc_u32_e32 v15, v0, v7
	v_cmp_lt_i32_e64 s2, v15, v14
	s_cbranch_scc0 .LBB177_8
; %bb.3:
	v_mov_b32_e32 v1, 0
	s_delay_alu instid0(VALU_DEP_1)
	v_dual_mov_b32 v0, v1 :: v_dual_mov_b32 v9, v1
	v_mov_b32_e32 v8, v1
	s_and_saveexec_b32 s3, s2
	s_cbranch_execz .LBB177_7
; %bb.4:
	v_mad_u32 v12, v15, 14, 12
	v_dual_mov_b32 v11, 0 :: v_dual_mov_b32 v16, v15
	s_mov_b32 s4, 0
	s_delay_alu instid0(VALU_DEP_1)
	v_dual_mov_b32 v8, v11 :: v_dual_mov_b32 v9, v11
	v_dual_mov_b32 v0, v11 :: v_dual_mov_b32 v1, v11
.LBB177_5:                              ; =>This Inner Loop Header: Depth=1
	global_load_b32 v10, v16, s[6:7] scale_offset
	s_wait_xcnt 0x0
	v_add_nc_u32_e32 v16, 4, v16
	s_delay_alu instid0(VALU_DEP_1) | instskip(SKIP_3) | instid1(VALU_DEP_1)
	v_cmp_ge_i32_e32 vcc_lo, v16, v14
	s_or_b32 s4, vcc_lo, s4
	s_wait_loadcnt 0x0
	v_subrev_nc_u32_e32 v10, s12, v10
	v_mul_lo_u32 v17, v10, 7
	s_delay_alu instid0(VALU_DEP_1) | instskip(NEXT) | instid1(VALU_DEP_1)
	v_dual_add_nc_u32 v10, -12, v12 :: v_dual_add_nc_u32 v13, 1, v17
	v_lshl_add_u64 v[22:23], v[10:11], 3, s[8:9]
	v_add_nc_u32_e32 v10, -10, v12
	global_load_b128 v[18:21], v[22:23], off
	global_load_b64 v[46:47], v17, s[10:11] scale_offset
	v_lshl_add_u64 v[26:27], v[10:11], 3, s[8:9]
	global_load_b128 v[22:25], v[26:27], off
	global_load_b64 v[48:49], v13, s[10:11] scale_offset
	s_wait_xcnt 0x0
	v_dual_add_nc_u32 v10, -8, v12 :: v_dual_add_nc_u32 v13, 2, v17
	s_delay_alu instid0(VALU_DEP_1)
	v_lshl_add_u64 v[30:31], v[10:11], 3, s[8:9]
	v_add_nc_u32_e32 v10, -6, v12
	global_load_b128 v[26:29], v[30:31], off
	global_load_b64 v[50:51], v13, s[10:11] scale_offset
	v_lshl_add_u64 v[34:35], v[10:11], 3, s[8:9]
	s_wait_xcnt 0x0
	v_dual_add_nc_u32 v13, 3, v17 :: v_dual_add_nc_u32 v10, -4, v12
	global_load_b128 v[30:33], v[34:35], off
	global_load_b64 v[52:53], v13, s[10:11] scale_offset
	s_wait_xcnt 0x0
	v_add_nc_u32_e32 v13, 4, v17
	v_lshl_add_u64 v[38:39], v[10:11], 3, s[8:9]
	v_add_nc_u32_e32 v10, -2, v12
	global_load_b128 v[34:37], v[38:39], off
	global_load_b64 v[54:55], v13, s[10:11] scale_offset
	v_lshl_add_u64 v[42:43], v[10:11], 3, s[8:9]
	s_wait_xcnt 0x0
	v_dual_mov_b32 v13, v11 :: v_dual_add_nc_u32 v10, 5, v17
	s_delay_alu instid0(VALU_DEP_1) | instskip(SKIP_4) | instid1(VALU_DEP_2)
	v_lshl_add_u64 v[58:59], v[12:13], 3, s[8:9]
	v_add_nc_u32_e32 v12, 56, v12
	s_wait_loadcnt 0x8
	v_pk_fma_f32 v[0:1], v[18:19], v[46:47], v[0:1] op_sel_hi:[1,0,1]
	v_pk_fma_f32 v[8:9], v[20:21], v[46:47], v[8:9] op_sel_hi:[1,0,1]
	v_pk_fma_f32 v[0:1], v[18:19], v[46:47], v[0:1] op_sel:[1,1,0] op_sel_hi:[0,1,1] neg_lo:[1,0,0]
	s_wait_loadcnt 0x7
	v_mov_b32_e32 v19, v24
	global_load_b128 v[38:41], v[42:43], off
	global_load_b64 v[56:57], v10, s[10:11] scale_offset
	s_wait_xcnt 0x0
	v_add_nc_u32_e32 v10, 6, v17
	global_load_b128 v[42:45], v[58:59], off
	global_load_b64 v[60:61], v10, s[10:11] scale_offset
	s_wait_xcnt 0x1
	v_xor_b32_e32 v58, 0x80000000, v21
	v_mov_b32_e32 v59, v20
	v_xor_b32_e32 v18, 0x80000000, v25
	s_wait_loadcnt 0xa
	v_pk_fma_f32 v[0:1], v[22:23], v[48:49], v[0:1] op_sel_hi:[1,0,1]
	s_delay_alu instid0(VALU_DEP_3) | instskip(NEXT) | instid1(VALU_DEP_2)
	v_pk_fma_f32 v[8:9], v[58:59], v[46:47], v[8:9] op_sel:[0,1,0]
	v_pk_fma_f32 v[0:1], v[22:23], v[48:49], v[0:1] op_sel:[1,1,0] op_sel_hi:[0,1,1] neg_lo:[1,0,0]
	s_delay_alu instid0(VALU_DEP_2) | instskip(SKIP_1) | instid1(VALU_DEP_2)
	v_pk_fma_f32 v[8:9], v[24:25], v[48:49], v[8:9] op_sel_hi:[1,0,1]
	s_wait_loadcnt 0x8
	v_pk_fma_f32 v[0:1], v[26:27], v[50:51], v[0:1] op_sel_hi:[1,0,1]
	s_delay_alu instid0(VALU_DEP_2) | instskip(SKIP_2) | instid1(VALU_DEP_4)
	v_pk_fma_f32 v[8:9], v[18:19], v[48:49], v[8:9] op_sel:[0,1,0]
	v_xor_b32_e32 v18, 0x80000000, v29
	v_mov_b32_e32 v19, v28
	v_pk_fma_f32 v[0:1], v[26:27], v[50:51], v[0:1] op_sel:[1,1,0] op_sel_hi:[0,1,1] neg_lo:[1,0,0]
	s_delay_alu instid0(VALU_DEP_4) | instskip(SKIP_1) | instid1(VALU_DEP_2)
	v_pk_fma_f32 v[8:9], v[28:29], v[50:51], v[8:9] op_sel_hi:[1,0,1]
	s_wait_loadcnt 0x6
	v_pk_fma_f32 v[0:1], v[30:31], v[52:53], v[0:1] op_sel_hi:[1,0,1]
	s_delay_alu instid0(VALU_DEP_2) | instskip(SKIP_2) | instid1(VALU_DEP_4)
	v_pk_fma_f32 v[8:9], v[18:19], v[50:51], v[8:9] op_sel:[0,1,0]
	v_xor_b32_e32 v18, 0x80000000, v33
	v_mov_b32_e32 v19, v32
	v_pk_fma_f32 v[0:1], v[30:31], v[52:53], v[0:1] op_sel:[1,1,0] op_sel_hi:[0,1,1] neg_lo:[1,0,0]
	s_delay_alu instid0(VALU_DEP_4) | instskip(SKIP_1) | instid1(VALU_DEP_2)
	v_pk_fma_f32 v[8:9], v[32:33], v[52:53], v[8:9] op_sel_hi:[1,0,1]
	s_wait_loadcnt 0x4
	v_pk_fma_f32 v[0:1], v[34:35], v[54:55], v[0:1] op_sel_hi:[1,0,1]
	s_delay_alu instid0(VALU_DEP_2) | instskip(SKIP_2) | instid1(VALU_DEP_4)
	v_pk_fma_f32 v[8:9], v[18:19], v[52:53], v[8:9] op_sel:[0,1,0]
	v_xor_b32_e32 v18, 0x80000000, v37
	v_mov_b32_e32 v19, v36
	v_pk_fma_f32 v[0:1], v[34:35], v[54:55], v[0:1] op_sel:[1,1,0] op_sel_hi:[0,1,1] neg_lo:[1,0,0]
	s_delay_alu instid0(VALU_DEP_4) | instskip(NEXT) | instid1(VALU_DEP_1)
	v_pk_fma_f32 v[8:9], v[36:37], v[54:55], v[8:9] op_sel_hi:[1,0,1]
	v_pk_fma_f32 v[8:9], v[18:19], v[54:55], v[8:9] op_sel:[0,1,0]
	s_wait_loadcnt 0x3
	v_xor_b32_e32 v18, 0x80000000, v41
	v_mov_b32_e32 v19, v40
	s_wait_loadcnt 0x2
	v_pk_fma_f32 v[0:1], v[38:39], v[56:57], v[0:1] op_sel_hi:[1,0,1]
	v_pk_fma_f32 v[8:9], v[40:41], v[56:57], v[8:9] op_sel_hi:[1,0,1]
	s_delay_alu instid0(VALU_DEP_2) | instskip(NEXT) | instid1(VALU_DEP_2)
	v_pk_fma_f32 v[0:1], v[38:39], v[56:57], v[0:1] op_sel:[1,1,0] op_sel_hi:[0,1,1] neg_lo:[1,0,0]
	v_pk_fma_f32 v[8:9], v[18:19], v[56:57], v[8:9] op_sel:[0,1,0]
	s_wait_loadcnt 0x1
	v_xor_b32_e32 v18, 0x80000000, v45
	v_mov_b32_e32 v19, v44
	s_wait_loadcnt 0x0
	v_pk_fma_f32 v[0:1], v[42:43], v[60:61], v[0:1] op_sel_hi:[1,0,1]
	v_pk_fma_f32 v[8:9], v[44:45], v[60:61], v[8:9] op_sel_hi:[1,0,1]
	s_delay_alu instid0(VALU_DEP_2) | instskip(NEXT) | instid1(VALU_DEP_2)
	v_pk_fma_f32 v[0:1], v[42:43], v[60:61], v[0:1] op_sel:[1,1,0] op_sel_hi:[0,1,1] neg_lo:[1,0,0]
	v_pk_fma_f32 v[8:9], v[18:19], v[60:61], v[8:9] op_sel:[0,1,0]
	s_and_not1_b32 exec_lo, exec_lo, s4
	s_cbranch_execnz .LBB177_5
; %bb.6:
	s_or_b32 exec_lo, exec_lo, s4
.LBB177_7:
	s_delay_alu instid0(SALU_CYCLE_1)
	s_or_b32 exec_lo, exec_lo, s3
	s_cbranch_execz .LBB177_9
	s_branch .LBB177_14
.LBB177_8:
                                        ; implicit-def: $vgpr1
                                        ; implicit-def: $vgpr9
.LBB177_9:
	v_mov_b32_e32 v1, 0
	s_delay_alu instid0(VALU_DEP_1)
	v_dual_mov_b32 v0, v1 :: v_dual_mov_b32 v9, v1
	v_mov_b32_e32 v8, v1
	s_and_saveexec_b32 s3, s2
	s_cbranch_execz .LBB177_13
; %bb.10:
	v_mad_u32 v12, v15, 14, 13
	v_mov_b32_e32 v11, 0
	s_mov_b32 s2, 0
	s_delay_alu instid0(VALU_DEP_1)
	v_dual_mov_b32 v8, v11 :: v_dual_mov_b32 v9, v11
	v_dual_mov_b32 v0, v11 :: v_dual_mov_b32 v1, v11
.LBB177_11:                             ; =>This Inner Loop Header: Depth=1
	global_load_b32 v10, v15, s[6:7] scale_offset
	v_dual_add_nc_u32 v26, -6, v12 :: v_dual_add_nc_u32 v36, -10, v12
	v_dual_add_nc_u32 v42, -3, v12 :: v_dual_add_nc_u32 v54, -1, v12
	s_wait_xcnt 0x0
	v_add_nc_u32_e32 v15, 4, v15
	s_delay_alu instid0(VALU_DEP_1) | instskip(SKIP_3) | instid1(VALU_DEP_1)
	v_cmp_ge_i32_e32 vcc_lo, v15, v14
	s_or_b32 s2, vcc_lo, s2
	s_wait_loadcnt 0x0
	v_subrev_nc_u32_e32 v10, s12, v10
	v_mul_lo_u32 v13, v10, 7
	v_dual_add_nc_u32 v10, -13, v12 :: v_dual_add_nc_u32 v37, -4, v12
	v_add_nc_u32_e32 v48, -2, v12
	s_delay_alu instid0(VALU_DEP_2)
	v_lshl_add_u64 v[20:21], v[10:11], 3, s[8:9]
	s_clause 0x1
	global_load_b128 v[16:19], v[20:21], off
	global_load_b64 v[22:23], v26, s[8:9] scale_offset
	global_load_b64 v[24:25], v13, s[10:11] scale_offset
	v_dual_add_nc_u32 v10, -5, v12 :: v_dual_add_nc_u32 v28, 1, v13
	global_load_b64 v[20:21], v10, s[8:9] scale_offset
	global_load_b64 v[26:27], v28, s[10:11] scale_offset
	s_wait_xcnt 0x1
	v_dual_add_nc_u32 v10, -11, v12 :: v_dual_add_nc_u32 v38, 2, v13
	s_clause 0x2
	global_load_b64 v[28:29], v10, s[8:9] scale_offset
	global_load_b64 v[30:31], v36, s[8:9] scale_offset
	;; [unrolled: 1-line block ×4, first 2 shown]
	s_wait_xcnt 0x3
	v_dual_add_nc_u32 v10, -9, v12 :: v_dual_add_nc_u32 v43, 3, v13
	s_clause 0x1
	global_load_b64 v[36:37], v10, s[8:9] scale_offset
	global_load_b64 v[38:39], v42, s[8:9] scale_offset
	global_load_b64 v[40:41], v43, s[10:11] scale_offset
	s_wait_xcnt 0x2
	v_dual_add_nc_u32 v10, -8, v12 :: v_dual_add_nc_u32 v49, 4, v13
	s_clause 0x1
	global_load_b64 v[42:43], v10, s[8:9] scale_offset
	global_load_b64 v[44:45], v48, s[8:9] scale_offset
	global_load_b64 v[46:47], v49, s[10:11] scale_offset
	;; [unrolled: 6-line block ×3, first 2 shown]
	s_wait_xcnt 0x2
	v_add_nc_u32_e32 v10, 6, v13
	global_load_b64 v[54:55], v12, s[8:9] scale_offset
	global_load_b64 v[56:57], v10, s[10:11] scale_offset
	s_wait_xcnt 0x1
	v_add_nc_u32_e32 v12, 56, v12
	s_wait_loadcnt 0x11
	v_pk_fma_f32 v[0:1], v[16:17], v[24:25], v[0:1] op_sel_hi:[1,0,1]
	v_pk_fma_f32 v[8:9], v[22:23], v[24:25], v[8:9] op_sel_hi:[1,0,1]
	s_delay_alu instid0(VALU_DEP_2) | instskip(NEXT) | instid1(VALU_DEP_2)
	v_pk_fma_f32 v[0:1], v[16:17], v[24:25], v[0:1] op_sel:[1,1,0] op_sel_hi:[0,1,1] neg_lo:[1,0,0]
	v_pk_fma_f32 v[8:9], v[22:23], v[24:25], v[8:9] op_sel:[1,1,0] op_sel_hi:[0,1,1] neg_lo:[1,0,0]
	v_xor_b32_e32 v16, 0x80000000, v19
	v_mov_b32_e32 v17, v18
	s_wait_loadcnt 0xf
	v_pk_fma_f32 v[0:1], v[18:19], v[26:27], v[0:1] op_sel_hi:[1,0,1]
	v_pk_fma_f32 v[8:9], v[20:21], v[26:27], v[8:9] op_sel_hi:[1,0,1]
	s_delay_alu instid0(VALU_DEP_2) | instskip(NEXT) | instid1(VALU_DEP_2)
	v_pk_fma_f32 v[0:1], v[16:17], v[26:27], v[0:1] op_sel:[0,1,0]
	v_pk_fma_f32 v[8:9], v[20:21], v[26:27], v[8:9] op_sel:[1,1,0] op_sel_hi:[0,1,1] neg_lo:[1,0,0]
	s_wait_loadcnt 0xb
	s_delay_alu instid0(VALU_DEP_2) | instskip(NEXT) | instid1(VALU_DEP_2)
	v_pk_fma_f32 v[0:1], v[28:29], v[34:35], v[0:1] op_sel_hi:[1,0,1]
	v_pk_fma_f32 v[8:9], v[32:33], v[34:35], v[8:9] op_sel_hi:[1,0,1]
	s_delay_alu instid0(VALU_DEP_2) | instskip(NEXT) | instid1(VALU_DEP_2)
	v_pk_fma_f32 v[0:1], v[28:29], v[34:35], v[0:1] op_sel:[1,1,0] op_sel_hi:[0,1,1] neg_lo:[1,0,0]
	v_pk_fma_f32 v[8:9], v[32:33], v[34:35], v[8:9] op_sel:[1,1,0] op_sel_hi:[0,1,1] neg_lo:[1,0,0]
	s_wait_loadcnt 0x8
	s_delay_alu instid0(VALU_DEP_2) | instskip(NEXT) | instid1(VALU_DEP_2)
	v_pk_fma_f32 v[0:1], v[30:31], v[40:41], v[0:1] op_sel_hi:[1,0,1]
	v_pk_fma_f32 v[8:9], v[38:39], v[40:41], v[8:9] op_sel_hi:[1,0,1]
	s_delay_alu instid0(VALU_DEP_2) | instskip(NEXT) | instid1(VALU_DEP_2)
	v_pk_fma_f32 v[0:1], v[30:31], v[40:41], v[0:1] op_sel:[1,1,0] op_sel_hi:[0,1,1] neg_lo:[1,0,0]
	;; [unrolled: 7-line block ×5, first 2 shown]
	v_pk_fma_f32 v[8:9], v[54:55], v[56:57], v[8:9] op_sel:[1,1,0] op_sel_hi:[0,1,1] neg_lo:[1,0,0]
	s_and_not1_b32 exec_lo, exec_lo, s2
	s_cbranch_execnz .LBB177_11
; %bb.12:
	s_or_b32 exec_lo, exec_lo, s2
.LBB177_13:
	s_delay_alu instid0(SALU_CYCLE_1)
	s_or_b32 exec_lo, exec_lo, s3
.LBB177_14:
	v_mbcnt_lo_u32_b32 v10, -1, 0
	s_delay_alu instid0(VALU_DEP_1) | instskip(SKIP_1) | instid1(VALU_DEP_1)
	v_xor_b32_e32 v15, 1, v10
	v_xor_b32_e32 v11, 2, v10
	v_cmp_gt_i32_e32 vcc_lo, 32, v11
	v_cndmask_b32_e32 v11, v10, v11, vcc_lo
	s_delay_alu instid0(VALU_DEP_4) | instskip(SKIP_2) | instid1(VALU_DEP_2)
	v_cmp_gt_i32_e32 vcc_lo, 32, v15
	v_cndmask_b32_e32 v10, v10, v15, vcc_lo
	v_cmp_eq_u32_e32 vcc_lo, 3, v7
	v_dual_lshlrev_b32 v15, 2, v10 :: v_dual_lshlrev_b32 v11, 2, v11
	ds_bpermute_b32 v12, v11, v0
	s_wait_dscnt 0x0
	v_add_f32_e32 v0, v0, v12
	ds_bpermute_b32 v13, v11, v1
	ds_bpermute_b32 v14, v11, v8
	;; [unrolled: 1-line block ×4, first 2 shown]
	s_wait_dscnt 0x2
	v_dual_add_f32 v10, v1, v13 :: v_dual_add_f32 v1, v8, v14
	s_wait_dscnt 0x1
	v_add_f32_e32 v9, v9, v11
	ds_bpermute_b32 v13, v15, v10
	ds_bpermute_b32 v8, v15, v1
	ds_bpermute_b32 v11, v15, v9
	s_and_b32 exec_lo, exec_lo, vcc_lo
	s_cbranch_execz .LBB177_19
; %bb.15:
	s_load_b64 s[2:3], s[0:1], 0x38
	v_cmp_eq_f32_e32 vcc_lo, 0, v4
	s_wait_xcnt 0x0
	v_cmp_eq_f32_e64 s0, 0, v5
	s_wait_dscnt 0x2
	v_dual_add_f32 v0, v0, v12 :: v_dual_add_f32 v12, v10, v13
	s_wait_dscnt 0x1
	v_add_f32_e32 v8, v1, v8
	s_wait_dscnt 0x0
	v_add_f32_e32 v10, v9, v11
	s_and_b32 s0, vcc_lo, s0
	s_delay_alu instid0(SALU_CYCLE_1) | instskip(NEXT) | instid1(SALU_CYCLE_1)
	s_and_saveexec_b32 s1, s0
	s_xor_b32 s0, exec_lo, s1
	s_cbranch_execz .LBB177_17
; %bb.16:
	v_xor_b32_e32 v4, 0x80000000, v3
	v_dual_mov_b32 v5, v2 :: v_dual_lshlrev_b32 v6, 1, v6
	s_delay_alu instid0(VALU_DEP_1) | instskip(NEXT) | instid1(VALU_DEP_2)
	v_ashrrev_i32_e32 v7, 31, v6
	v_pk_mul_f32 v[12:13], v[12:13], v[4:5] op_sel_hi:[0,1]
	v_pk_mul_f32 v[4:5], v[10:11], v[4:5] op_sel_hi:[0,1]
                                        ; implicit-def: $vgpr10
	s_wait_kmcnt 0x0
	s_delay_alu instid0(VALU_DEP_3) | instskip(NEXT) | instid1(VALU_DEP_3)
	v_lshl_add_u64 v[6:7], v[6:7], 3, s[2:3]
	v_pk_fma_f32 v[0:1], v[2:3], v[0:1], v[12:13] op_sel_hi:[1,0,1]
	s_delay_alu instid0(VALU_DEP_3)
	v_pk_fma_f32 v[2:3], v[2:3], v[8:9], v[4:5] op_sel_hi:[1,0,1]
                                        ; implicit-def: $vgpr4_vgpr5
                                        ; implicit-def: $vgpr12
                                        ; implicit-def: $vgpr8
	global_store_b128 v[6:7], v[0:3], off
                                        ; implicit-def: $vgpr6
                                        ; implicit-def: $vgpr2_vgpr3
                                        ; implicit-def: $vgpr0
.LBB177_17:
	s_wait_xcnt 0x0
	s_and_not1_saveexec_b32 s0, s0
	s_cbranch_execz .LBB177_19
; %bb.18:
	v_dual_mov_b32 v19, v2 :: v_dual_lshlrev_b32 v6, 1, v6
	v_xor_b32_e32 v18, 0x80000000, v3
	s_delay_alu instid0(VALU_DEP_2) | instskip(NEXT) | instid1(VALU_DEP_2)
	v_ashrrev_i32_e32 v7, 31, v6
	v_pk_mul_f32 v[12:13], v[12:13], v[18:19] op_sel_hi:[0,1]
	v_pk_mul_f32 v[10:11], v[10:11], v[18:19] op_sel_hi:[0,1]
	s_delay_alu instid0(VALU_DEP_2) | instskip(NEXT) | instid1(VALU_DEP_2)
	v_pk_fma_f32 v[0:1], v[2:3], v[0:1], v[12:13] op_sel_hi:[1,0,1]
	v_pk_fma_f32 v[2:3], v[2:3], v[8:9], v[10:11] op_sel_hi:[1,0,1]
	v_mov_b32_e32 v9, v4
	s_wait_kmcnt 0x0
	v_lshl_add_u64 v[6:7], v[6:7], 3, s[2:3]
	v_xor_b32_e32 v8, 0x80000000, v5
	global_load_b128 v[14:17], v[6:7], off
	s_wait_loadcnt 0x0
	v_pk_fma_f32 v[0:1], v[4:5], v[14:15], v[0:1] op_sel_hi:[1,0,1]
	v_pk_fma_f32 v[2:3], v[4:5], v[16:17], v[2:3] op_sel_hi:[1,0,1]
	v_mov_b32_e32 v4, v17
	s_delay_alu instid0(VALU_DEP_3) | instskip(NEXT) | instid1(VALU_DEP_2)
	v_pk_fma_f32 v[0:1], v[8:9], v[14:15], v[0:1] op_sel:[0,1,0]
	v_pk_fma_f32 v[2:3], v[8:9], v[4:5], v[2:3] op_sel_hi:[1,0,1]
	global_store_b128 v[6:7], v[0:3], off
.LBB177_19:
	s_endpgm
	.section	.rodata,"a",@progbits
	.p2align	6, 0x0
	.amdhsa_kernel _ZN9rocsparseL19gebsrmvn_2xn_kernelILj128ELj7ELj4E21rocsparse_complex_numIfEEEvi20rocsparse_direction_NS_24const_host_device_scalarIT2_EEPKiS8_PKS5_SA_S6_PS5_21rocsparse_index_base_b
		.amdhsa_group_segment_fixed_size 0
		.amdhsa_private_segment_fixed_size 0
		.amdhsa_kernarg_size 72
		.amdhsa_user_sgpr_count 2
		.amdhsa_user_sgpr_dispatch_ptr 0
		.amdhsa_user_sgpr_queue_ptr 0
		.amdhsa_user_sgpr_kernarg_segment_ptr 1
		.amdhsa_user_sgpr_dispatch_id 0
		.amdhsa_user_sgpr_kernarg_preload_length 0
		.amdhsa_user_sgpr_kernarg_preload_offset 0
		.amdhsa_user_sgpr_private_segment_size 0
		.amdhsa_wavefront_size32 1
		.amdhsa_uses_dynamic_stack 0
		.amdhsa_enable_private_segment 0
		.amdhsa_system_sgpr_workgroup_id_x 1
		.amdhsa_system_sgpr_workgroup_id_y 0
		.amdhsa_system_sgpr_workgroup_id_z 0
		.amdhsa_system_sgpr_workgroup_info 0
		.amdhsa_system_vgpr_workitem_id 0
		.amdhsa_next_free_vgpr 62
		.amdhsa_next_free_sgpr 14
		.amdhsa_named_barrier_count 0
		.amdhsa_reserve_vcc 1
		.amdhsa_float_round_mode_32 0
		.amdhsa_float_round_mode_16_64 0
		.amdhsa_float_denorm_mode_32 3
		.amdhsa_float_denorm_mode_16_64 3
		.amdhsa_fp16_overflow 0
		.amdhsa_memory_ordered 1
		.amdhsa_forward_progress 1
		.amdhsa_inst_pref_size 20
		.amdhsa_round_robin_scheduling 0
		.amdhsa_exception_fp_ieee_invalid_op 0
		.amdhsa_exception_fp_denorm_src 0
		.amdhsa_exception_fp_ieee_div_zero 0
		.amdhsa_exception_fp_ieee_overflow 0
		.amdhsa_exception_fp_ieee_underflow 0
		.amdhsa_exception_fp_ieee_inexact 0
		.amdhsa_exception_int_div_zero 0
	.end_amdhsa_kernel
	.section	.text._ZN9rocsparseL19gebsrmvn_2xn_kernelILj128ELj7ELj4E21rocsparse_complex_numIfEEEvi20rocsparse_direction_NS_24const_host_device_scalarIT2_EEPKiS8_PKS5_SA_S6_PS5_21rocsparse_index_base_b,"axG",@progbits,_ZN9rocsparseL19gebsrmvn_2xn_kernelILj128ELj7ELj4E21rocsparse_complex_numIfEEEvi20rocsparse_direction_NS_24const_host_device_scalarIT2_EEPKiS8_PKS5_SA_S6_PS5_21rocsparse_index_base_b,comdat
.Lfunc_end177:
	.size	_ZN9rocsparseL19gebsrmvn_2xn_kernelILj128ELj7ELj4E21rocsparse_complex_numIfEEEvi20rocsparse_direction_NS_24const_host_device_scalarIT2_EEPKiS8_PKS5_SA_S6_PS5_21rocsparse_index_base_b, .Lfunc_end177-_ZN9rocsparseL19gebsrmvn_2xn_kernelILj128ELj7ELj4E21rocsparse_complex_numIfEEEvi20rocsparse_direction_NS_24const_host_device_scalarIT2_EEPKiS8_PKS5_SA_S6_PS5_21rocsparse_index_base_b
                                        ; -- End function
	.set _ZN9rocsparseL19gebsrmvn_2xn_kernelILj128ELj7ELj4E21rocsparse_complex_numIfEEEvi20rocsparse_direction_NS_24const_host_device_scalarIT2_EEPKiS8_PKS5_SA_S6_PS5_21rocsparse_index_base_b.num_vgpr, 62
	.set _ZN9rocsparseL19gebsrmvn_2xn_kernelILj128ELj7ELj4E21rocsparse_complex_numIfEEEvi20rocsparse_direction_NS_24const_host_device_scalarIT2_EEPKiS8_PKS5_SA_S6_PS5_21rocsparse_index_base_b.num_agpr, 0
	.set _ZN9rocsparseL19gebsrmvn_2xn_kernelILj128ELj7ELj4E21rocsparse_complex_numIfEEEvi20rocsparse_direction_NS_24const_host_device_scalarIT2_EEPKiS8_PKS5_SA_S6_PS5_21rocsparse_index_base_b.numbered_sgpr, 14
	.set _ZN9rocsparseL19gebsrmvn_2xn_kernelILj128ELj7ELj4E21rocsparse_complex_numIfEEEvi20rocsparse_direction_NS_24const_host_device_scalarIT2_EEPKiS8_PKS5_SA_S6_PS5_21rocsparse_index_base_b.num_named_barrier, 0
	.set _ZN9rocsparseL19gebsrmvn_2xn_kernelILj128ELj7ELj4E21rocsparse_complex_numIfEEEvi20rocsparse_direction_NS_24const_host_device_scalarIT2_EEPKiS8_PKS5_SA_S6_PS5_21rocsparse_index_base_b.private_seg_size, 0
	.set _ZN9rocsparseL19gebsrmvn_2xn_kernelILj128ELj7ELj4E21rocsparse_complex_numIfEEEvi20rocsparse_direction_NS_24const_host_device_scalarIT2_EEPKiS8_PKS5_SA_S6_PS5_21rocsparse_index_base_b.uses_vcc, 1
	.set _ZN9rocsparseL19gebsrmvn_2xn_kernelILj128ELj7ELj4E21rocsparse_complex_numIfEEEvi20rocsparse_direction_NS_24const_host_device_scalarIT2_EEPKiS8_PKS5_SA_S6_PS5_21rocsparse_index_base_b.uses_flat_scratch, 1
	.set _ZN9rocsparseL19gebsrmvn_2xn_kernelILj128ELj7ELj4E21rocsparse_complex_numIfEEEvi20rocsparse_direction_NS_24const_host_device_scalarIT2_EEPKiS8_PKS5_SA_S6_PS5_21rocsparse_index_base_b.has_dyn_sized_stack, 0
	.set _ZN9rocsparseL19gebsrmvn_2xn_kernelILj128ELj7ELj4E21rocsparse_complex_numIfEEEvi20rocsparse_direction_NS_24const_host_device_scalarIT2_EEPKiS8_PKS5_SA_S6_PS5_21rocsparse_index_base_b.has_recursion, 0
	.set _ZN9rocsparseL19gebsrmvn_2xn_kernelILj128ELj7ELj4E21rocsparse_complex_numIfEEEvi20rocsparse_direction_NS_24const_host_device_scalarIT2_EEPKiS8_PKS5_SA_S6_PS5_21rocsparse_index_base_b.has_indirect_call, 0
	.section	.AMDGPU.csdata,"",@progbits
; Kernel info:
; codeLenInByte = 2516
; TotalNumSgprs: 16
; NumVgprs: 62
; ScratchSize: 0
; MemoryBound: 0
; FloatMode: 240
; IeeeMode: 1
; LDSByteSize: 0 bytes/workgroup (compile time only)
; SGPRBlocks: 0
; VGPRBlocks: 3
; NumSGPRsForWavesPerEU: 16
; NumVGPRsForWavesPerEU: 62
; NamedBarCnt: 0
; Occupancy: 16
; WaveLimiterHint : 1
; COMPUTE_PGM_RSRC2:SCRATCH_EN: 0
; COMPUTE_PGM_RSRC2:USER_SGPR: 2
; COMPUTE_PGM_RSRC2:TRAP_HANDLER: 0
; COMPUTE_PGM_RSRC2:TGID_X_EN: 1
; COMPUTE_PGM_RSRC2:TGID_Y_EN: 0
; COMPUTE_PGM_RSRC2:TGID_Z_EN: 0
; COMPUTE_PGM_RSRC2:TIDIG_COMP_CNT: 0
	.section	.text._ZN9rocsparseL19gebsrmvn_2xn_kernelILj128ELj7ELj8E21rocsparse_complex_numIfEEEvi20rocsparse_direction_NS_24const_host_device_scalarIT2_EEPKiS8_PKS5_SA_S6_PS5_21rocsparse_index_base_b,"axG",@progbits,_ZN9rocsparseL19gebsrmvn_2xn_kernelILj128ELj7ELj8E21rocsparse_complex_numIfEEEvi20rocsparse_direction_NS_24const_host_device_scalarIT2_EEPKiS8_PKS5_SA_S6_PS5_21rocsparse_index_base_b,comdat
	.globl	_ZN9rocsparseL19gebsrmvn_2xn_kernelILj128ELj7ELj8E21rocsparse_complex_numIfEEEvi20rocsparse_direction_NS_24const_host_device_scalarIT2_EEPKiS8_PKS5_SA_S6_PS5_21rocsparse_index_base_b ; -- Begin function _ZN9rocsparseL19gebsrmvn_2xn_kernelILj128ELj7ELj8E21rocsparse_complex_numIfEEEvi20rocsparse_direction_NS_24const_host_device_scalarIT2_EEPKiS8_PKS5_SA_S6_PS5_21rocsparse_index_base_b
	.p2align	8
	.type	_ZN9rocsparseL19gebsrmvn_2xn_kernelILj128ELj7ELj8E21rocsparse_complex_numIfEEEvi20rocsparse_direction_NS_24const_host_device_scalarIT2_EEPKiS8_PKS5_SA_S6_PS5_21rocsparse_index_base_b,@function
_ZN9rocsparseL19gebsrmvn_2xn_kernelILj128ELj7ELj8E21rocsparse_complex_numIfEEEvi20rocsparse_direction_NS_24const_host_device_scalarIT2_EEPKiS8_PKS5_SA_S6_PS5_21rocsparse_index_base_b: ; @_ZN9rocsparseL19gebsrmvn_2xn_kernelILj128ELj7ELj8E21rocsparse_complex_numIfEEEvi20rocsparse_direction_NS_24const_host_device_scalarIT2_EEPKiS8_PKS5_SA_S6_PS5_21rocsparse_index_base_b
; %bb.0:
	s_clause 0x2
	s_load_b64 s[12:13], s[0:1], 0x40
	s_load_b64 s[2:3], s[0:1], 0x8
	;; [unrolled: 1-line block ×3, first 2 shown]
	v_mov_b32_e32 v1, 0
	s_add_nc_u64 s[6:7], s[0:1], 8
	s_add_nc_u64 s[8:9], s[0:1], 48
	s_wait_kmcnt 0x0
	s_bitcmp1_b32 s13, 0
	s_cselect_b32 s3, s7, s3
	s_cselect_b32 s2, s6, s2
	;; [unrolled: 1-line block ×4, first 2 shown]
	s_clause 0x1
	flat_load_b64 v[2:3], v1, s[2:3]
	flat_load_b64 v[4:5], v1, s[4:5]
	s_wait_loadcnt_dscnt 0x101
	v_cmp_eq_f32_e32 vcc_lo, 0, v2
	v_cmp_eq_f32_e64 s2, 0, v3
	s_wait_loadcnt_dscnt 0x0
	v_cmp_eq_f32_e64 s3, 1.0, v4
	v_cmp_eq_f32_e64 s4, 0, v5
	s_and_b32 s2, vcc_lo, s2
	s_and_b32 s3, s3, s4
	s_delay_alu instid0(SALU_CYCLE_1) | instskip(NEXT) | instid1(SALU_CYCLE_1)
	s_and_b32 s2, s2, s3
	s_xor_b32 s2, s2, -1
	s_delay_alu instid0(SALU_CYCLE_1)
	s_and_saveexec_b32 s3, s2
	s_cbranch_execz .LBB178_19
; %bb.1:
	s_load_b64 s[2:3], s[0:1], 0x0
	s_bfe_u32 s4, ttmp6, 0x4000c
	s_and_b32 s5, ttmp6, 15
	s_add_co_i32 s4, s4, 1
	s_getreg_b32 s6, hwreg(HW_REG_IB_STS2, 6, 4)
	s_mul_i32 s4, ttmp9, s4
	v_lshrrev_b32_e32 v1, 3, v0
	s_add_co_i32 s5, s5, s4
	s_cmp_eq_u32 s6, 0
	s_cselect_b32 s4, ttmp9, s5
	s_delay_alu instid0(VALU_DEP_1) | instid1(SALU_CYCLE_1)
	v_lshl_or_b32 v6, s4, 4, v1
	s_wait_kmcnt 0x0
	s_delay_alu instid0(VALU_DEP_1)
	v_cmp_gt_i32_e32 vcc_lo, s2, v6
	s_and_b32 exec_lo, exec_lo, vcc_lo
	s_cbranch_execz .LBB178_19
; %bb.2:
	s_load_b256 s[4:11], s[0:1], 0x10
	v_ashrrev_i32_e32 v7, 31, v6
	s_cmp_lg_u32 s3, 0
	s_wait_kmcnt 0x0
	s_delay_alu instid0(VALU_DEP_1)
	v_lshl_add_u64 v[8:9], v[6:7], 2, s[4:5]
	v_and_b32_e32 v7, 7, v0
	global_load_b64 v[8:9], v[8:9], off
	s_wait_loadcnt 0x0
	v_subrev_nc_u32_e32 v0, s12, v8
	v_subrev_nc_u32_e32 v14, s12, v9
	s_delay_alu instid0(VALU_DEP_2) | instskip(NEXT) | instid1(VALU_DEP_1)
	v_add_nc_u32_e32 v15, v0, v7
	v_cmp_lt_i32_e64 s2, v15, v14
	s_cbranch_scc0 .LBB178_8
; %bb.3:
	v_mov_b32_e32 v1, 0
	s_delay_alu instid0(VALU_DEP_1)
	v_dual_mov_b32 v0, v1 :: v_dual_mov_b32 v9, v1
	v_mov_b32_e32 v8, v1
	s_and_saveexec_b32 s3, s2
	s_cbranch_execz .LBB178_7
; %bb.4:
	v_mad_u32 v12, v15, 14, 12
	v_dual_mov_b32 v11, 0 :: v_dual_mov_b32 v16, v15
	s_mov_b32 s4, 0
	s_delay_alu instid0(VALU_DEP_1)
	v_dual_mov_b32 v8, v11 :: v_dual_mov_b32 v9, v11
	v_dual_mov_b32 v0, v11 :: v_dual_mov_b32 v1, v11
.LBB178_5:                              ; =>This Inner Loop Header: Depth=1
	global_load_b32 v10, v16, s[6:7] scale_offset
	s_wait_xcnt 0x0
	v_add_nc_u32_e32 v16, 8, v16
	s_delay_alu instid0(VALU_DEP_1) | instskip(SKIP_3) | instid1(VALU_DEP_1)
	v_cmp_ge_i32_e32 vcc_lo, v16, v14
	s_or_b32 s4, vcc_lo, s4
	s_wait_loadcnt 0x0
	v_subrev_nc_u32_e32 v10, s12, v10
	v_mul_lo_u32 v17, v10, 7
	s_delay_alu instid0(VALU_DEP_1) | instskip(NEXT) | instid1(VALU_DEP_1)
	v_dual_add_nc_u32 v10, -12, v12 :: v_dual_add_nc_u32 v13, 1, v17
	v_lshl_add_u64 v[22:23], v[10:11], 3, s[8:9]
	v_add_nc_u32_e32 v10, -10, v12
	global_load_b128 v[18:21], v[22:23], off
	global_load_b64 v[46:47], v17, s[10:11] scale_offset
	v_lshl_add_u64 v[26:27], v[10:11], 3, s[8:9]
	global_load_b128 v[22:25], v[26:27], off
	global_load_b64 v[48:49], v13, s[10:11] scale_offset
	s_wait_xcnt 0x0
	v_dual_add_nc_u32 v10, -8, v12 :: v_dual_add_nc_u32 v13, 2, v17
	s_delay_alu instid0(VALU_DEP_1)
	v_lshl_add_u64 v[30:31], v[10:11], 3, s[8:9]
	v_add_nc_u32_e32 v10, -6, v12
	global_load_b128 v[26:29], v[30:31], off
	global_load_b64 v[50:51], v13, s[10:11] scale_offset
	v_lshl_add_u64 v[34:35], v[10:11], 3, s[8:9]
	s_wait_xcnt 0x0
	v_dual_add_nc_u32 v13, 3, v17 :: v_dual_add_nc_u32 v10, -4, v12
	global_load_b128 v[30:33], v[34:35], off
	global_load_b64 v[52:53], v13, s[10:11] scale_offset
	s_wait_xcnt 0x0
	v_add_nc_u32_e32 v13, 4, v17
	v_lshl_add_u64 v[38:39], v[10:11], 3, s[8:9]
	v_add_nc_u32_e32 v10, -2, v12
	global_load_b128 v[34:37], v[38:39], off
	global_load_b64 v[54:55], v13, s[10:11] scale_offset
	v_lshl_add_u64 v[42:43], v[10:11], 3, s[8:9]
	s_wait_xcnt 0x0
	v_dual_mov_b32 v13, v11 :: v_dual_add_nc_u32 v10, 5, v17
	s_delay_alu instid0(VALU_DEP_1) | instskip(SKIP_4) | instid1(VALU_DEP_2)
	v_lshl_add_u64 v[58:59], v[12:13], 3, s[8:9]
	v_add_nc_u32_e32 v12, 0x70, v12
	s_wait_loadcnt 0x8
	v_pk_fma_f32 v[0:1], v[18:19], v[46:47], v[0:1] op_sel_hi:[1,0,1]
	v_pk_fma_f32 v[8:9], v[20:21], v[46:47], v[8:9] op_sel_hi:[1,0,1]
	v_pk_fma_f32 v[0:1], v[18:19], v[46:47], v[0:1] op_sel:[1,1,0] op_sel_hi:[0,1,1] neg_lo:[1,0,0]
	s_wait_loadcnt 0x7
	v_mov_b32_e32 v19, v24
	global_load_b128 v[38:41], v[42:43], off
	global_load_b64 v[56:57], v10, s[10:11] scale_offset
	s_wait_xcnt 0x0
	v_add_nc_u32_e32 v10, 6, v17
	global_load_b128 v[42:45], v[58:59], off
	global_load_b64 v[60:61], v10, s[10:11] scale_offset
	s_wait_xcnt 0x1
	v_xor_b32_e32 v58, 0x80000000, v21
	v_mov_b32_e32 v59, v20
	v_xor_b32_e32 v18, 0x80000000, v25
	s_wait_loadcnt 0xa
	v_pk_fma_f32 v[0:1], v[22:23], v[48:49], v[0:1] op_sel_hi:[1,0,1]
	s_delay_alu instid0(VALU_DEP_3) | instskip(NEXT) | instid1(VALU_DEP_2)
	v_pk_fma_f32 v[8:9], v[58:59], v[46:47], v[8:9] op_sel:[0,1,0]
	v_pk_fma_f32 v[0:1], v[22:23], v[48:49], v[0:1] op_sel:[1,1,0] op_sel_hi:[0,1,1] neg_lo:[1,0,0]
	s_delay_alu instid0(VALU_DEP_2) | instskip(SKIP_1) | instid1(VALU_DEP_2)
	v_pk_fma_f32 v[8:9], v[24:25], v[48:49], v[8:9] op_sel_hi:[1,0,1]
	s_wait_loadcnt 0x8
	v_pk_fma_f32 v[0:1], v[26:27], v[50:51], v[0:1] op_sel_hi:[1,0,1]
	s_delay_alu instid0(VALU_DEP_2) | instskip(SKIP_2) | instid1(VALU_DEP_4)
	v_pk_fma_f32 v[8:9], v[18:19], v[48:49], v[8:9] op_sel:[0,1,0]
	v_xor_b32_e32 v18, 0x80000000, v29
	v_mov_b32_e32 v19, v28
	v_pk_fma_f32 v[0:1], v[26:27], v[50:51], v[0:1] op_sel:[1,1,0] op_sel_hi:[0,1,1] neg_lo:[1,0,0]
	s_delay_alu instid0(VALU_DEP_4) | instskip(SKIP_1) | instid1(VALU_DEP_2)
	v_pk_fma_f32 v[8:9], v[28:29], v[50:51], v[8:9] op_sel_hi:[1,0,1]
	s_wait_loadcnt 0x6
	v_pk_fma_f32 v[0:1], v[30:31], v[52:53], v[0:1] op_sel_hi:[1,0,1]
	s_delay_alu instid0(VALU_DEP_2) | instskip(SKIP_2) | instid1(VALU_DEP_4)
	v_pk_fma_f32 v[8:9], v[18:19], v[50:51], v[8:9] op_sel:[0,1,0]
	v_xor_b32_e32 v18, 0x80000000, v33
	v_mov_b32_e32 v19, v32
	v_pk_fma_f32 v[0:1], v[30:31], v[52:53], v[0:1] op_sel:[1,1,0] op_sel_hi:[0,1,1] neg_lo:[1,0,0]
	s_delay_alu instid0(VALU_DEP_4) | instskip(SKIP_1) | instid1(VALU_DEP_2)
	v_pk_fma_f32 v[8:9], v[32:33], v[52:53], v[8:9] op_sel_hi:[1,0,1]
	s_wait_loadcnt 0x4
	v_pk_fma_f32 v[0:1], v[34:35], v[54:55], v[0:1] op_sel_hi:[1,0,1]
	s_delay_alu instid0(VALU_DEP_2) | instskip(SKIP_2) | instid1(VALU_DEP_4)
	v_pk_fma_f32 v[8:9], v[18:19], v[52:53], v[8:9] op_sel:[0,1,0]
	v_xor_b32_e32 v18, 0x80000000, v37
	v_mov_b32_e32 v19, v36
	v_pk_fma_f32 v[0:1], v[34:35], v[54:55], v[0:1] op_sel:[1,1,0] op_sel_hi:[0,1,1] neg_lo:[1,0,0]
	s_delay_alu instid0(VALU_DEP_4) | instskip(NEXT) | instid1(VALU_DEP_1)
	v_pk_fma_f32 v[8:9], v[36:37], v[54:55], v[8:9] op_sel_hi:[1,0,1]
	v_pk_fma_f32 v[8:9], v[18:19], v[54:55], v[8:9] op_sel:[0,1,0]
	s_wait_loadcnt 0x3
	v_xor_b32_e32 v18, 0x80000000, v41
	v_mov_b32_e32 v19, v40
	s_wait_loadcnt 0x2
	v_pk_fma_f32 v[0:1], v[38:39], v[56:57], v[0:1] op_sel_hi:[1,0,1]
	v_pk_fma_f32 v[8:9], v[40:41], v[56:57], v[8:9] op_sel_hi:[1,0,1]
	s_delay_alu instid0(VALU_DEP_2) | instskip(NEXT) | instid1(VALU_DEP_2)
	v_pk_fma_f32 v[0:1], v[38:39], v[56:57], v[0:1] op_sel:[1,1,0] op_sel_hi:[0,1,1] neg_lo:[1,0,0]
	v_pk_fma_f32 v[8:9], v[18:19], v[56:57], v[8:9] op_sel:[0,1,0]
	s_wait_loadcnt 0x1
	v_xor_b32_e32 v18, 0x80000000, v45
	v_mov_b32_e32 v19, v44
	s_wait_loadcnt 0x0
	v_pk_fma_f32 v[0:1], v[42:43], v[60:61], v[0:1] op_sel_hi:[1,0,1]
	v_pk_fma_f32 v[8:9], v[44:45], v[60:61], v[8:9] op_sel_hi:[1,0,1]
	s_delay_alu instid0(VALU_DEP_2) | instskip(NEXT) | instid1(VALU_DEP_2)
	v_pk_fma_f32 v[0:1], v[42:43], v[60:61], v[0:1] op_sel:[1,1,0] op_sel_hi:[0,1,1] neg_lo:[1,0,0]
	v_pk_fma_f32 v[8:9], v[18:19], v[60:61], v[8:9] op_sel:[0,1,0]
	s_and_not1_b32 exec_lo, exec_lo, s4
	s_cbranch_execnz .LBB178_5
; %bb.6:
	s_or_b32 exec_lo, exec_lo, s4
.LBB178_7:
	s_delay_alu instid0(SALU_CYCLE_1)
	s_or_b32 exec_lo, exec_lo, s3
	s_cbranch_execz .LBB178_9
	s_branch .LBB178_14
.LBB178_8:
                                        ; implicit-def: $vgpr1
                                        ; implicit-def: $vgpr9
.LBB178_9:
	v_mov_b32_e32 v1, 0
	s_delay_alu instid0(VALU_DEP_1)
	v_dual_mov_b32 v0, v1 :: v_dual_mov_b32 v9, v1
	v_mov_b32_e32 v8, v1
	s_and_saveexec_b32 s3, s2
	s_cbranch_execz .LBB178_13
; %bb.10:
	v_mad_u32 v12, v15, 14, 13
	v_mov_b32_e32 v11, 0
	s_mov_b32 s2, 0
	s_delay_alu instid0(VALU_DEP_1)
	v_dual_mov_b32 v8, v11 :: v_dual_mov_b32 v9, v11
	v_dual_mov_b32 v0, v11 :: v_dual_mov_b32 v1, v11
.LBB178_11:                             ; =>This Inner Loop Header: Depth=1
	global_load_b32 v10, v15, s[6:7] scale_offset
	v_dual_add_nc_u32 v26, -6, v12 :: v_dual_add_nc_u32 v36, -10, v12
	v_dual_add_nc_u32 v42, -3, v12 :: v_dual_add_nc_u32 v54, -1, v12
	s_wait_xcnt 0x0
	v_add_nc_u32_e32 v15, 8, v15
	s_delay_alu instid0(VALU_DEP_1) | instskip(SKIP_3) | instid1(VALU_DEP_1)
	v_cmp_ge_i32_e32 vcc_lo, v15, v14
	s_or_b32 s2, vcc_lo, s2
	s_wait_loadcnt 0x0
	v_subrev_nc_u32_e32 v10, s12, v10
	v_mul_lo_u32 v13, v10, 7
	v_dual_add_nc_u32 v10, -13, v12 :: v_dual_add_nc_u32 v37, -4, v12
	v_add_nc_u32_e32 v48, -2, v12
	s_delay_alu instid0(VALU_DEP_2)
	v_lshl_add_u64 v[20:21], v[10:11], 3, s[8:9]
	s_clause 0x1
	global_load_b128 v[16:19], v[20:21], off
	global_load_b64 v[22:23], v26, s[8:9] scale_offset
	global_load_b64 v[24:25], v13, s[10:11] scale_offset
	v_dual_add_nc_u32 v10, -5, v12 :: v_dual_add_nc_u32 v28, 1, v13
	global_load_b64 v[20:21], v10, s[8:9] scale_offset
	global_load_b64 v[26:27], v28, s[10:11] scale_offset
	s_wait_xcnt 0x1
	v_dual_add_nc_u32 v10, -11, v12 :: v_dual_add_nc_u32 v38, 2, v13
	s_clause 0x2
	global_load_b64 v[28:29], v10, s[8:9] scale_offset
	global_load_b64 v[30:31], v36, s[8:9] scale_offset
	;; [unrolled: 1-line block ×4, first 2 shown]
	s_wait_xcnt 0x3
	v_dual_add_nc_u32 v10, -9, v12 :: v_dual_add_nc_u32 v43, 3, v13
	s_clause 0x1
	global_load_b64 v[36:37], v10, s[8:9] scale_offset
	global_load_b64 v[38:39], v42, s[8:9] scale_offset
	global_load_b64 v[40:41], v43, s[10:11] scale_offset
	s_wait_xcnt 0x2
	v_dual_add_nc_u32 v10, -8, v12 :: v_dual_add_nc_u32 v49, 4, v13
	s_clause 0x1
	global_load_b64 v[42:43], v10, s[8:9] scale_offset
	global_load_b64 v[44:45], v48, s[8:9] scale_offset
	global_load_b64 v[46:47], v49, s[10:11] scale_offset
	;; [unrolled: 6-line block ×3, first 2 shown]
	s_wait_xcnt 0x2
	v_add_nc_u32_e32 v10, 6, v13
	global_load_b64 v[54:55], v12, s[8:9] scale_offset
	global_load_b64 v[56:57], v10, s[10:11] scale_offset
	s_wait_xcnt 0x1
	v_add_nc_u32_e32 v12, 0x70, v12
	s_wait_loadcnt 0x11
	v_pk_fma_f32 v[0:1], v[16:17], v[24:25], v[0:1] op_sel_hi:[1,0,1]
	v_pk_fma_f32 v[8:9], v[22:23], v[24:25], v[8:9] op_sel_hi:[1,0,1]
	s_delay_alu instid0(VALU_DEP_2) | instskip(NEXT) | instid1(VALU_DEP_2)
	v_pk_fma_f32 v[0:1], v[16:17], v[24:25], v[0:1] op_sel:[1,1,0] op_sel_hi:[0,1,1] neg_lo:[1,0,0]
	v_pk_fma_f32 v[8:9], v[22:23], v[24:25], v[8:9] op_sel:[1,1,0] op_sel_hi:[0,1,1] neg_lo:[1,0,0]
	v_xor_b32_e32 v16, 0x80000000, v19
	v_mov_b32_e32 v17, v18
	s_wait_loadcnt 0xf
	v_pk_fma_f32 v[0:1], v[18:19], v[26:27], v[0:1] op_sel_hi:[1,0,1]
	v_pk_fma_f32 v[8:9], v[20:21], v[26:27], v[8:9] op_sel_hi:[1,0,1]
	s_delay_alu instid0(VALU_DEP_2) | instskip(NEXT) | instid1(VALU_DEP_2)
	v_pk_fma_f32 v[0:1], v[16:17], v[26:27], v[0:1] op_sel:[0,1,0]
	v_pk_fma_f32 v[8:9], v[20:21], v[26:27], v[8:9] op_sel:[1,1,0] op_sel_hi:[0,1,1] neg_lo:[1,0,0]
	s_wait_loadcnt 0xb
	s_delay_alu instid0(VALU_DEP_2) | instskip(NEXT) | instid1(VALU_DEP_2)
	v_pk_fma_f32 v[0:1], v[28:29], v[34:35], v[0:1] op_sel_hi:[1,0,1]
	v_pk_fma_f32 v[8:9], v[32:33], v[34:35], v[8:9] op_sel_hi:[1,0,1]
	s_delay_alu instid0(VALU_DEP_2) | instskip(NEXT) | instid1(VALU_DEP_2)
	v_pk_fma_f32 v[0:1], v[28:29], v[34:35], v[0:1] op_sel:[1,1,0] op_sel_hi:[0,1,1] neg_lo:[1,0,0]
	v_pk_fma_f32 v[8:9], v[32:33], v[34:35], v[8:9] op_sel:[1,1,0] op_sel_hi:[0,1,1] neg_lo:[1,0,0]
	s_wait_loadcnt 0x8
	s_delay_alu instid0(VALU_DEP_2) | instskip(NEXT) | instid1(VALU_DEP_2)
	v_pk_fma_f32 v[0:1], v[30:31], v[40:41], v[0:1] op_sel_hi:[1,0,1]
	v_pk_fma_f32 v[8:9], v[38:39], v[40:41], v[8:9] op_sel_hi:[1,0,1]
	s_delay_alu instid0(VALU_DEP_2) | instskip(NEXT) | instid1(VALU_DEP_2)
	v_pk_fma_f32 v[0:1], v[30:31], v[40:41], v[0:1] op_sel:[1,1,0] op_sel_hi:[0,1,1] neg_lo:[1,0,0]
	;; [unrolled: 7-line block ×5, first 2 shown]
	v_pk_fma_f32 v[8:9], v[54:55], v[56:57], v[8:9] op_sel:[1,1,0] op_sel_hi:[0,1,1] neg_lo:[1,0,0]
	s_and_not1_b32 exec_lo, exec_lo, s2
	s_cbranch_execnz .LBB178_11
; %bb.12:
	s_or_b32 exec_lo, exec_lo, s2
.LBB178_13:
	s_delay_alu instid0(SALU_CYCLE_1)
	s_or_b32 exec_lo, exec_lo, s3
.LBB178_14:
	v_mbcnt_lo_u32_b32 v10, -1, 0
	s_delay_alu instid0(VALU_DEP_1) | instskip(SKIP_1) | instid1(VALU_DEP_1)
	v_xor_b32_e32 v15, 2, v10
	v_xor_b32_e32 v11, 4, v10
	v_cmp_gt_i32_e32 vcc_lo, 32, v11
	v_cndmask_b32_e32 v11, v10, v11, vcc_lo
	s_delay_alu instid0(VALU_DEP_1)
	v_lshlrev_b32_e32 v11, 2, v11
	ds_bpermute_b32 v13, v11, v1
	s_wait_dscnt 0x0
	v_add_f32_e32 v1, v1, v13
	ds_bpermute_b32 v12, v11, v0
	ds_bpermute_b32 v14, v11, v8
	;; [unrolled: 1-line block ×3, first 2 shown]
	s_wait_dscnt 0x2
	v_add_f32_e32 v0, v0, v12
	s_wait_dscnt 0x0
	v_dual_add_f32 v12, v8, v14 :: v_dual_add_f32 v9, v9, v11
	v_cmp_gt_i32_e32 vcc_lo, 32, v15
	v_cndmask_b32_e32 v15, v10, v15, vcc_lo
	s_delay_alu instid0(VALU_DEP_1)
	v_lshlrev_b32_e32 v15, 2, v15
	ds_bpermute_b32 v8, v15, v0
	ds_bpermute_b32 v11, v15, v1
	;; [unrolled: 1-line block ×4, first 2 shown]
	s_wait_dscnt 0x3
	v_dual_add_f32 v0, v0, v8 :: v_dual_bitop2_b32 v15, 1, v10 bitop3:0x14
	s_delay_alu instid0(VALU_DEP_1)
	v_cmp_gt_i32_e32 vcc_lo, 32, v15
	s_wait_dscnt 0x1
	v_dual_add_f32 v8, v1, v11 :: v_dual_add_f32 v1, v12, v13
	s_wait_dscnt 0x0
	v_dual_add_f32 v9, v9, v14 :: v_dual_cndmask_b32 v10, v10, v15
	v_cmp_eq_u32_e32 vcc_lo, 7, v7
	s_delay_alu instid0(VALU_DEP_2)
	v_lshlrev_b32_e32 v15, 2, v10
	ds_bpermute_b32 v12, v15, v0
	ds_bpermute_b32 v13, v15, v8
	;; [unrolled: 1-line block ×4, first 2 shown]
	s_and_b32 exec_lo, exec_lo, vcc_lo
	s_cbranch_execz .LBB178_19
; %bb.15:
	s_load_b64 s[2:3], s[0:1], 0x38
	v_cmp_eq_f32_e32 vcc_lo, 0, v4
	s_wait_xcnt 0x0
	v_cmp_eq_f32_e64 s0, 0, v5
	s_wait_dscnt 0x3
	v_add_f32_e32 v0, v0, v12
	s_wait_dscnt 0x1
	v_dual_add_f32 v12, v8, v13 :: v_dual_add_f32 v8, v1, v10
	s_wait_dscnt 0x0
	v_add_f32_e32 v10, v9, v11
	s_and_b32 s0, vcc_lo, s0
	s_delay_alu instid0(SALU_CYCLE_1) | instskip(NEXT) | instid1(SALU_CYCLE_1)
	s_and_saveexec_b32 s1, s0
	s_xor_b32 s0, exec_lo, s1
	s_cbranch_execz .LBB178_17
; %bb.16:
	v_xor_b32_e32 v4, 0x80000000, v3
	v_dual_mov_b32 v5, v2 :: v_dual_lshlrev_b32 v6, 1, v6
	s_delay_alu instid0(VALU_DEP_1) | instskip(NEXT) | instid1(VALU_DEP_2)
	v_ashrrev_i32_e32 v7, 31, v6
	v_pk_mul_f32 v[12:13], v[12:13], v[4:5] op_sel_hi:[0,1]
	v_pk_mul_f32 v[4:5], v[10:11], v[4:5] op_sel_hi:[0,1]
                                        ; implicit-def: $vgpr10
	s_wait_kmcnt 0x0
	s_delay_alu instid0(VALU_DEP_3) | instskip(NEXT) | instid1(VALU_DEP_3)
	v_lshl_add_u64 v[6:7], v[6:7], 3, s[2:3]
	v_pk_fma_f32 v[0:1], v[2:3], v[0:1], v[12:13] op_sel_hi:[1,0,1]
	s_delay_alu instid0(VALU_DEP_3)
	v_pk_fma_f32 v[2:3], v[2:3], v[8:9], v[4:5] op_sel_hi:[1,0,1]
                                        ; implicit-def: $vgpr4_vgpr5
                                        ; implicit-def: $vgpr12
                                        ; implicit-def: $vgpr8
	global_store_b128 v[6:7], v[0:3], off
                                        ; implicit-def: $vgpr6
                                        ; implicit-def: $vgpr2_vgpr3
                                        ; implicit-def: $vgpr0
.LBB178_17:
	s_wait_xcnt 0x0
	s_and_not1_saveexec_b32 s0, s0
	s_cbranch_execz .LBB178_19
; %bb.18:
	v_dual_mov_b32 v19, v2 :: v_dual_lshlrev_b32 v6, 1, v6
	v_xor_b32_e32 v18, 0x80000000, v3
	s_delay_alu instid0(VALU_DEP_2) | instskip(NEXT) | instid1(VALU_DEP_2)
	v_ashrrev_i32_e32 v7, 31, v6
	v_pk_mul_f32 v[12:13], v[12:13], v[18:19] op_sel_hi:[0,1]
	v_pk_mul_f32 v[10:11], v[10:11], v[18:19] op_sel_hi:[0,1]
	s_delay_alu instid0(VALU_DEP_2) | instskip(NEXT) | instid1(VALU_DEP_2)
	v_pk_fma_f32 v[0:1], v[2:3], v[0:1], v[12:13] op_sel_hi:[1,0,1]
	v_pk_fma_f32 v[2:3], v[2:3], v[8:9], v[10:11] op_sel_hi:[1,0,1]
	v_mov_b32_e32 v9, v4
	s_wait_kmcnt 0x0
	v_lshl_add_u64 v[6:7], v[6:7], 3, s[2:3]
	v_xor_b32_e32 v8, 0x80000000, v5
	global_load_b128 v[14:17], v[6:7], off
	s_wait_loadcnt 0x0
	v_pk_fma_f32 v[0:1], v[4:5], v[14:15], v[0:1] op_sel_hi:[1,0,1]
	v_pk_fma_f32 v[2:3], v[4:5], v[16:17], v[2:3] op_sel_hi:[1,0,1]
	v_mov_b32_e32 v4, v17
	s_delay_alu instid0(VALU_DEP_3) | instskip(NEXT) | instid1(VALU_DEP_2)
	v_pk_fma_f32 v[0:1], v[8:9], v[14:15], v[0:1] op_sel:[0,1,0]
	v_pk_fma_f32 v[2:3], v[8:9], v[4:5], v[2:3] op_sel_hi:[1,0,1]
	global_store_b128 v[6:7], v[0:3], off
.LBB178_19:
	s_endpgm
	.section	.rodata,"a",@progbits
	.p2align	6, 0x0
	.amdhsa_kernel _ZN9rocsparseL19gebsrmvn_2xn_kernelILj128ELj7ELj8E21rocsparse_complex_numIfEEEvi20rocsparse_direction_NS_24const_host_device_scalarIT2_EEPKiS8_PKS5_SA_S6_PS5_21rocsparse_index_base_b
		.amdhsa_group_segment_fixed_size 0
		.amdhsa_private_segment_fixed_size 0
		.amdhsa_kernarg_size 72
		.amdhsa_user_sgpr_count 2
		.amdhsa_user_sgpr_dispatch_ptr 0
		.amdhsa_user_sgpr_queue_ptr 0
		.amdhsa_user_sgpr_kernarg_segment_ptr 1
		.amdhsa_user_sgpr_dispatch_id 0
		.amdhsa_user_sgpr_kernarg_preload_length 0
		.amdhsa_user_sgpr_kernarg_preload_offset 0
		.amdhsa_user_sgpr_private_segment_size 0
		.amdhsa_wavefront_size32 1
		.amdhsa_uses_dynamic_stack 0
		.amdhsa_enable_private_segment 0
		.amdhsa_system_sgpr_workgroup_id_x 1
		.amdhsa_system_sgpr_workgroup_id_y 0
		.amdhsa_system_sgpr_workgroup_id_z 0
		.amdhsa_system_sgpr_workgroup_info 0
		.amdhsa_system_vgpr_workitem_id 0
		.amdhsa_next_free_vgpr 62
		.amdhsa_next_free_sgpr 14
		.amdhsa_named_barrier_count 0
		.amdhsa_reserve_vcc 1
		.amdhsa_float_round_mode_32 0
		.amdhsa_float_round_mode_16_64 0
		.amdhsa_float_denorm_mode_32 3
		.amdhsa_float_denorm_mode_16_64 3
		.amdhsa_fp16_overflow 0
		.amdhsa_memory_ordered 1
		.amdhsa_forward_progress 1
		.amdhsa_inst_pref_size 21
		.amdhsa_round_robin_scheduling 0
		.amdhsa_exception_fp_ieee_invalid_op 0
		.amdhsa_exception_fp_denorm_src 0
		.amdhsa_exception_fp_ieee_div_zero 0
		.amdhsa_exception_fp_ieee_overflow 0
		.amdhsa_exception_fp_ieee_underflow 0
		.amdhsa_exception_fp_ieee_inexact 0
		.amdhsa_exception_int_div_zero 0
	.end_amdhsa_kernel
	.section	.text._ZN9rocsparseL19gebsrmvn_2xn_kernelILj128ELj7ELj8E21rocsparse_complex_numIfEEEvi20rocsparse_direction_NS_24const_host_device_scalarIT2_EEPKiS8_PKS5_SA_S6_PS5_21rocsparse_index_base_b,"axG",@progbits,_ZN9rocsparseL19gebsrmvn_2xn_kernelILj128ELj7ELj8E21rocsparse_complex_numIfEEEvi20rocsparse_direction_NS_24const_host_device_scalarIT2_EEPKiS8_PKS5_SA_S6_PS5_21rocsparse_index_base_b,comdat
.Lfunc_end178:
	.size	_ZN9rocsparseL19gebsrmvn_2xn_kernelILj128ELj7ELj8E21rocsparse_complex_numIfEEEvi20rocsparse_direction_NS_24const_host_device_scalarIT2_EEPKiS8_PKS5_SA_S6_PS5_21rocsparse_index_base_b, .Lfunc_end178-_ZN9rocsparseL19gebsrmvn_2xn_kernelILj128ELj7ELj8E21rocsparse_complex_numIfEEEvi20rocsparse_direction_NS_24const_host_device_scalarIT2_EEPKiS8_PKS5_SA_S6_PS5_21rocsparse_index_base_b
                                        ; -- End function
	.set _ZN9rocsparseL19gebsrmvn_2xn_kernelILj128ELj7ELj8E21rocsparse_complex_numIfEEEvi20rocsparse_direction_NS_24const_host_device_scalarIT2_EEPKiS8_PKS5_SA_S6_PS5_21rocsparse_index_base_b.num_vgpr, 62
	.set _ZN9rocsparseL19gebsrmvn_2xn_kernelILj128ELj7ELj8E21rocsparse_complex_numIfEEEvi20rocsparse_direction_NS_24const_host_device_scalarIT2_EEPKiS8_PKS5_SA_S6_PS5_21rocsparse_index_base_b.num_agpr, 0
	.set _ZN9rocsparseL19gebsrmvn_2xn_kernelILj128ELj7ELj8E21rocsparse_complex_numIfEEEvi20rocsparse_direction_NS_24const_host_device_scalarIT2_EEPKiS8_PKS5_SA_S6_PS5_21rocsparse_index_base_b.numbered_sgpr, 14
	.set _ZN9rocsparseL19gebsrmvn_2xn_kernelILj128ELj7ELj8E21rocsparse_complex_numIfEEEvi20rocsparse_direction_NS_24const_host_device_scalarIT2_EEPKiS8_PKS5_SA_S6_PS5_21rocsparse_index_base_b.num_named_barrier, 0
	.set _ZN9rocsparseL19gebsrmvn_2xn_kernelILj128ELj7ELj8E21rocsparse_complex_numIfEEEvi20rocsparse_direction_NS_24const_host_device_scalarIT2_EEPKiS8_PKS5_SA_S6_PS5_21rocsparse_index_base_b.private_seg_size, 0
	.set _ZN9rocsparseL19gebsrmvn_2xn_kernelILj128ELj7ELj8E21rocsparse_complex_numIfEEEvi20rocsparse_direction_NS_24const_host_device_scalarIT2_EEPKiS8_PKS5_SA_S6_PS5_21rocsparse_index_base_b.uses_vcc, 1
	.set _ZN9rocsparseL19gebsrmvn_2xn_kernelILj128ELj7ELj8E21rocsparse_complex_numIfEEEvi20rocsparse_direction_NS_24const_host_device_scalarIT2_EEPKiS8_PKS5_SA_S6_PS5_21rocsparse_index_base_b.uses_flat_scratch, 1
	.set _ZN9rocsparseL19gebsrmvn_2xn_kernelILj128ELj7ELj8E21rocsparse_complex_numIfEEEvi20rocsparse_direction_NS_24const_host_device_scalarIT2_EEPKiS8_PKS5_SA_S6_PS5_21rocsparse_index_base_b.has_dyn_sized_stack, 0
	.set _ZN9rocsparseL19gebsrmvn_2xn_kernelILj128ELj7ELj8E21rocsparse_complex_numIfEEEvi20rocsparse_direction_NS_24const_host_device_scalarIT2_EEPKiS8_PKS5_SA_S6_PS5_21rocsparse_index_base_b.has_recursion, 0
	.set _ZN9rocsparseL19gebsrmvn_2xn_kernelILj128ELj7ELj8E21rocsparse_complex_numIfEEEvi20rocsparse_direction_NS_24const_host_device_scalarIT2_EEPKiS8_PKS5_SA_S6_PS5_21rocsparse_index_base_b.has_indirect_call, 0
	.section	.AMDGPU.csdata,"",@progbits
; Kernel info:
; codeLenInByte = 2612
; TotalNumSgprs: 16
; NumVgprs: 62
; ScratchSize: 0
; MemoryBound: 0
; FloatMode: 240
; IeeeMode: 1
; LDSByteSize: 0 bytes/workgroup (compile time only)
; SGPRBlocks: 0
; VGPRBlocks: 3
; NumSGPRsForWavesPerEU: 16
; NumVGPRsForWavesPerEU: 62
; NamedBarCnt: 0
; Occupancy: 16
; WaveLimiterHint : 1
; COMPUTE_PGM_RSRC2:SCRATCH_EN: 0
; COMPUTE_PGM_RSRC2:USER_SGPR: 2
; COMPUTE_PGM_RSRC2:TRAP_HANDLER: 0
; COMPUTE_PGM_RSRC2:TGID_X_EN: 1
; COMPUTE_PGM_RSRC2:TGID_Y_EN: 0
; COMPUTE_PGM_RSRC2:TGID_Z_EN: 0
; COMPUTE_PGM_RSRC2:TIDIG_COMP_CNT: 0
	.section	.text._ZN9rocsparseL19gebsrmvn_2xn_kernelILj128ELj7ELj16E21rocsparse_complex_numIfEEEvi20rocsparse_direction_NS_24const_host_device_scalarIT2_EEPKiS8_PKS5_SA_S6_PS5_21rocsparse_index_base_b,"axG",@progbits,_ZN9rocsparseL19gebsrmvn_2xn_kernelILj128ELj7ELj16E21rocsparse_complex_numIfEEEvi20rocsparse_direction_NS_24const_host_device_scalarIT2_EEPKiS8_PKS5_SA_S6_PS5_21rocsparse_index_base_b,comdat
	.globl	_ZN9rocsparseL19gebsrmvn_2xn_kernelILj128ELj7ELj16E21rocsparse_complex_numIfEEEvi20rocsparse_direction_NS_24const_host_device_scalarIT2_EEPKiS8_PKS5_SA_S6_PS5_21rocsparse_index_base_b ; -- Begin function _ZN9rocsparseL19gebsrmvn_2xn_kernelILj128ELj7ELj16E21rocsparse_complex_numIfEEEvi20rocsparse_direction_NS_24const_host_device_scalarIT2_EEPKiS8_PKS5_SA_S6_PS5_21rocsparse_index_base_b
	.p2align	8
	.type	_ZN9rocsparseL19gebsrmvn_2xn_kernelILj128ELj7ELj16E21rocsparse_complex_numIfEEEvi20rocsparse_direction_NS_24const_host_device_scalarIT2_EEPKiS8_PKS5_SA_S6_PS5_21rocsparse_index_base_b,@function
_ZN9rocsparseL19gebsrmvn_2xn_kernelILj128ELj7ELj16E21rocsparse_complex_numIfEEEvi20rocsparse_direction_NS_24const_host_device_scalarIT2_EEPKiS8_PKS5_SA_S6_PS5_21rocsparse_index_base_b: ; @_ZN9rocsparseL19gebsrmvn_2xn_kernelILj128ELj7ELj16E21rocsparse_complex_numIfEEEvi20rocsparse_direction_NS_24const_host_device_scalarIT2_EEPKiS8_PKS5_SA_S6_PS5_21rocsparse_index_base_b
; %bb.0:
	s_clause 0x2
	s_load_b64 s[12:13], s[0:1], 0x40
	s_load_b64 s[2:3], s[0:1], 0x8
	;; [unrolled: 1-line block ×3, first 2 shown]
	v_mov_b32_e32 v1, 0
	s_add_nc_u64 s[6:7], s[0:1], 8
	s_add_nc_u64 s[8:9], s[0:1], 48
	s_wait_kmcnt 0x0
	s_bitcmp1_b32 s13, 0
	s_cselect_b32 s3, s7, s3
	s_cselect_b32 s2, s6, s2
	;; [unrolled: 1-line block ×4, first 2 shown]
	s_clause 0x1
	flat_load_b64 v[2:3], v1, s[2:3]
	flat_load_b64 v[4:5], v1, s[4:5]
	s_wait_loadcnt_dscnt 0x101
	v_cmp_eq_f32_e32 vcc_lo, 0, v2
	v_cmp_eq_f32_e64 s2, 0, v3
	s_wait_loadcnt_dscnt 0x0
	v_cmp_eq_f32_e64 s3, 1.0, v4
	v_cmp_eq_f32_e64 s4, 0, v5
	s_and_b32 s2, vcc_lo, s2
	s_and_b32 s3, s3, s4
	s_delay_alu instid0(SALU_CYCLE_1) | instskip(NEXT) | instid1(SALU_CYCLE_1)
	s_and_b32 s2, s2, s3
	s_xor_b32 s2, s2, -1
	s_delay_alu instid0(SALU_CYCLE_1)
	s_and_saveexec_b32 s3, s2
	s_cbranch_execz .LBB179_19
; %bb.1:
	s_load_b64 s[2:3], s[0:1], 0x0
	s_bfe_u32 s4, ttmp6, 0x4000c
	s_and_b32 s5, ttmp6, 15
	s_add_co_i32 s4, s4, 1
	s_getreg_b32 s6, hwreg(HW_REG_IB_STS2, 6, 4)
	s_mul_i32 s4, ttmp9, s4
	v_lshrrev_b32_e32 v1, 4, v0
	s_add_co_i32 s5, s5, s4
	s_cmp_eq_u32 s6, 0
	s_cselect_b32 s4, ttmp9, s5
	s_delay_alu instid0(VALU_DEP_1) | instid1(SALU_CYCLE_1)
	v_lshl_or_b32 v6, s4, 3, v1
	s_wait_kmcnt 0x0
	s_delay_alu instid0(VALU_DEP_1)
	v_cmp_gt_i32_e32 vcc_lo, s2, v6
	s_and_b32 exec_lo, exec_lo, vcc_lo
	s_cbranch_execz .LBB179_19
; %bb.2:
	s_load_b256 s[4:11], s[0:1], 0x10
	v_ashrrev_i32_e32 v7, 31, v6
	s_cmp_lg_u32 s3, 0
	s_wait_kmcnt 0x0
	s_delay_alu instid0(VALU_DEP_1)
	v_lshl_add_u64 v[8:9], v[6:7], 2, s[4:5]
	v_and_b32_e32 v7, 15, v0
	global_load_b64 v[8:9], v[8:9], off
	s_wait_loadcnt 0x0
	v_subrev_nc_u32_e32 v0, s12, v8
	v_subrev_nc_u32_e32 v14, s12, v9
	s_delay_alu instid0(VALU_DEP_2) | instskip(NEXT) | instid1(VALU_DEP_1)
	v_add_nc_u32_e32 v15, v0, v7
	v_cmp_lt_i32_e64 s2, v15, v14
	s_cbranch_scc0 .LBB179_8
; %bb.3:
	v_mov_b32_e32 v1, 0
	s_delay_alu instid0(VALU_DEP_1)
	v_dual_mov_b32 v0, v1 :: v_dual_mov_b32 v9, v1
	v_mov_b32_e32 v8, v1
	s_and_saveexec_b32 s3, s2
	s_cbranch_execz .LBB179_7
; %bb.4:
	v_mad_u32 v12, v15, 14, 12
	v_dual_mov_b32 v11, 0 :: v_dual_mov_b32 v16, v15
	s_mov_b32 s4, 0
	s_delay_alu instid0(VALU_DEP_1)
	v_dual_mov_b32 v8, v11 :: v_dual_mov_b32 v9, v11
	v_dual_mov_b32 v0, v11 :: v_dual_mov_b32 v1, v11
.LBB179_5:                              ; =>This Inner Loop Header: Depth=1
	global_load_b32 v10, v16, s[6:7] scale_offset
	s_wait_xcnt 0x0
	v_add_nc_u32_e32 v16, 16, v16
	s_delay_alu instid0(VALU_DEP_1) | instskip(SKIP_3) | instid1(VALU_DEP_1)
	v_cmp_ge_i32_e32 vcc_lo, v16, v14
	s_or_b32 s4, vcc_lo, s4
	s_wait_loadcnt 0x0
	v_subrev_nc_u32_e32 v10, s12, v10
	v_mul_lo_u32 v17, v10, 7
	s_delay_alu instid0(VALU_DEP_1) | instskip(NEXT) | instid1(VALU_DEP_1)
	v_dual_add_nc_u32 v10, -12, v12 :: v_dual_add_nc_u32 v13, 1, v17
	v_lshl_add_u64 v[22:23], v[10:11], 3, s[8:9]
	v_add_nc_u32_e32 v10, -10, v12
	global_load_b128 v[18:21], v[22:23], off
	global_load_b64 v[46:47], v17, s[10:11] scale_offset
	v_lshl_add_u64 v[26:27], v[10:11], 3, s[8:9]
	global_load_b128 v[22:25], v[26:27], off
	global_load_b64 v[48:49], v13, s[10:11] scale_offset
	s_wait_xcnt 0x0
	v_dual_add_nc_u32 v10, -8, v12 :: v_dual_add_nc_u32 v13, 2, v17
	s_delay_alu instid0(VALU_DEP_1)
	v_lshl_add_u64 v[30:31], v[10:11], 3, s[8:9]
	v_add_nc_u32_e32 v10, -6, v12
	global_load_b128 v[26:29], v[30:31], off
	global_load_b64 v[50:51], v13, s[10:11] scale_offset
	v_lshl_add_u64 v[34:35], v[10:11], 3, s[8:9]
	s_wait_xcnt 0x0
	v_dual_add_nc_u32 v13, 3, v17 :: v_dual_add_nc_u32 v10, -4, v12
	global_load_b128 v[30:33], v[34:35], off
	global_load_b64 v[52:53], v13, s[10:11] scale_offset
	s_wait_xcnt 0x0
	v_add_nc_u32_e32 v13, 4, v17
	v_lshl_add_u64 v[38:39], v[10:11], 3, s[8:9]
	v_add_nc_u32_e32 v10, -2, v12
	global_load_b128 v[34:37], v[38:39], off
	global_load_b64 v[54:55], v13, s[10:11] scale_offset
	v_lshl_add_u64 v[42:43], v[10:11], 3, s[8:9]
	s_wait_xcnt 0x0
	v_dual_mov_b32 v13, v11 :: v_dual_add_nc_u32 v10, 5, v17
	s_delay_alu instid0(VALU_DEP_1) | instskip(SKIP_4) | instid1(VALU_DEP_2)
	v_lshl_add_u64 v[58:59], v[12:13], 3, s[8:9]
	v_add_nc_u32_e32 v12, 0xe0, v12
	s_wait_loadcnt 0x8
	v_pk_fma_f32 v[0:1], v[18:19], v[46:47], v[0:1] op_sel_hi:[1,0,1]
	v_pk_fma_f32 v[8:9], v[20:21], v[46:47], v[8:9] op_sel_hi:[1,0,1]
	v_pk_fma_f32 v[0:1], v[18:19], v[46:47], v[0:1] op_sel:[1,1,0] op_sel_hi:[0,1,1] neg_lo:[1,0,0]
	s_wait_loadcnt 0x7
	v_mov_b32_e32 v19, v24
	global_load_b128 v[38:41], v[42:43], off
	global_load_b64 v[56:57], v10, s[10:11] scale_offset
	s_wait_xcnt 0x0
	v_add_nc_u32_e32 v10, 6, v17
	global_load_b128 v[42:45], v[58:59], off
	global_load_b64 v[60:61], v10, s[10:11] scale_offset
	s_wait_xcnt 0x1
	v_xor_b32_e32 v58, 0x80000000, v21
	v_mov_b32_e32 v59, v20
	v_xor_b32_e32 v18, 0x80000000, v25
	s_wait_loadcnt 0xa
	v_pk_fma_f32 v[0:1], v[22:23], v[48:49], v[0:1] op_sel_hi:[1,0,1]
	s_delay_alu instid0(VALU_DEP_3) | instskip(NEXT) | instid1(VALU_DEP_2)
	v_pk_fma_f32 v[8:9], v[58:59], v[46:47], v[8:9] op_sel:[0,1,0]
	v_pk_fma_f32 v[0:1], v[22:23], v[48:49], v[0:1] op_sel:[1,1,0] op_sel_hi:[0,1,1] neg_lo:[1,0,0]
	s_delay_alu instid0(VALU_DEP_2) | instskip(SKIP_1) | instid1(VALU_DEP_2)
	v_pk_fma_f32 v[8:9], v[24:25], v[48:49], v[8:9] op_sel_hi:[1,0,1]
	s_wait_loadcnt 0x8
	v_pk_fma_f32 v[0:1], v[26:27], v[50:51], v[0:1] op_sel_hi:[1,0,1]
	s_delay_alu instid0(VALU_DEP_2) | instskip(SKIP_2) | instid1(VALU_DEP_4)
	v_pk_fma_f32 v[8:9], v[18:19], v[48:49], v[8:9] op_sel:[0,1,0]
	v_xor_b32_e32 v18, 0x80000000, v29
	v_mov_b32_e32 v19, v28
	v_pk_fma_f32 v[0:1], v[26:27], v[50:51], v[0:1] op_sel:[1,1,0] op_sel_hi:[0,1,1] neg_lo:[1,0,0]
	s_delay_alu instid0(VALU_DEP_4) | instskip(SKIP_1) | instid1(VALU_DEP_2)
	v_pk_fma_f32 v[8:9], v[28:29], v[50:51], v[8:9] op_sel_hi:[1,0,1]
	s_wait_loadcnt 0x6
	v_pk_fma_f32 v[0:1], v[30:31], v[52:53], v[0:1] op_sel_hi:[1,0,1]
	s_delay_alu instid0(VALU_DEP_2) | instskip(SKIP_2) | instid1(VALU_DEP_4)
	v_pk_fma_f32 v[8:9], v[18:19], v[50:51], v[8:9] op_sel:[0,1,0]
	v_xor_b32_e32 v18, 0x80000000, v33
	v_mov_b32_e32 v19, v32
	v_pk_fma_f32 v[0:1], v[30:31], v[52:53], v[0:1] op_sel:[1,1,0] op_sel_hi:[0,1,1] neg_lo:[1,0,0]
	s_delay_alu instid0(VALU_DEP_4) | instskip(SKIP_1) | instid1(VALU_DEP_2)
	v_pk_fma_f32 v[8:9], v[32:33], v[52:53], v[8:9] op_sel_hi:[1,0,1]
	s_wait_loadcnt 0x4
	v_pk_fma_f32 v[0:1], v[34:35], v[54:55], v[0:1] op_sel_hi:[1,0,1]
	s_delay_alu instid0(VALU_DEP_2) | instskip(SKIP_2) | instid1(VALU_DEP_4)
	v_pk_fma_f32 v[8:9], v[18:19], v[52:53], v[8:9] op_sel:[0,1,0]
	v_xor_b32_e32 v18, 0x80000000, v37
	v_mov_b32_e32 v19, v36
	v_pk_fma_f32 v[0:1], v[34:35], v[54:55], v[0:1] op_sel:[1,1,0] op_sel_hi:[0,1,1] neg_lo:[1,0,0]
	s_delay_alu instid0(VALU_DEP_4) | instskip(NEXT) | instid1(VALU_DEP_1)
	v_pk_fma_f32 v[8:9], v[36:37], v[54:55], v[8:9] op_sel_hi:[1,0,1]
	v_pk_fma_f32 v[8:9], v[18:19], v[54:55], v[8:9] op_sel:[0,1,0]
	s_wait_loadcnt 0x3
	v_xor_b32_e32 v18, 0x80000000, v41
	v_mov_b32_e32 v19, v40
	s_wait_loadcnt 0x2
	v_pk_fma_f32 v[0:1], v[38:39], v[56:57], v[0:1] op_sel_hi:[1,0,1]
	v_pk_fma_f32 v[8:9], v[40:41], v[56:57], v[8:9] op_sel_hi:[1,0,1]
	s_delay_alu instid0(VALU_DEP_2) | instskip(NEXT) | instid1(VALU_DEP_2)
	v_pk_fma_f32 v[0:1], v[38:39], v[56:57], v[0:1] op_sel:[1,1,0] op_sel_hi:[0,1,1] neg_lo:[1,0,0]
	v_pk_fma_f32 v[8:9], v[18:19], v[56:57], v[8:9] op_sel:[0,1,0]
	s_wait_loadcnt 0x1
	v_xor_b32_e32 v18, 0x80000000, v45
	v_mov_b32_e32 v19, v44
	s_wait_loadcnt 0x0
	v_pk_fma_f32 v[0:1], v[42:43], v[60:61], v[0:1] op_sel_hi:[1,0,1]
	v_pk_fma_f32 v[8:9], v[44:45], v[60:61], v[8:9] op_sel_hi:[1,0,1]
	s_delay_alu instid0(VALU_DEP_2) | instskip(NEXT) | instid1(VALU_DEP_2)
	v_pk_fma_f32 v[0:1], v[42:43], v[60:61], v[0:1] op_sel:[1,1,0] op_sel_hi:[0,1,1] neg_lo:[1,0,0]
	v_pk_fma_f32 v[8:9], v[18:19], v[60:61], v[8:9] op_sel:[0,1,0]
	s_and_not1_b32 exec_lo, exec_lo, s4
	s_cbranch_execnz .LBB179_5
; %bb.6:
	s_or_b32 exec_lo, exec_lo, s4
.LBB179_7:
	s_delay_alu instid0(SALU_CYCLE_1)
	s_or_b32 exec_lo, exec_lo, s3
	s_cbranch_execz .LBB179_9
	s_branch .LBB179_14
.LBB179_8:
                                        ; implicit-def: $vgpr1
                                        ; implicit-def: $vgpr9
.LBB179_9:
	v_mov_b32_e32 v1, 0
	s_delay_alu instid0(VALU_DEP_1)
	v_dual_mov_b32 v0, v1 :: v_dual_mov_b32 v9, v1
	v_mov_b32_e32 v8, v1
	s_and_saveexec_b32 s3, s2
	s_cbranch_execz .LBB179_13
; %bb.10:
	v_mad_u32 v12, v15, 14, 13
	v_mov_b32_e32 v11, 0
	s_mov_b32 s2, 0
	s_delay_alu instid0(VALU_DEP_1)
	v_dual_mov_b32 v8, v11 :: v_dual_mov_b32 v9, v11
	v_dual_mov_b32 v0, v11 :: v_dual_mov_b32 v1, v11
.LBB179_11:                             ; =>This Inner Loop Header: Depth=1
	global_load_b32 v10, v15, s[6:7] scale_offset
	v_dual_add_nc_u32 v26, -6, v12 :: v_dual_add_nc_u32 v36, -10, v12
	v_dual_add_nc_u32 v42, -3, v12 :: v_dual_add_nc_u32 v54, -1, v12
	s_wait_xcnt 0x0
	v_add_nc_u32_e32 v15, 16, v15
	s_delay_alu instid0(VALU_DEP_1) | instskip(SKIP_3) | instid1(VALU_DEP_1)
	v_cmp_ge_i32_e32 vcc_lo, v15, v14
	s_or_b32 s2, vcc_lo, s2
	s_wait_loadcnt 0x0
	v_subrev_nc_u32_e32 v10, s12, v10
	v_mul_lo_u32 v13, v10, 7
	v_dual_add_nc_u32 v10, -13, v12 :: v_dual_add_nc_u32 v37, -4, v12
	v_add_nc_u32_e32 v48, -2, v12
	s_delay_alu instid0(VALU_DEP_2)
	v_lshl_add_u64 v[20:21], v[10:11], 3, s[8:9]
	s_clause 0x1
	global_load_b128 v[16:19], v[20:21], off
	global_load_b64 v[22:23], v26, s[8:9] scale_offset
	global_load_b64 v[24:25], v13, s[10:11] scale_offset
	v_dual_add_nc_u32 v10, -5, v12 :: v_dual_add_nc_u32 v28, 1, v13
	global_load_b64 v[20:21], v10, s[8:9] scale_offset
	global_load_b64 v[26:27], v28, s[10:11] scale_offset
	s_wait_xcnt 0x1
	v_dual_add_nc_u32 v10, -11, v12 :: v_dual_add_nc_u32 v38, 2, v13
	s_clause 0x2
	global_load_b64 v[28:29], v10, s[8:9] scale_offset
	global_load_b64 v[30:31], v36, s[8:9] scale_offset
	;; [unrolled: 1-line block ×4, first 2 shown]
	s_wait_xcnt 0x3
	v_dual_add_nc_u32 v10, -9, v12 :: v_dual_add_nc_u32 v43, 3, v13
	s_clause 0x1
	global_load_b64 v[36:37], v10, s[8:9] scale_offset
	global_load_b64 v[38:39], v42, s[8:9] scale_offset
	global_load_b64 v[40:41], v43, s[10:11] scale_offset
	s_wait_xcnt 0x2
	v_dual_add_nc_u32 v10, -8, v12 :: v_dual_add_nc_u32 v49, 4, v13
	s_clause 0x1
	global_load_b64 v[42:43], v10, s[8:9] scale_offset
	global_load_b64 v[44:45], v48, s[8:9] scale_offset
	global_load_b64 v[46:47], v49, s[10:11] scale_offset
	;; [unrolled: 6-line block ×3, first 2 shown]
	s_wait_xcnt 0x2
	v_add_nc_u32_e32 v10, 6, v13
	global_load_b64 v[54:55], v12, s[8:9] scale_offset
	global_load_b64 v[56:57], v10, s[10:11] scale_offset
	s_wait_xcnt 0x1
	v_add_nc_u32_e32 v12, 0xe0, v12
	s_wait_loadcnt 0x11
	v_pk_fma_f32 v[0:1], v[16:17], v[24:25], v[0:1] op_sel_hi:[1,0,1]
	v_pk_fma_f32 v[8:9], v[22:23], v[24:25], v[8:9] op_sel_hi:[1,0,1]
	s_delay_alu instid0(VALU_DEP_2) | instskip(NEXT) | instid1(VALU_DEP_2)
	v_pk_fma_f32 v[0:1], v[16:17], v[24:25], v[0:1] op_sel:[1,1,0] op_sel_hi:[0,1,1] neg_lo:[1,0,0]
	v_pk_fma_f32 v[8:9], v[22:23], v[24:25], v[8:9] op_sel:[1,1,0] op_sel_hi:[0,1,1] neg_lo:[1,0,0]
	v_xor_b32_e32 v16, 0x80000000, v19
	v_mov_b32_e32 v17, v18
	s_wait_loadcnt 0xf
	v_pk_fma_f32 v[0:1], v[18:19], v[26:27], v[0:1] op_sel_hi:[1,0,1]
	v_pk_fma_f32 v[8:9], v[20:21], v[26:27], v[8:9] op_sel_hi:[1,0,1]
	s_delay_alu instid0(VALU_DEP_2) | instskip(NEXT) | instid1(VALU_DEP_2)
	v_pk_fma_f32 v[0:1], v[16:17], v[26:27], v[0:1] op_sel:[0,1,0]
	v_pk_fma_f32 v[8:9], v[20:21], v[26:27], v[8:9] op_sel:[1,1,0] op_sel_hi:[0,1,1] neg_lo:[1,0,0]
	s_wait_loadcnt 0xb
	s_delay_alu instid0(VALU_DEP_2) | instskip(NEXT) | instid1(VALU_DEP_2)
	v_pk_fma_f32 v[0:1], v[28:29], v[34:35], v[0:1] op_sel_hi:[1,0,1]
	v_pk_fma_f32 v[8:9], v[32:33], v[34:35], v[8:9] op_sel_hi:[1,0,1]
	s_delay_alu instid0(VALU_DEP_2) | instskip(NEXT) | instid1(VALU_DEP_2)
	v_pk_fma_f32 v[0:1], v[28:29], v[34:35], v[0:1] op_sel:[1,1,0] op_sel_hi:[0,1,1] neg_lo:[1,0,0]
	v_pk_fma_f32 v[8:9], v[32:33], v[34:35], v[8:9] op_sel:[1,1,0] op_sel_hi:[0,1,1] neg_lo:[1,0,0]
	s_wait_loadcnt 0x8
	s_delay_alu instid0(VALU_DEP_2) | instskip(NEXT) | instid1(VALU_DEP_2)
	v_pk_fma_f32 v[0:1], v[30:31], v[40:41], v[0:1] op_sel_hi:[1,0,1]
	v_pk_fma_f32 v[8:9], v[38:39], v[40:41], v[8:9] op_sel_hi:[1,0,1]
	s_delay_alu instid0(VALU_DEP_2) | instskip(NEXT) | instid1(VALU_DEP_2)
	v_pk_fma_f32 v[0:1], v[30:31], v[40:41], v[0:1] op_sel:[1,1,0] op_sel_hi:[0,1,1] neg_lo:[1,0,0]
	;; [unrolled: 7-line block ×5, first 2 shown]
	v_pk_fma_f32 v[8:9], v[54:55], v[56:57], v[8:9] op_sel:[1,1,0] op_sel_hi:[0,1,1] neg_lo:[1,0,0]
	s_and_not1_b32 exec_lo, exec_lo, s2
	s_cbranch_execnz .LBB179_11
; %bb.12:
	s_or_b32 exec_lo, exec_lo, s2
.LBB179_13:
	s_delay_alu instid0(SALU_CYCLE_1)
	s_or_b32 exec_lo, exec_lo, s3
.LBB179_14:
	v_mbcnt_lo_u32_b32 v10, -1, 0
	s_delay_alu instid0(VALU_DEP_1) | instskip(SKIP_1) | instid1(VALU_DEP_1)
	v_xor_b32_e32 v15, 4, v10
	v_xor_b32_e32 v11, 8, v10
	v_cmp_gt_i32_e32 vcc_lo, 32, v11
	v_cndmask_b32_e32 v11, v10, v11, vcc_lo
	s_delay_alu instid0(VALU_DEP_1)
	v_lshlrev_b32_e32 v11, 2, v11
	ds_bpermute_b32 v13, v11, v1
	s_wait_dscnt 0x0
	v_add_f32_e32 v1, v1, v13
	ds_bpermute_b32 v12, v11, v0
	ds_bpermute_b32 v14, v11, v8
	;; [unrolled: 1-line block ×3, first 2 shown]
	s_wait_dscnt 0x2
	v_add_f32_e32 v0, v0, v12
	s_wait_dscnt 0x0
	v_dual_add_f32 v8, v8, v14 :: v_dual_add_f32 v9, v9, v11
	v_cmp_gt_i32_e32 vcc_lo, 32, v15
	v_cndmask_b32_e32 v15, v10, v15, vcc_lo
	s_delay_alu instid0(VALU_DEP_1)
	v_lshlrev_b32_e32 v15, 2, v15
	ds_bpermute_b32 v11, v15, v0
	ds_bpermute_b32 v12, v15, v1
	;; [unrolled: 1-line block ×4, first 2 shown]
	s_wait_dscnt 0x3
	v_dual_add_f32 v0, v0, v11 :: v_dual_bitop2_b32 v15, 2, v10 bitop3:0x14
	s_delay_alu instid0(VALU_DEP_1)
	v_cmp_gt_i32_e32 vcc_lo, 32, v15
	s_wait_dscnt 0x2
	v_add_f32_e32 v1, v1, v12
	s_wait_dscnt 0x0
	v_dual_add_f32 v9, v9, v14 :: v_dual_add_f32 v11, v8, v13
	v_cndmask_b32_e32 v15, v10, v15, vcc_lo
	s_delay_alu instid0(VALU_DEP_1)
	v_lshlrev_b32_e32 v15, 2, v15
	ds_bpermute_b32 v8, v15, v0
	ds_bpermute_b32 v12, v15, v1
	;; [unrolled: 1-line block ×4, first 2 shown]
	s_wait_dscnt 0x3
	v_dual_add_f32 v0, v0, v8 :: v_dual_bitop2_b32 v15, 1, v10 bitop3:0x14
	s_delay_alu instid0(VALU_DEP_1)
	v_cmp_gt_i32_e32 vcc_lo, 32, v15
	s_wait_dscnt 0x2
	v_dual_add_f32 v8, v1, v12 :: v_dual_cndmask_b32 v10, v10, v15, vcc_lo
	s_wait_dscnt 0x0
	v_dual_add_f32 v1, v11, v13 :: v_dual_add_f32 v9, v9, v14
	v_cmp_eq_u32_e32 vcc_lo, 15, v7
	s_delay_alu instid0(VALU_DEP_3)
	v_lshlrev_b32_e32 v15, 2, v10
	ds_bpermute_b32 v12, v15, v0
	ds_bpermute_b32 v13, v15, v8
	;; [unrolled: 1-line block ×4, first 2 shown]
	s_and_b32 exec_lo, exec_lo, vcc_lo
	s_cbranch_execz .LBB179_19
; %bb.15:
	s_load_b64 s[2:3], s[0:1], 0x38
	v_cmp_eq_f32_e32 vcc_lo, 0, v4
	s_wait_xcnt 0x0
	v_cmp_eq_f32_e64 s0, 0, v5
	s_wait_dscnt 0x3
	v_add_f32_e32 v0, v0, v12
	s_wait_dscnt 0x1
	v_dual_add_f32 v12, v8, v13 :: v_dual_add_f32 v8, v1, v10
	s_wait_dscnt 0x0
	v_add_f32_e32 v10, v9, v11
	s_and_b32 s0, vcc_lo, s0
	s_delay_alu instid0(SALU_CYCLE_1) | instskip(NEXT) | instid1(SALU_CYCLE_1)
	s_and_saveexec_b32 s1, s0
	s_xor_b32 s0, exec_lo, s1
	s_cbranch_execz .LBB179_17
; %bb.16:
	v_xor_b32_e32 v4, 0x80000000, v3
	v_dual_mov_b32 v5, v2 :: v_dual_lshlrev_b32 v6, 1, v6
	s_delay_alu instid0(VALU_DEP_1) | instskip(NEXT) | instid1(VALU_DEP_2)
	v_ashrrev_i32_e32 v7, 31, v6
	v_pk_mul_f32 v[12:13], v[12:13], v[4:5] op_sel_hi:[0,1]
	v_pk_mul_f32 v[4:5], v[10:11], v[4:5] op_sel_hi:[0,1]
                                        ; implicit-def: $vgpr10
	s_wait_kmcnt 0x0
	s_delay_alu instid0(VALU_DEP_3) | instskip(NEXT) | instid1(VALU_DEP_3)
	v_lshl_add_u64 v[6:7], v[6:7], 3, s[2:3]
	v_pk_fma_f32 v[0:1], v[2:3], v[0:1], v[12:13] op_sel_hi:[1,0,1]
	s_delay_alu instid0(VALU_DEP_3)
	v_pk_fma_f32 v[2:3], v[2:3], v[8:9], v[4:5] op_sel_hi:[1,0,1]
                                        ; implicit-def: $vgpr4_vgpr5
                                        ; implicit-def: $vgpr12
                                        ; implicit-def: $vgpr8
	global_store_b128 v[6:7], v[0:3], off
                                        ; implicit-def: $vgpr6
                                        ; implicit-def: $vgpr2_vgpr3
                                        ; implicit-def: $vgpr0
.LBB179_17:
	s_wait_xcnt 0x0
	s_and_not1_saveexec_b32 s0, s0
	s_cbranch_execz .LBB179_19
; %bb.18:
	v_dual_mov_b32 v19, v2 :: v_dual_lshlrev_b32 v6, 1, v6
	v_xor_b32_e32 v18, 0x80000000, v3
	s_delay_alu instid0(VALU_DEP_2) | instskip(NEXT) | instid1(VALU_DEP_2)
	v_ashrrev_i32_e32 v7, 31, v6
	v_pk_mul_f32 v[12:13], v[12:13], v[18:19] op_sel_hi:[0,1]
	v_pk_mul_f32 v[10:11], v[10:11], v[18:19] op_sel_hi:[0,1]
	s_delay_alu instid0(VALU_DEP_2) | instskip(NEXT) | instid1(VALU_DEP_2)
	v_pk_fma_f32 v[0:1], v[2:3], v[0:1], v[12:13] op_sel_hi:[1,0,1]
	v_pk_fma_f32 v[2:3], v[2:3], v[8:9], v[10:11] op_sel_hi:[1,0,1]
	v_mov_b32_e32 v9, v4
	s_wait_kmcnt 0x0
	v_lshl_add_u64 v[6:7], v[6:7], 3, s[2:3]
	v_xor_b32_e32 v8, 0x80000000, v5
	global_load_b128 v[14:17], v[6:7], off
	s_wait_loadcnt 0x0
	v_pk_fma_f32 v[0:1], v[4:5], v[14:15], v[0:1] op_sel_hi:[1,0,1]
	v_pk_fma_f32 v[2:3], v[4:5], v[16:17], v[2:3] op_sel_hi:[1,0,1]
	v_mov_b32_e32 v4, v17
	s_delay_alu instid0(VALU_DEP_3) | instskip(NEXT) | instid1(VALU_DEP_2)
	v_pk_fma_f32 v[0:1], v[8:9], v[14:15], v[0:1] op_sel:[0,1,0]
	v_pk_fma_f32 v[2:3], v[8:9], v[4:5], v[2:3] op_sel_hi:[1,0,1]
	global_store_b128 v[6:7], v[0:3], off
.LBB179_19:
	s_endpgm
	.section	.rodata,"a",@progbits
	.p2align	6, 0x0
	.amdhsa_kernel _ZN9rocsparseL19gebsrmvn_2xn_kernelILj128ELj7ELj16E21rocsparse_complex_numIfEEEvi20rocsparse_direction_NS_24const_host_device_scalarIT2_EEPKiS8_PKS5_SA_S6_PS5_21rocsparse_index_base_b
		.amdhsa_group_segment_fixed_size 0
		.amdhsa_private_segment_fixed_size 0
		.amdhsa_kernarg_size 72
		.amdhsa_user_sgpr_count 2
		.amdhsa_user_sgpr_dispatch_ptr 0
		.amdhsa_user_sgpr_queue_ptr 0
		.amdhsa_user_sgpr_kernarg_segment_ptr 1
		.amdhsa_user_sgpr_dispatch_id 0
		.amdhsa_user_sgpr_kernarg_preload_length 0
		.amdhsa_user_sgpr_kernarg_preload_offset 0
		.amdhsa_user_sgpr_private_segment_size 0
		.amdhsa_wavefront_size32 1
		.amdhsa_uses_dynamic_stack 0
		.amdhsa_enable_private_segment 0
		.amdhsa_system_sgpr_workgroup_id_x 1
		.amdhsa_system_sgpr_workgroup_id_y 0
		.amdhsa_system_sgpr_workgroup_id_z 0
		.amdhsa_system_sgpr_workgroup_info 0
		.amdhsa_system_vgpr_workitem_id 0
		.amdhsa_next_free_vgpr 62
		.amdhsa_next_free_sgpr 14
		.amdhsa_named_barrier_count 0
		.amdhsa_reserve_vcc 1
		.amdhsa_float_round_mode_32 0
		.amdhsa_float_round_mode_16_64 0
		.amdhsa_float_denorm_mode_32 3
		.amdhsa_float_denorm_mode_16_64 3
		.amdhsa_fp16_overflow 0
		.amdhsa_memory_ordered 1
		.amdhsa_forward_progress 1
		.amdhsa_inst_pref_size 22
		.amdhsa_round_robin_scheduling 0
		.amdhsa_exception_fp_ieee_invalid_op 0
		.amdhsa_exception_fp_denorm_src 0
		.amdhsa_exception_fp_ieee_div_zero 0
		.amdhsa_exception_fp_ieee_overflow 0
		.amdhsa_exception_fp_ieee_underflow 0
		.amdhsa_exception_fp_ieee_inexact 0
		.amdhsa_exception_int_div_zero 0
	.end_amdhsa_kernel
	.section	.text._ZN9rocsparseL19gebsrmvn_2xn_kernelILj128ELj7ELj16E21rocsparse_complex_numIfEEEvi20rocsparse_direction_NS_24const_host_device_scalarIT2_EEPKiS8_PKS5_SA_S6_PS5_21rocsparse_index_base_b,"axG",@progbits,_ZN9rocsparseL19gebsrmvn_2xn_kernelILj128ELj7ELj16E21rocsparse_complex_numIfEEEvi20rocsparse_direction_NS_24const_host_device_scalarIT2_EEPKiS8_PKS5_SA_S6_PS5_21rocsparse_index_base_b,comdat
.Lfunc_end179:
	.size	_ZN9rocsparseL19gebsrmvn_2xn_kernelILj128ELj7ELj16E21rocsparse_complex_numIfEEEvi20rocsparse_direction_NS_24const_host_device_scalarIT2_EEPKiS8_PKS5_SA_S6_PS5_21rocsparse_index_base_b, .Lfunc_end179-_ZN9rocsparseL19gebsrmvn_2xn_kernelILj128ELj7ELj16E21rocsparse_complex_numIfEEEvi20rocsparse_direction_NS_24const_host_device_scalarIT2_EEPKiS8_PKS5_SA_S6_PS5_21rocsparse_index_base_b
                                        ; -- End function
	.set _ZN9rocsparseL19gebsrmvn_2xn_kernelILj128ELj7ELj16E21rocsparse_complex_numIfEEEvi20rocsparse_direction_NS_24const_host_device_scalarIT2_EEPKiS8_PKS5_SA_S6_PS5_21rocsparse_index_base_b.num_vgpr, 62
	.set _ZN9rocsparseL19gebsrmvn_2xn_kernelILj128ELj7ELj16E21rocsparse_complex_numIfEEEvi20rocsparse_direction_NS_24const_host_device_scalarIT2_EEPKiS8_PKS5_SA_S6_PS5_21rocsparse_index_base_b.num_agpr, 0
	.set _ZN9rocsparseL19gebsrmvn_2xn_kernelILj128ELj7ELj16E21rocsparse_complex_numIfEEEvi20rocsparse_direction_NS_24const_host_device_scalarIT2_EEPKiS8_PKS5_SA_S6_PS5_21rocsparse_index_base_b.numbered_sgpr, 14
	.set _ZN9rocsparseL19gebsrmvn_2xn_kernelILj128ELj7ELj16E21rocsparse_complex_numIfEEEvi20rocsparse_direction_NS_24const_host_device_scalarIT2_EEPKiS8_PKS5_SA_S6_PS5_21rocsparse_index_base_b.num_named_barrier, 0
	.set _ZN9rocsparseL19gebsrmvn_2xn_kernelILj128ELj7ELj16E21rocsparse_complex_numIfEEEvi20rocsparse_direction_NS_24const_host_device_scalarIT2_EEPKiS8_PKS5_SA_S6_PS5_21rocsparse_index_base_b.private_seg_size, 0
	.set _ZN9rocsparseL19gebsrmvn_2xn_kernelILj128ELj7ELj16E21rocsparse_complex_numIfEEEvi20rocsparse_direction_NS_24const_host_device_scalarIT2_EEPKiS8_PKS5_SA_S6_PS5_21rocsparse_index_base_b.uses_vcc, 1
	.set _ZN9rocsparseL19gebsrmvn_2xn_kernelILj128ELj7ELj16E21rocsparse_complex_numIfEEEvi20rocsparse_direction_NS_24const_host_device_scalarIT2_EEPKiS8_PKS5_SA_S6_PS5_21rocsparse_index_base_b.uses_flat_scratch, 1
	.set _ZN9rocsparseL19gebsrmvn_2xn_kernelILj128ELj7ELj16E21rocsparse_complex_numIfEEEvi20rocsparse_direction_NS_24const_host_device_scalarIT2_EEPKiS8_PKS5_SA_S6_PS5_21rocsparse_index_base_b.has_dyn_sized_stack, 0
	.set _ZN9rocsparseL19gebsrmvn_2xn_kernelILj128ELj7ELj16E21rocsparse_complex_numIfEEEvi20rocsparse_direction_NS_24const_host_device_scalarIT2_EEPKiS8_PKS5_SA_S6_PS5_21rocsparse_index_base_b.has_recursion, 0
	.set _ZN9rocsparseL19gebsrmvn_2xn_kernelILj128ELj7ELj16E21rocsparse_complex_numIfEEEvi20rocsparse_direction_NS_24const_host_device_scalarIT2_EEPKiS8_PKS5_SA_S6_PS5_21rocsparse_index_base_b.has_indirect_call, 0
	.section	.AMDGPU.csdata,"",@progbits
; Kernel info:
; codeLenInByte = 2712
; TotalNumSgprs: 16
; NumVgprs: 62
; ScratchSize: 0
; MemoryBound: 0
; FloatMode: 240
; IeeeMode: 1
; LDSByteSize: 0 bytes/workgroup (compile time only)
; SGPRBlocks: 0
; VGPRBlocks: 3
; NumSGPRsForWavesPerEU: 16
; NumVGPRsForWavesPerEU: 62
; NamedBarCnt: 0
; Occupancy: 16
; WaveLimiterHint : 1
; COMPUTE_PGM_RSRC2:SCRATCH_EN: 0
; COMPUTE_PGM_RSRC2:USER_SGPR: 2
; COMPUTE_PGM_RSRC2:TRAP_HANDLER: 0
; COMPUTE_PGM_RSRC2:TGID_X_EN: 1
; COMPUTE_PGM_RSRC2:TGID_Y_EN: 0
; COMPUTE_PGM_RSRC2:TGID_Z_EN: 0
; COMPUTE_PGM_RSRC2:TIDIG_COMP_CNT: 0
	.section	.text._ZN9rocsparseL19gebsrmvn_2xn_kernelILj128ELj7ELj32E21rocsparse_complex_numIfEEEvi20rocsparse_direction_NS_24const_host_device_scalarIT2_EEPKiS8_PKS5_SA_S6_PS5_21rocsparse_index_base_b,"axG",@progbits,_ZN9rocsparseL19gebsrmvn_2xn_kernelILj128ELj7ELj32E21rocsparse_complex_numIfEEEvi20rocsparse_direction_NS_24const_host_device_scalarIT2_EEPKiS8_PKS5_SA_S6_PS5_21rocsparse_index_base_b,comdat
	.globl	_ZN9rocsparseL19gebsrmvn_2xn_kernelILj128ELj7ELj32E21rocsparse_complex_numIfEEEvi20rocsparse_direction_NS_24const_host_device_scalarIT2_EEPKiS8_PKS5_SA_S6_PS5_21rocsparse_index_base_b ; -- Begin function _ZN9rocsparseL19gebsrmvn_2xn_kernelILj128ELj7ELj32E21rocsparse_complex_numIfEEEvi20rocsparse_direction_NS_24const_host_device_scalarIT2_EEPKiS8_PKS5_SA_S6_PS5_21rocsparse_index_base_b
	.p2align	8
	.type	_ZN9rocsparseL19gebsrmvn_2xn_kernelILj128ELj7ELj32E21rocsparse_complex_numIfEEEvi20rocsparse_direction_NS_24const_host_device_scalarIT2_EEPKiS8_PKS5_SA_S6_PS5_21rocsparse_index_base_b,@function
_ZN9rocsparseL19gebsrmvn_2xn_kernelILj128ELj7ELj32E21rocsparse_complex_numIfEEEvi20rocsparse_direction_NS_24const_host_device_scalarIT2_EEPKiS8_PKS5_SA_S6_PS5_21rocsparse_index_base_b: ; @_ZN9rocsparseL19gebsrmvn_2xn_kernelILj128ELj7ELj32E21rocsparse_complex_numIfEEEvi20rocsparse_direction_NS_24const_host_device_scalarIT2_EEPKiS8_PKS5_SA_S6_PS5_21rocsparse_index_base_b
; %bb.0:
	s_clause 0x2
	s_load_b64 s[12:13], s[0:1], 0x40
	s_load_b64 s[2:3], s[0:1], 0x8
	;; [unrolled: 1-line block ×3, first 2 shown]
	v_mov_b32_e32 v1, 0
	s_add_nc_u64 s[6:7], s[0:1], 8
	s_add_nc_u64 s[8:9], s[0:1], 48
	s_wait_kmcnt 0x0
	s_bitcmp1_b32 s13, 0
	s_cselect_b32 s3, s7, s3
	s_cselect_b32 s2, s6, s2
	s_cselect_b32 s5, s9, s5
	s_cselect_b32 s4, s8, s4
	s_clause 0x1
	flat_load_b64 v[2:3], v1, s[2:3]
	flat_load_b64 v[4:5], v1, s[4:5]
	s_wait_loadcnt_dscnt 0x101
	v_cmp_eq_f32_e32 vcc_lo, 0, v2
	v_cmp_eq_f32_e64 s2, 0, v3
	s_wait_loadcnt_dscnt 0x0
	v_cmp_eq_f32_e64 s3, 1.0, v4
	v_cmp_eq_f32_e64 s4, 0, v5
	s_and_b32 s2, vcc_lo, s2
	s_and_b32 s3, s3, s4
	s_delay_alu instid0(SALU_CYCLE_1) | instskip(NEXT) | instid1(SALU_CYCLE_1)
	s_and_b32 s2, s2, s3
	s_xor_b32 s2, s2, -1
	s_delay_alu instid0(SALU_CYCLE_1)
	s_and_saveexec_b32 s3, s2
	s_cbranch_execz .LBB180_19
; %bb.1:
	s_load_b64 s[2:3], s[0:1], 0x0
	s_bfe_u32 s4, ttmp6, 0x4000c
	s_and_b32 s5, ttmp6, 15
	s_add_co_i32 s4, s4, 1
	s_getreg_b32 s6, hwreg(HW_REG_IB_STS2, 6, 4)
	s_mul_i32 s4, ttmp9, s4
	v_lshrrev_b32_e32 v1, 5, v0
	s_add_co_i32 s5, s5, s4
	s_cmp_eq_u32 s6, 0
	s_cselect_b32 s4, ttmp9, s5
	s_delay_alu instid0(VALU_DEP_1) | instid1(SALU_CYCLE_1)
	v_lshl_or_b32 v6, s4, 2, v1
	s_wait_kmcnt 0x0
	s_delay_alu instid0(VALU_DEP_1)
	v_cmp_gt_i32_e32 vcc_lo, s2, v6
	s_and_b32 exec_lo, exec_lo, vcc_lo
	s_cbranch_execz .LBB180_19
; %bb.2:
	s_load_b256 s[4:11], s[0:1], 0x10
	v_ashrrev_i32_e32 v7, 31, v6
	s_cmp_lg_u32 s3, 0
	s_wait_kmcnt 0x0
	s_delay_alu instid0(VALU_DEP_1)
	v_lshl_add_u64 v[8:9], v[6:7], 2, s[4:5]
	v_and_b32_e32 v7, 31, v0
	global_load_b64 v[8:9], v[8:9], off
	s_wait_loadcnt 0x0
	v_subrev_nc_u32_e32 v0, s12, v8
	v_subrev_nc_u32_e32 v14, s12, v9
	s_delay_alu instid0(VALU_DEP_2) | instskip(NEXT) | instid1(VALU_DEP_1)
	v_add_nc_u32_e32 v15, v0, v7
	v_cmp_lt_i32_e64 s2, v15, v14
	s_cbranch_scc0 .LBB180_8
; %bb.3:
	v_mov_b32_e32 v1, 0
	s_delay_alu instid0(VALU_DEP_1)
	v_dual_mov_b32 v0, v1 :: v_dual_mov_b32 v9, v1
	v_mov_b32_e32 v8, v1
	s_and_saveexec_b32 s3, s2
	s_cbranch_execz .LBB180_7
; %bb.4:
	v_mad_u32 v12, v15, 14, 12
	v_dual_mov_b32 v11, 0 :: v_dual_mov_b32 v16, v15
	s_mov_b32 s4, 0
	s_delay_alu instid0(VALU_DEP_1)
	v_dual_mov_b32 v8, v11 :: v_dual_mov_b32 v9, v11
	v_dual_mov_b32 v0, v11 :: v_dual_mov_b32 v1, v11
.LBB180_5:                              ; =>This Inner Loop Header: Depth=1
	global_load_b32 v10, v16, s[6:7] scale_offset
	s_wait_xcnt 0x0
	v_add_nc_u32_e32 v16, 32, v16
	s_delay_alu instid0(VALU_DEP_1) | instskip(SKIP_3) | instid1(VALU_DEP_1)
	v_cmp_ge_i32_e32 vcc_lo, v16, v14
	s_or_b32 s4, vcc_lo, s4
	s_wait_loadcnt 0x0
	v_subrev_nc_u32_e32 v10, s12, v10
	v_mul_lo_u32 v17, v10, 7
	s_delay_alu instid0(VALU_DEP_1) | instskip(NEXT) | instid1(VALU_DEP_1)
	v_dual_add_nc_u32 v10, -12, v12 :: v_dual_add_nc_u32 v13, 1, v17
	v_lshl_add_u64 v[22:23], v[10:11], 3, s[8:9]
	v_add_nc_u32_e32 v10, -10, v12
	global_load_b128 v[18:21], v[22:23], off
	global_load_b64 v[46:47], v17, s[10:11] scale_offset
	v_lshl_add_u64 v[26:27], v[10:11], 3, s[8:9]
	global_load_b128 v[22:25], v[26:27], off
	global_load_b64 v[48:49], v13, s[10:11] scale_offset
	s_wait_xcnt 0x0
	v_dual_add_nc_u32 v10, -8, v12 :: v_dual_add_nc_u32 v13, 2, v17
	s_delay_alu instid0(VALU_DEP_1)
	v_lshl_add_u64 v[30:31], v[10:11], 3, s[8:9]
	v_add_nc_u32_e32 v10, -6, v12
	global_load_b128 v[26:29], v[30:31], off
	global_load_b64 v[50:51], v13, s[10:11] scale_offset
	v_lshl_add_u64 v[34:35], v[10:11], 3, s[8:9]
	s_wait_xcnt 0x0
	v_dual_add_nc_u32 v13, 3, v17 :: v_dual_add_nc_u32 v10, -4, v12
	global_load_b128 v[30:33], v[34:35], off
	global_load_b64 v[52:53], v13, s[10:11] scale_offset
	s_wait_xcnt 0x0
	v_add_nc_u32_e32 v13, 4, v17
	v_lshl_add_u64 v[38:39], v[10:11], 3, s[8:9]
	v_add_nc_u32_e32 v10, -2, v12
	global_load_b128 v[34:37], v[38:39], off
	global_load_b64 v[54:55], v13, s[10:11] scale_offset
	v_lshl_add_u64 v[42:43], v[10:11], 3, s[8:9]
	s_wait_xcnt 0x0
	v_dual_mov_b32 v13, v11 :: v_dual_add_nc_u32 v10, 5, v17
	s_delay_alu instid0(VALU_DEP_1) | instskip(SKIP_4) | instid1(VALU_DEP_2)
	v_lshl_add_u64 v[58:59], v[12:13], 3, s[8:9]
	v_add_nc_u32_e32 v12, 0x1c0, v12
	s_wait_loadcnt 0x8
	v_pk_fma_f32 v[0:1], v[18:19], v[46:47], v[0:1] op_sel_hi:[1,0,1]
	v_pk_fma_f32 v[8:9], v[20:21], v[46:47], v[8:9] op_sel_hi:[1,0,1]
	v_pk_fma_f32 v[0:1], v[18:19], v[46:47], v[0:1] op_sel:[1,1,0] op_sel_hi:[0,1,1] neg_lo:[1,0,0]
	s_wait_loadcnt 0x7
	v_mov_b32_e32 v19, v24
	global_load_b128 v[38:41], v[42:43], off
	global_load_b64 v[56:57], v10, s[10:11] scale_offset
	s_wait_xcnt 0x0
	v_add_nc_u32_e32 v10, 6, v17
	global_load_b128 v[42:45], v[58:59], off
	global_load_b64 v[60:61], v10, s[10:11] scale_offset
	s_wait_xcnt 0x1
	v_xor_b32_e32 v58, 0x80000000, v21
	v_mov_b32_e32 v59, v20
	v_xor_b32_e32 v18, 0x80000000, v25
	s_wait_loadcnt 0xa
	v_pk_fma_f32 v[0:1], v[22:23], v[48:49], v[0:1] op_sel_hi:[1,0,1]
	s_delay_alu instid0(VALU_DEP_3) | instskip(NEXT) | instid1(VALU_DEP_2)
	v_pk_fma_f32 v[8:9], v[58:59], v[46:47], v[8:9] op_sel:[0,1,0]
	v_pk_fma_f32 v[0:1], v[22:23], v[48:49], v[0:1] op_sel:[1,1,0] op_sel_hi:[0,1,1] neg_lo:[1,0,0]
	s_delay_alu instid0(VALU_DEP_2) | instskip(SKIP_1) | instid1(VALU_DEP_2)
	v_pk_fma_f32 v[8:9], v[24:25], v[48:49], v[8:9] op_sel_hi:[1,0,1]
	s_wait_loadcnt 0x8
	v_pk_fma_f32 v[0:1], v[26:27], v[50:51], v[0:1] op_sel_hi:[1,0,1]
	s_delay_alu instid0(VALU_DEP_2) | instskip(SKIP_2) | instid1(VALU_DEP_4)
	v_pk_fma_f32 v[8:9], v[18:19], v[48:49], v[8:9] op_sel:[0,1,0]
	v_xor_b32_e32 v18, 0x80000000, v29
	v_mov_b32_e32 v19, v28
	v_pk_fma_f32 v[0:1], v[26:27], v[50:51], v[0:1] op_sel:[1,1,0] op_sel_hi:[0,1,1] neg_lo:[1,0,0]
	s_delay_alu instid0(VALU_DEP_4) | instskip(SKIP_1) | instid1(VALU_DEP_2)
	v_pk_fma_f32 v[8:9], v[28:29], v[50:51], v[8:9] op_sel_hi:[1,0,1]
	s_wait_loadcnt 0x6
	v_pk_fma_f32 v[0:1], v[30:31], v[52:53], v[0:1] op_sel_hi:[1,0,1]
	s_delay_alu instid0(VALU_DEP_2) | instskip(SKIP_2) | instid1(VALU_DEP_4)
	v_pk_fma_f32 v[8:9], v[18:19], v[50:51], v[8:9] op_sel:[0,1,0]
	v_xor_b32_e32 v18, 0x80000000, v33
	v_mov_b32_e32 v19, v32
	v_pk_fma_f32 v[0:1], v[30:31], v[52:53], v[0:1] op_sel:[1,1,0] op_sel_hi:[0,1,1] neg_lo:[1,0,0]
	s_delay_alu instid0(VALU_DEP_4) | instskip(SKIP_1) | instid1(VALU_DEP_2)
	v_pk_fma_f32 v[8:9], v[32:33], v[52:53], v[8:9] op_sel_hi:[1,0,1]
	s_wait_loadcnt 0x4
	v_pk_fma_f32 v[0:1], v[34:35], v[54:55], v[0:1] op_sel_hi:[1,0,1]
	s_delay_alu instid0(VALU_DEP_2) | instskip(SKIP_2) | instid1(VALU_DEP_4)
	v_pk_fma_f32 v[8:9], v[18:19], v[52:53], v[8:9] op_sel:[0,1,0]
	v_xor_b32_e32 v18, 0x80000000, v37
	v_mov_b32_e32 v19, v36
	v_pk_fma_f32 v[0:1], v[34:35], v[54:55], v[0:1] op_sel:[1,1,0] op_sel_hi:[0,1,1] neg_lo:[1,0,0]
	s_delay_alu instid0(VALU_DEP_4) | instskip(NEXT) | instid1(VALU_DEP_1)
	v_pk_fma_f32 v[8:9], v[36:37], v[54:55], v[8:9] op_sel_hi:[1,0,1]
	v_pk_fma_f32 v[8:9], v[18:19], v[54:55], v[8:9] op_sel:[0,1,0]
	s_wait_loadcnt 0x3
	v_xor_b32_e32 v18, 0x80000000, v41
	v_mov_b32_e32 v19, v40
	s_wait_loadcnt 0x2
	v_pk_fma_f32 v[0:1], v[38:39], v[56:57], v[0:1] op_sel_hi:[1,0,1]
	v_pk_fma_f32 v[8:9], v[40:41], v[56:57], v[8:9] op_sel_hi:[1,0,1]
	s_delay_alu instid0(VALU_DEP_2) | instskip(NEXT) | instid1(VALU_DEP_2)
	v_pk_fma_f32 v[0:1], v[38:39], v[56:57], v[0:1] op_sel:[1,1,0] op_sel_hi:[0,1,1] neg_lo:[1,0,0]
	v_pk_fma_f32 v[8:9], v[18:19], v[56:57], v[8:9] op_sel:[0,1,0]
	s_wait_loadcnt 0x1
	v_xor_b32_e32 v18, 0x80000000, v45
	v_mov_b32_e32 v19, v44
	s_wait_loadcnt 0x0
	v_pk_fma_f32 v[0:1], v[42:43], v[60:61], v[0:1] op_sel_hi:[1,0,1]
	v_pk_fma_f32 v[8:9], v[44:45], v[60:61], v[8:9] op_sel_hi:[1,0,1]
	s_delay_alu instid0(VALU_DEP_2) | instskip(NEXT) | instid1(VALU_DEP_2)
	v_pk_fma_f32 v[0:1], v[42:43], v[60:61], v[0:1] op_sel:[1,1,0] op_sel_hi:[0,1,1] neg_lo:[1,0,0]
	v_pk_fma_f32 v[8:9], v[18:19], v[60:61], v[8:9] op_sel:[0,1,0]
	s_and_not1_b32 exec_lo, exec_lo, s4
	s_cbranch_execnz .LBB180_5
; %bb.6:
	s_or_b32 exec_lo, exec_lo, s4
.LBB180_7:
	s_delay_alu instid0(SALU_CYCLE_1)
	s_or_b32 exec_lo, exec_lo, s3
	s_cbranch_execz .LBB180_9
	s_branch .LBB180_14
.LBB180_8:
                                        ; implicit-def: $vgpr1
                                        ; implicit-def: $vgpr9
.LBB180_9:
	v_mov_b32_e32 v1, 0
	s_delay_alu instid0(VALU_DEP_1)
	v_dual_mov_b32 v0, v1 :: v_dual_mov_b32 v9, v1
	v_mov_b32_e32 v8, v1
	s_and_saveexec_b32 s3, s2
	s_cbranch_execz .LBB180_13
; %bb.10:
	v_mad_u32 v12, v15, 14, 13
	v_mov_b32_e32 v11, 0
	s_mov_b32 s2, 0
	s_delay_alu instid0(VALU_DEP_1)
	v_dual_mov_b32 v8, v11 :: v_dual_mov_b32 v9, v11
	v_dual_mov_b32 v0, v11 :: v_dual_mov_b32 v1, v11
.LBB180_11:                             ; =>This Inner Loop Header: Depth=1
	global_load_b32 v10, v15, s[6:7] scale_offset
	v_dual_add_nc_u32 v26, -6, v12 :: v_dual_add_nc_u32 v36, -10, v12
	v_dual_add_nc_u32 v42, -3, v12 :: v_dual_add_nc_u32 v54, -1, v12
	s_wait_xcnt 0x0
	v_add_nc_u32_e32 v15, 32, v15
	s_delay_alu instid0(VALU_DEP_1) | instskip(SKIP_3) | instid1(VALU_DEP_1)
	v_cmp_ge_i32_e32 vcc_lo, v15, v14
	s_or_b32 s2, vcc_lo, s2
	s_wait_loadcnt 0x0
	v_subrev_nc_u32_e32 v10, s12, v10
	v_mul_lo_u32 v13, v10, 7
	v_dual_add_nc_u32 v10, -13, v12 :: v_dual_add_nc_u32 v37, -4, v12
	v_add_nc_u32_e32 v48, -2, v12
	s_delay_alu instid0(VALU_DEP_2)
	v_lshl_add_u64 v[20:21], v[10:11], 3, s[8:9]
	s_clause 0x1
	global_load_b128 v[16:19], v[20:21], off
	global_load_b64 v[22:23], v26, s[8:9] scale_offset
	global_load_b64 v[24:25], v13, s[10:11] scale_offset
	v_dual_add_nc_u32 v10, -5, v12 :: v_dual_add_nc_u32 v28, 1, v13
	global_load_b64 v[20:21], v10, s[8:9] scale_offset
	global_load_b64 v[26:27], v28, s[10:11] scale_offset
	s_wait_xcnt 0x1
	v_dual_add_nc_u32 v10, -11, v12 :: v_dual_add_nc_u32 v38, 2, v13
	s_clause 0x2
	global_load_b64 v[28:29], v10, s[8:9] scale_offset
	global_load_b64 v[30:31], v36, s[8:9] scale_offset
	;; [unrolled: 1-line block ×4, first 2 shown]
	s_wait_xcnt 0x3
	v_dual_add_nc_u32 v10, -9, v12 :: v_dual_add_nc_u32 v43, 3, v13
	s_clause 0x1
	global_load_b64 v[36:37], v10, s[8:9] scale_offset
	global_load_b64 v[38:39], v42, s[8:9] scale_offset
	global_load_b64 v[40:41], v43, s[10:11] scale_offset
	s_wait_xcnt 0x2
	v_dual_add_nc_u32 v10, -8, v12 :: v_dual_add_nc_u32 v49, 4, v13
	s_clause 0x1
	global_load_b64 v[42:43], v10, s[8:9] scale_offset
	global_load_b64 v[44:45], v48, s[8:9] scale_offset
	global_load_b64 v[46:47], v49, s[10:11] scale_offset
	s_wait_xcnt 0x2
	v_dual_add_nc_u32 v10, -7, v12 :: v_dual_add_nc_u32 v55, 5, v13
	s_clause 0x1
	global_load_b64 v[48:49], v10, s[8:9] scale_offset
	global_load_b64 v[50:51], v54, s[8:9] scale_offset
	global_load_b64 v[52:53], v55, s[10:11] scale_offset
	s_wait_xcnt 0x2
	v_add_nc_u32_e32 v10, 6, v13
	global_load_b64 v[54:55], v12, s[8:9] scale_offset
	global_load_b64 v[56:57], v10, s[10:11] scale_offset
	s_wait_xcnt 0x1
	v_add_nc_u32_e32 v12, 0x1c0, v12
	s_wait_loadcnt 0x11
	v_pk_fma_f32 v[0:1], v[16:17], v[24:25], v[0:1] op_sel_hi:[1,0,1]
	v_pk_fma_f32 v[8:9], v[22:23], v[24:25], v[8:9] op_sel_hi:[1,0,1]
	s_delay_alu instid0(VALU_DEP_2) | instskip(NEXT) | instid1(VALU_DEP_2)
	v_pk_fma_f32 v[0:1], v[16:17], v[24:25], v[0:1] op_sel:[1,1,0] op_sel_hi:[0,1,1] neg_lo:[1,0,0]
	v_pk_fma_f32 v[8:9], v[22:23], v[24:25], v[8:9] op_sel:[1,1,0] op_sel_hi:[0,1,1] neg_lo:[1,0,0]
	v_xor_b32_e32 v16, 0x80000000, v19
	v_mov_b32_e32 v17, v18
	s_wait_loadcnt 0xf
	v_pk_fma_f32 v[0:1], v[18:19], v[26:27], v[0:1] op_sel_hi:[1,0,1]
	v_pk_fma_f32 v[8:9], v[20:21], v[26:27], v[8:9] op_sel_hi:[1,0,1]
	s_delay_alu instid0(VALU_DEP_2) | instskip(NEXT) | instid1(VALU_DEP_2)
	v_pk_fma_f32 v[0:1], v[16:17], v[26:27], v[0:1] op_sel:[0,1,0]
	v_pk_fma_f32 v[8:9], v[20:21], v[26:27], v[8:9] op_sel:[1,1,0] op_sel_hi:[0,1,1] neg_lo:[1,0,0]
	s_wait_loadcnt 0xb
	s_delay_alu instid0(VALU_DEP_2) | instskip(NEXT) | instid1(VALU_DEP_2)
	v_pk_fma_f32 v[0:1], v[28:29], v[34:35], v[0:1] op_sel_hi:[1,0,1]
	v_pk_fma_f32 v[8:9], v[32:33], v[34:35], v[8:9] op_sel_hi:[1,0,1]
	s_delay_alu instid0(VALU_DEP_2) | instskip(NEXT) | instid1(VALU_DEP_2)
	v_pk_fma_f32 v[0:1], v[28:29], v[34:35], v[0:1] op_sel:[1,1,0] op_sel_hi:[0,1,1] neg_lo:[1,0,0]
	v_pk_fma_f32 v[8:9], v[32:33], v[34:35], v[8:9] op_sel:[1,1,0] op_sel_hi:[0,1,1] neg_lo:[1,0,0]
	s_wait_loadcnt 0x8
	s_delay_alu instid0(VALU_DEP_2) | instskip(NEXT) | instid1(VALU_DEP_2)
	v_pk_fma_f32 v[0:1], v[30:31], v[40:41], v[0:1] op_sel_hi:[1,0,1]
	v_pk_fma_f32 v[8:9], v[38:39], v[40:41], v[8:9] op_sel_hi:[1,0,1]
	s_delay_alu instid0(VALU_DEP_2) | instskip(NEXT) | instid1(VALU_DEP_2)
	v_pk_fma_f32 v[0:1], v[30:31], v[40:41], v[0:1] op_sel:[1,1,0] op_sel_hi:[0,1,1] neg_lo:[1,0,0]
	;; [unrolled: 7-line block ×5, first 2 shown]
	v_pk_fma_f32 v[8:9], v[54:55], v[56:57], v[8:9] op_sel:[1,1,0] op_sel_hi:[0,1,1] neg_lo:[1,0,0]
	s_and_not1_b32 exec_lo, exec_lo, s2
	s_cbranch_execnz .LBB180_11
; %bb.12:
	s_or_b32 exec_lo, exec_lo, s2
.LBB180_13:
	s_delay_alu instid0(SALU_CYCLE_1)
	s_or_b32 exec_lo, exec_lo, s3
.LBB180_14:
	v_mbcnt_lo_u32_b32 v10, -1, 0
	s_delay_alu instid0(VALU_DEP_1) | instskip(SKIP_1) | instid1(VALU_DEP_1)
	v_xor_b32_e32 v15, 8, v10
	v_xor_b32_e32 v11, 16, v10
	v_cmp_gt_i32_e32 vcc_lo, 32, v11
	v_cndmask_b32_e32 v11, v10, v11, vcc_lo
	s_delay_alu instid0(VALU_DEP_1)
	v_lshlrev_b32_e32 v11, 2, v11
	ds_bpermute_b32 v13, v11, v1
	s_wait_dscnt 0x0
	v_add_f32_e32 v1, v1, v13
	ds_bpermute_b32 v12, v11, v0
	ds_bpermute_b32 v14, v11, v8
	;; [unrolled: 1-line block ×3, first 2 shown]
	s_wait_dscnt 0x2
	v_add_f32_e32 v0, v0, v12
	s_wait_dscnt 0x0
	v_dual_add_f32 v8, v8, v14 :: v_dual_add_f32 v9, v9, v11
	v_cmp_gt_i32_e32 vcc_lo, 32, v15
	v_cndmask_b32_e32 v15, v10, v15, vcc_lo
	s_delay_alu instid0(VALU_DEP_1)
	v_lshlrev_b32_e32 v15, 2, v15
	ds_bpermute_b32 v11, v15, v0
	ds_bpermute_b32 v12, v15, v1
	;; [unrolled: 1-line block ×4, first 2 shown]
	s_wait_dscnt 0x3
	v_dual_add_f32 v0, v0, v11 :: v_dual_bitop2_b32 v15, 4, v10 bitop3:0x14
	s_delay_alu instid0(VALU_DEP_1)
	v_cmp_gt_i32_e32 vcc_lo, 32, v15
	s_wait_dscnt 0x2
	v_add_f32_e32 v1, v1, v12
	s_wait_dscnt 0x0
	v_dual_add_f32 v9, v9, v14 :: v_dual_add_f32 v8, v8, v13
	v_cndmask_b32_e32 v15, v10, v15, vcc_lo
	s_delay_alu instid0(VALU_DEP_1)
	v_lshlrev_b32_e32 v15, 2, v15
	ds_bpermute_b32 v11, v15, v0
	ds_bpermute_b32 v12, v15, v1
	ds_bpermute_b32 v13, v15, v8
	ds_bpermute_b32 v14, v15, v9
	s_wait_dscnt 0x3
	v_dual_add_f32 v0, v0, v11 :: v_dual_bitop2_b32 v15, 2, v10 bitop3:0x14
	s_delay_alu instid0(VALU_DEP_1) | instskip(SKIP_4) | instid1(VALU_DEP_2)
	v_cmp_gt_i32_e32 vcc_lo, 32, v15
	s_wait_dscnt 0x2
	v_dual_add_f32 v1, v1, v12 :: v_dual_cndmask_b32 v15, v10, v15, vcc_lo
	s_wait_dscnt 0x0
	v_dual_add_f32 v11, v8, v13 :: v_dual_add_f32 v9, v9, v14
	v_lshlrev_b32_e32 v15, 2, v15
	ds_bpermute_b32 v8, v15, v0
	ds_bpermute_b32 v12, v15, v1
	;; [unrolled: 1-line block ×4, first 2 shown]
	s_wait_dscnt 0x3
	v_dual_add_f32 v0, v0, v8 :: v_dual_bitop2_b32 v15, 1, v10 bitop3:0x14
	s_delay_alu instid0(VALU_DEP_1)
	v_cmp_gt_i32_e32 vcc_lo, 32, v15
	s_wait_dscnt 0x1
	v_dual_add_f32 v8, v1, v12 :: v_dual_add_f32 v1, v11, v13
	s_wait_dscnt 0x0
	v_dual_add_f32 v9, v9, v14 :: v_dual_cndmask_b32 v10, v10, v15
	v_cmp_eq_u32_e32 vcc_lo, 31, v7
	s_delay_alu instid0(VALU_DEP_2)
	v_lshlrev_b32_e32 v15, 2, v10
	ds_bpermute_b32 v12, v15, v0
	ds_bpermute_b32 v13, v15, v8
	;; [unrolled: 1-line block ×4, first 2 shown]
	s_and_b32 exec_lo, exec_lo, vcc_lo
	s_cbranch_execz .LBB180_19
; %bb.15:
	s_load_b64 s[2:3], s[0:1], 0x38
	v_cmp_eq_f32_e32 vcc_lo, 0, v4
	s_wait_xcnt 0x0
	v_cmp_eq_f32_e64 s0, 0, v5
	s_wait_dscnt 0x3
	v_add_f32_e32 v0, v0, v12
	s_wait_dscnt 0x1
	v_dual_add_f32 v12, v8, v13 :: v_dual_add_f32 v8, v1, v10
	s_wait_dscnt 0x0
	v_add_f32_e32 v10, v9, v11
	s_and_b32 s0, vcc_lo, s0
	s_delay_alu instid0(SALU_CYCLE_1) | instskip(NEXT) | instid1(SALU_CYCLE_1)
	s_and_saveexec_b32 s1, s0
	s_xor_b32 s0, exec_lo, s1
	s_cbranch_execz .LBB180_17
; %bb.16:
	v_xor_b32_e32 v4, 0x80000000, v3
	v_dual_mov_b32 v5, v2 :: v_dual_lshlrev_b32 v6, 1, v6
	s_delay_alu instid0(VALU_DEP_1) | instskip(NEXT) | instid1(VALU_DEP_2)
	v_ashrrev_i32_e32 v7, 31, v6
	v_pk_mul_f32 v[12:13], v[12:13], v[4:5] op_sel_hi:[0,1]
	v_pk_mul_f32 v[4:5], v[10:11], v[4:5] op_sel_hi:[0,1]
                                        ; implicit-def: $vgpr10
	s_wait_kmcnt 0x0
	s_delay_alu instid0(VALU_DEP_3) | instskip(NEXT) | instid1(VALU_DEP_3)
	v_lshl_add_u64 v[6:7], v[6:7], 3, s[2:3]
	v_pk_fma_f32 v[0:1], v[2:3], v[0:1], v[12:13] op_sel_hi:[1,0,1]
	s_delay_alu instid0(VALU_DEP_3)
	v_pk_fma_f32 v[2:3], v[2:3], v[8:9], v[4:5] op_sel_hi:[1,0,1]
                                        ; implicit-def: $vgpr4_vgpr5
                                        ; implicit-def: $vgpr12
                                        ; implicit-def: $vgpr8
	global_store_b128 v[6:7], v[0:3], off
                                        ; implicit-def: $vgpr6
                                        ; implicit-def: $vgpr2_vgpr3
                                        ; implicit-def: $vgpr0
.LBB180_17:
	s_wait_xcnt 0x0
	s_and_not1_saveexec_b32 s0, s0
	s_cbranch_execz .LBB180_19
; %bb.18:
	v_dual_mov_b32 v19, v2 :: v_dual_lshlrev_b32 v6, 1, v6
	v_xor_b32_e32 v18, 0x80000000, v3
	s_delay_alu instid0(VALU_DEP_2) | instskip(NEXT) | instid1(VALU_DEP_2)
	v_ashrrev_i32_e32 v7, 31, v6
	v_pk_mul_f32 v[12:13], v[12:13], v[18:19] op_sel_hi:[0,1]
	v_pk_mul_f32 v[10:11], v[10:11], v[18:19] op_sel_hi:[0,1]
	s_delay_alu instid0(VALU_DEP_2) | instskip(NEXT) | instid1(VALU_DEP_2)
	v_pk_fma_f32 v[0:1], v[2:3], v[0:1], v[12:13] op_sel_hi:[1,0,1]
	v_pk_fma_f32 v[2:3], v[2:3], v[8:9], v[10:11] op_sel_hi:[1,0,1]
	v_mov_b32_e32 v9, v4
	s_wait_kmcnt 0x0
	v_lshl_add_u64 v[6:7], v[6:7], 3, s[2:3]
	v_xor_b32_e32 v8, 0x80000000, v5
	global_load_b128 v[14:17], v[6:7], off
	s_wait_loadcnt 0x0
	v_pk_fma_f32 v[0:1], v[4:5], v[14:15], v[0:1] op_sel_hi:[1,0,1]
	v_pk_fma_f32 v[2:3], v[4:5], v[16:17], v[2:3] op_sel_hi:[1,0,1]
	v_mov_b32_e32 v4, v17
	s_delay_alu instid0(VALU_DEP_3) | instskip(NEXT) | instid1(VALU_DEP_2)
	v_pk_fma_f32 v[0:1], v[8:9], v[14:15], v[0:1] op_sel:[0,1,0]
	v_pk_fma_f32 v[2:3], v[8:9], v[4:5], v[2:3] op_sel_hi:[1,0,1]
	global_store_b128 v[6:7], v[0:3], off
.LBB180_19:
	s_endpgm
	.section	.rodata,"a",@progbits
	.p2align	6, 0x0
	.amdhsa_kernel _ZN9rocsparseL19gebsrmvn_2xn_kernelILj128ELj7ELj32E21rocsparse_complex_numIfEEEvi20rocsparse_direction_NS_24const_host_device_scalarIT2_EEPKiS8_PKS5_SA_S6_PS5_21rocsparse_index_base_b
		.amdhsa_group_segment_fixed_size 0
		.amdhsa_private_segment_fixed_size 0
		.amdhsa_kernarg_size 72
		.amdhsa_user_sgpr_count 2
		.amdhsa_user_sgpr_dispatch_ptr 0
		.amdhsa_user_sgpr_queue_ptr 0
		.amdhsa_user_sgpr_kernarg_segment_ptr 1
		.amdhsa_user_sgpr_dispatch_id 0
		.amdhsa_user_sgpr_kernarg_preload_length 0
		.amdhsa_user_sgpr_kernarg_preload_offset 0
		.amdhsa_user_sgpr_private_segment_size 0
		.amdhsa_wavefront_size32 1
		.amdhsa_uses_dynamic_stack 0
		.amdhsa_enable_private_segment 0
		.amdhsa_system_sgpr_workgroup_id_x 1
		.amdhsa_system_sgpr_workgroup_id_y 0
		.amdhsa_system_sgpr_workgroup_id_z 0
		.amdhsa_system_sgpr_workgroup_info 0
		.amdhsa_system_vgpr_workitem_id 0
		.amdhsa_next_free_vgpr 62
		.amdhsa_next_free_sgpr 14
		.amdhsa_named_barrier_count 0
		.amdhsa_reserve_vcc 1
		.amdhsa_float_round_mode_32 0
		.amdhsa_float_round_mode_16_64 0
		.amdhsa_float_denorm_mode_32 3
		.amdhsa_float_denorm_mode_16_64 3
		.amdhsa_fp16_overflow 0
		.amdhsa_memory_ordered 1
		.amdhsa_forward_progress 1
		.amdhsa_inst_pref_size 22
		.amdhsa_round_robin_scheduling 0
		.amdhsa_exception_fp_ieee_invalid_op 0
		.amdhsa_exception_fp_denorm_src 0
		.amdhsa_exception_fp_ieee_div_zero 0
		.amdhsa_exception_fp_ieee_overflow 0
		.amdhsa_exception_fp_ieee_underflow 0
		.amdhsa_exception_fp_ieee_inexact 0
		.amdhsa_exception_int_div_zero 0
	.end_amdhsa_kernel
	.section	.text._ZN9rocsparseL19gebsrmvn_2xn_kernelILj128ELj7ELj32E21rocsparse_complex_numIfEEEvi20rocsparse_direction_NS_24const_host_device_scalarIT2_EEPKiS8_PKS5_SA_S6_PS5_21rocsparse_index_base_b,"axG",@progbits,_ZN9rocsparseL19gebsrmvn_2xn_kernelILj128ELj7ELj32E21rocsparse_complex_numIfEEEvi20rocsparse_direction_NS_24const_host_device_scalarIT2_EEPKiS8_PKS5_SA_S6_PS5_21rocsparse_index_base_b,comdat
.Lfunc_end180:
	.size	_ZN9rocsparseL19gebsrmvn_2xn_kernelILj128ELj7ELj32E21rocsparse_complex_numIfEEEvi20rocsparse_direction_NS_24const_host_device_scalarIT2_EEPKiS8_PKS5_SA_S6_PS5_21rocsparse_index_base_b, .Lfunc_end180-_ZN9rocsparseL19gebsrmvn_2xn_kernelILj128ELj7ELj32E21rocsparse_complex_numIfEEEvi20rocsparse_direction_NS_24const_host_device_scalarIT2_EEPKiS8_PKS5_SA_S6_PS5_21rocsparse_index_base_b
                                        ; -- End function
	.set _ZN9rocsparseL19gebsrmvn_2xn_kernelILj128ELj7ELj32E21rocsparse_complex_numIfEEEvi20rocsparse_direction_NS_24const_host_device_scalarIT2_EEPKiS8_PKS5_SA_S6_PS5_21rocsparse_index_base_b.num_vgpr, 62
	.set _ZN9rocsparseL19gebsrmvn_2xn_kernelILj128ELj7ELj32E21rocsparse_complex_numIfEEEvi20rocsparse_direction_NS_24const_host_device_scalarIT2_EEPKiS8_PKS5_SA_S6_PS5_21rocsparse_index_base_b.num_agpr, 0
	.set _ZN9rocsparseL19gebsrmvn_2xn_kernelILj128ELj7ELj32E21rocsparse_complex_numIfEEEvi20rocsparse_direction_NS_24const_host_device_scalarIT2_EEPKiS8_PKS5_SA_S6_PS5_21rocsparse_index_base_b.numbered_sgpr, 14
	.set _ZN9rocsparseL19gebsrmvn_2xn_kernelILj128ELj7ELj32E21rocsparse_complex_numIfEEEvi20rocsparse_direction_NS_24const_host_device_scalarIT2_EEPKiS8_PKS5_SA_S6_PS5_21rocsparse_index_base_b.num_named_barrier, 0
	.set _ZN9rocsparseL19gebsrmvn_2xn_kernelILj128ELj7ELj32E21rocsparse_complex_numIfEEEvi20rocsparse_direction_NS_24const_host_device_scalarIT2_EEPKiS8_PKS5_SA_S6_PS5_21rocsparse_index_base_b.private_seg_size, 0
	.set _ZN9rocsparseL19gebsrmvn_2xn_kernelILj128ELj7ELj32E21rocsparse_complex_numIfEEEvi20rocsparse_direction_NS_24const_host_device_scalarIT2_EEPKiS8_PKS5_SA_S6_PS5_21rocsparse_index_base_b.uses_vcc, 1
	.set _ZN9rocsparseL19gebsrmvn_2xn_kernelILj128ELj7ELj32E21rocsparse_complex_numIfEEEvi20rocsparse_direction_NS_24const_host_device_scalarIT2_EEPKiS8_PKS5_SA_S6_PS5_21rocsparse_index_base_b.uses_flat_scratch, 1
	.set _ZN9rocsparseL19gebsrmvn_2xn_kernelILj128ELj7ELj32E21rocsparse_complex_numIfEEEvi20rocsparse_direction_NS_24const_host_device_scalarIT2_EEPKiS8_PKS5_SA_S6_PS5_21rocsparse_index_base_b.has_dyn_sized_stack, 0
	.set _ZN9rocsparseL19gebsrmvn_2xn_kernelILj128ELj7ELj32E21rocsparse_complex_numIfEEEvi20rocsparse_direction_NS_24const_host_device_scalarIT2_EEPKiS8_PKS5_SA_S6_PS5_21rocsparse_index_base_b.has_recursion, 0
	.set _ZN9rocsparseL19gebsrmvn_2xn_kernelILj128ELj7ELj32E21rocsparse_complex_numIfEEEvi20rocsparse_direction_NS_24const_host_device_scalarIT2_EEPKiS8_PKS5_SA_S6_PS5_21rocsparse_index_base_b.has_indirect_call, 0
	.section	.AMDGPU.csdata,"",@progbits
; Kernel info:
; codeLenInByte = 2792
; TotalNumSgprs: 16
; NumVgprs: 62
; ScratchSize: 0
; MemoryBound: 0
; FloatMode: 240
; IeeeMode: 1
; LDSByteSize: 0 bytes/workgroup (compile time only)
; SGPRBlocks: 0
; VGPRBlocks: 3
; NumSGPRsForWavesPerEU: 16
; NumVGPRsForWavesPerEU: 62
; NamedBarCnt: 0
; Occupancy: 16
; WaveLimiterHint : 1
; COMPUTE_PGM_RSRC2:SCRATCH_EN: 0
; COMPUTE_PGM_RSRC2:USER_SGPR: 2
; COMPUTE_PGM_RSRC2:TRAP_HANDLER: 0
; COMPUTE_PGM_RSRC2:TGID_X_EN: 1
; COMPUTE_PGM_RSRC2:TGID_Y_EN: 0
; COMPUTE_PGM_RSRC2:TGID_Z_EN: 0
; COMPUTE_PGM_RSRC2:TIDIG_COMP_CNT: 0
	.section	.text._ZN9rocsparseL19gebsrmvn_2xn_kernelILj128ELj7ELj64E21rocsparse_complex_numIfEEEvi20rocsparse_direction_NS_24const_host_device_scalarIT2_EEPKiS8_PKS5_SA_S6_PS5_21rocsparse_index_base_b,"axG",@progbits,_ZN9rocsparseL19gebsrmvn_2xn_kernelILj128ELj7ELj64E21rocsparse_complex_numIfEEEvi20rocsparse_direction_NS_24const_host_device_scalarIT2_EEPKiS8_PKS5_SA_S6_PS5_21rocsparse_index_base_b,comdat
	.globl	_ZN9rocsparseL19gebsrmvn_2xn_kernelILj128ELj7ELj64E21rocsparse_complex_numIfEEEvi20rocsparse_direction_NS_24const_host_device_scalarIT2_EEPKiS8_PKS5_SA_S6_PS5_21rocsparse_index_base_b ; -- Begin function _ZN9rocsparseL19gebsrmvn_2xn_kernelILj128ELj7ELj64E21rocsparse_complex_numIfEEEvi20rocsparse_direction_NS_24const_host_device_scalarIT2_EEPKiS8_PKS5_SA_S6_PS5_21rocsparse_index_base_b
	.p2align	8
	.type	_ZN9rocsparseL19gebsrmvn_2xn_kernelILj128ELj7ELj64E21rocsparse_complex_numIfEEEvi20rocsparse_direction_NS_24const_host_device_scalarIT2_EEPKiS8_PKS5_SA_S6_PS5_21rocsparse_index_base_b,@function
_ZN9rocsparseL19gebsrmvn_2xn_kernelILj128ELj7ELj64E21rocsparse_complex_numIfEEEvi20rocsparse_direction_NS_24const_host_device_scalarIT2_EEPKiS8_PKS5_SA_S6_PS5_21rocsparse_index_base_b: ; @_ZN9rocsparseL19gebsrmvn_2xn_kernelILj128ELj7ELj64E21rocsparse_complex_numIfEEEvi20rocsparse_direction_NS_24const_host_device_scalarIT2_EEPKiS8_PKS5_SA_S6_PS5_21rocsparse_index_base_b
; %bb.0:
	s_clause 0x2
	s_load_b64 s[12:13], s[0:1], 0x40
	s_load_b64 s[2:3], s[0:1], 0x8
	;; [unrolled: 1-line block ×3, first 2 shown]
	v_mov_b32_e32 v1, 0
	s_add_nc_u64 s[6:7], s[0:1], 8
	s_add_nc_u64 s[8:9], s[0:1], 48
	s_wait_kmcnt 0x0
	s_bitcmp1_b32 s13, 0
	s_cselect_b32 s3, s7, s3
	s_cselect_b32 s2, s6, s2
	;; [unrolled: 1-line block ×4, first 2 shown]
	s_clause 0x1
	flat_load_b64 v[2:3], v1, s[2:3]
	flat_load_b64 v[4:5], v1, s[4:5]
	s_wait_loadcnt_dscnt 0x101
	v_cmp_eq_f32_e32 vcc_lo, 0, v2
	v_cmp_eq_f32_e64 s2, 0, v3
	s_wait_loadcnt_dscnt 0x0
	v_cmp_eq_f32_e64 s3, 1.0, v4
	v_cmp_eq_f32_e64 s4, 0, v5
	s_and_b32 s2, vcc_lo, s2
	s_and_b32 s3, s3, s4
	s_delay_alu instid0(SALU_CYCLE_1) | instskip(NEXT) | instid1(SALU_CYCLE_1)
	s_and_b32 s2, s2, s3
	s_xor_b32 s2, s2, -1
	s_delay_alu instid0(SALU_CYCLE_1)
	s_and_saveexec_b32 s3, s2
	s_cbranch_execz .LBB181_19
; %bb.1:
	s_load_b64 s[2:3], s[0:1], 0x0
	s_bfe_u32 s4, ttmp6, 0x4000c
	s_and_b32 s5, ttmp6, 15
	s_add_co_i32 s4, s4, 1
	s_getreg_b32 s6, hwreg(HW_REG_IB_STS2, 6, 4)
	s_mul_i32 s4, ttmp9, s4
	v_lshrrev_b32_e32 v1, 6, v0
	s_add_co_i32 s5, s5, s4
	s_cmp_eq_u32 s6, 0
	s_cselect_b32 s4, ttmp9, s5
	s_delay_alu instid0(VALU_DEP_1) | instid1(SALU_CYCLE_1)
	v_lshl_or_b32 v6, s4, 1, v1
	s_wait_kmcnt 0x0
	s_delay_alu instid0(VALU_DEP_1)
	v_cmp_gt_i32_e32 vcc_lo, s2, v6
	s_and_b32 exec_lo, exec_lo, vcc_lo
	s_cbranch_execz .LBB181_19
; %bb.2:
	s_load_b256 s[4:11], s[0:1], 0x10
	v_ashrrev_i32_e32 v7, 31, v6
	s_cmp_lg_u32 s3, 0
	s_wait_kmcnt 0x0
	s_delay_alu instid0(VALU_DEP_1)
	v_lshl_add_u64 v[8:9], v[6:7], 2, s[4:5]
	v_and_b32_e32 v7, 63, v0
	global_load_b64 v[8:9], v[8:9], off
	s_wait_loadcnt 0x0
	v_subrev_nc_u32_e32 v0, s12, v8
	v_subrev_nc_u32_e32 v14, s12, v9
	s_delay_alu instid0(VALU_DEP_2) | instskip(NEXT) | instid1(VALU_DEP_1)
	v_add_nc_u32_e32 v15, v0, v7
	v_cmp_lt_i32_e64 s2, v15, v14
	s_cbranch_scc0 .LBB181_8
; %bb.3:
	v_mov_b32_e32 v1, 0
	s_delay_alu instid0(VALU_DEP_1)
	v_dual_mov_b32 v0, v1 :: v_dual_mov_b32 v9, v1
	v_mov_b32_e32 v8, v1
	s_and_saveexec_b32 s3, s2
	s_cbranch_execz .LBB181_7
; %bb.4:
	v_mad_u32 v12, v15, 14, 12
	v_dual_mov_b32 v11, 0 :: v_dual_mov_b32 v16, v15
	s_mov_b32 s4, 0
	s_delay_alu instid0(VALU_DEP_1)
	v_dual_mov_b32 v8, v11 :: v_dual_mov_b32 v9, v11
	v_dual_mov_b32 v0, v11 :: v_dual_mov_b32 v1, v11
.LBB181_5:                              ; =>This Inner Loop Header: Depth=1
	global_load_b32 v10, v16, s[6:7] scale_offset
	s_wait_xcnt 0x0
	v_add_nc_u32_e32 v16, 64, v16
	s_delay_alu instid0(VALU_DEP_1) | instskip(SKIP_3) | instid1(VALU_DEP_1)
	v_cmp_ge_i32_e32 vcc_lo, v16, v14
	s_or_b32 s4, vcc_lo, s4
	s_wait_loadcnt 0x0
	v_subrev_nc_u32_e32 v10, s12, v10
	v_mul_lo_u32 v17, v10, 7
	s_delay_alu instid0(VALU_DEP_1) | instskip(NEXT) | instid1(VALU_DEP_1)
	v_dual_add_nc_u32 v10, -12, v12 :: v_dual_add_nc_u32 v13, 1, v17
	v_lshl_add_u64 v[22:23], v[10:11], 3, s[8:9]
	v_add_nc_u32_e32 v10, -10, v12
	global_load_b128 v[18:21], v[22:23], off
	global_load_b64 v[46:47], v17, s[10:11] scale_offset
	v_lshl_add_u64 v[26:27], v[10:11], 3, s[8:9]
	global_load_b128 v[22:25], v[26:27], off
	global_load_b64 v[48:49], v13, s[10:11] scale_offset
	s_wait_xcnt 0x0
	v_dual_add_nc_u32 v10, -8, v12 :: v_dual_add_nc_u32 v13, 2, v17
	s_delay_alu instid0(VALU_DEP_1)
	v_lshl_add_u64 v[30:31], v[10:11], 3, s[8:9]
	v_add_nc_u32_e32 v10, -6, v12
	global_load_b128 v[26:29], v[30:31], off
	global_load_b64 v[50:51], v13, s[10:11] scale_offset
	v_lshl_add_u64 v[34:35], v[10:11], 3, s[8:9]
	s_wait_xcnt 0x0
	v_dual_add_nc_u32 v13, 3, v17 :: v_dual_add_nc_u32 v10, -4, v12
	global_load_b128 v[30:33], v[34:35], off
	global_load_b64 v[52:53], v13, s[10:11] scale_offset
	s_wait_xcnt 0x0
	v_add_nc_u32_e32 v13, 4, v17
	v_lshl_add_u64 v[38:39], v[10:11], 3, s[8:9]
	v_add_nc_u32_e32 v10, -2, v12
	global_load_b128 v[34:37], v[38:39], off
	global_load_b64 v[54:55], v13, s[10:11] scale_offset
	v_lshl_add_u64 v[42:43], v[10:11], 3, s[8:9]
	s_wait_xcnt 0x0
	v_dual_mov_b32 v13, v11 :: v_dual_add_nc_u32 v10, 5, v17
	s_delay_alu instid0(VALU_DEP_1) | instskip(SKIP_4) | instid1(VALU_DEP_2)
	v_lshl_add_u64 v[58:59], v[12:13], 3, s[8:9]
	v_add_nc_u32_e32 v12, 0x380, v12
	s_wait_loadcnt 0x8
	v_pk_fma_f32 v[0:1], v[18:19], v[46:47], v[0:1] op_sel_hi:[1,0,1]
	v_pk_fma_f32 v[8:9], v[20:21], v[46:47], v[8:9] op_sel_hi:[1,0,1]
	v_pk_fma_f32 v[0:1], v[18:19], v[46:47], v[0:1] op_sel:[1,1,0] op_sel_hi:[0,1,1] neg_lo:[1,0,0]
	s_wait_loadcnt 0x7
	v_mov_b32_e32 v19, v24
	global_load_b128 v[38:41], v[42:43], off
	global_load_b64 v[56:57], v10, s[10:11] scale_offset
	s_wait_xcnt 0x0
	v_add_nc_u32_e32 v10, 6, v17
	global_load_b128 v[42:45], v[58:59], off
	global_load_b64 v[60:61], v10, s[10:11] scale_offset
	s_wait_xcnt 0x1
	v_xor_b32_e32 v58, 0x80000000, v21
	v_mov_b32_e32 v59, v20
	v_xor_b32_e32 v18, 0x80000000, v25
	s_wait_loadcnt 0xa
	v_pk_fma_f32 v[0:1], v[22:23], v[48:49], v[0:1] op_sel_hi:[1,0,1]
	s_delay_alu instid0(VALU_DEP_3) | instskip(NEXT) | instid1(VALU_DEP_2)
	v_pk_fma_f32 v[8:9], v[58:59], v[46:47], v[8:9] op_sel:[0,1,0]
	v_pk_fma_f32 v[0:1], v[22:23], v[48:49], v[0:1] op_sel:[1,1,0] op_sel_hi:[0,1,1] neg_lo:[1,0,0]
	s_delay_alu instid0(VALU_DEP_2) | instskip(SKIP_1) | instid1(VALU_DEP_2)
	v_pk_fma_f32 v[8:9], v[24:25], v[48:49], v[8:9] op_sel_hi:[1,0,1]
	s_wait_loadcnt 0x8
	v_pk_fma_f32 v[0:1], v[26:27], v[50:51], v[0:1] op_sel_hi:[1,0,1]
	s_delay_alu instid0(VALU_DEP_2) | instskip(SKIP_2) | instid1(VALU_DEP_4)
	v_pk_fma_f32 v[8:9], v[18:19], v[48:49], v[8:9] op_sel:[0,1,0]
	v_xor_b32_e32 v18, 0x80000000, v29
	v_mov_b32_e32 v19, v28
	v_pk_fma_f32 v[0:1], v[26:27], v[50:51], v[0:1] op_sel:[1,1,0] op_sel_hi:[0,1,1] neg_lo:[1,0,0]
	s_delay_alu instid0(VALU_DEP_4) | instskip(SKIP_1) | instid1(VALU_DEP_2)
	v_pk_fma_f32 v[8:9], v[28:29], v[50:51], v[8:9] op_sel_hi:[1,0,1]
	s_wait_loadcnt 0x6
	v_pk_fma_f32 v[0:1], v[30:31], v[52:53], v[0:1] op_sel_hi:[1,0,1]
	s_delay_alu instid0(VALU_DEP_2) | instskip(SKIP_2) | instid1(VALU_DEP_4)
	v_pk_fma_f32 v[8:9], v[18:19], v[50:51], v[8:9] op_sel:[0,1,0]
	v_xor_b32_e32 v18, 0x80000000, v33
	v_mov_b32_e32 v19, v32
	v_pk_fma_f32 v[0:1], v[30:31], v[52:53], v[0:1] op_sel:[1,1,0] op_sel_hi:[0,1,1] neg_lo:[1,0,0]
	s_delay_alu instid0(VALU_DEP_4) | instskip(SKIP_1) | instid1(VALU_DEP_2)
	v_pk_fma_f32 v[8:9], v[32:33], v[52:53], v[8:9] op_sel_hi:[1,0,1]
	s_wait_loadcnt 0x4
	v_pk_fma_f32 v[0:1], v[34:35], v[54:55], v[0:1] op_sel_hi:[1,0,1]
	s_delay_alu instid0(VALU_DEP_2) | instskip(SKIP_2) | instid1(VALU_DEP_4)
	v_pk_fma_f32 v[8:9], v[18:19], v[52:53], v[8:9] op_sel:[0,1,0]
	v_xor_b32_e32 v18, 0x80000000, v37
	v_mov_b32_e32 v19, v36
	v_pk_fma_f32 v[0:1], v[34:35], v[54:55], v[0:1] op_sel:[1,1,0] op_sel_hi:[0,1,1] neg_lo:[1,0,0]
	s_delay_alu instid0(VALU_DEP_4) | instskip(NEXT) | instid1(VALU_DEP_1)
	v_pk_fma_f32 v[8:9], v[36:37], v[54:55], v[8:9] op_sel_hi:[1,0,1]
	v_pk_fma_f32 v[8:9], v[18:19], v[54:55], v[8:9] op_sel:[0,1,0]
	s_wait_loadcnt 0x3
	v_xor_b32_e32 v18, 0x80000000, v41
	v_mov_b32_e32 v19, v40
	s_wait_loadcnt 0x2
	v_pk_fma_f32 v[0:1], v[38:39], v[56:57], v[0:1] op_sel_hi:[1,0,1]
	v_pk_fma_f32 v[8:9], v[40:41], v[56:57], v[8:9] op_sel_hi:[1,0,1]
	s_delay_alu instid0(VALU_DEP_2) | instskip(NEXT) | instid1(VALU_DEP_2)
	v_pk_fma_f32 v[0:1], v[38:39], v[56:57], v[0:1] op_sel:[1,1,0] op_sel_hi:[0,1,1] neg_lo:[1,0,0]
	v_pk_fma_f32 v[8:9], v[18:19], v[56:57], v[8:9] op_sel:[0,1,0]
	s_wait_loadcnt 0x1
	v_xor_b32_e32 v18, 0x80000000, v45
	v_mov_b32_e32 v19, v44
	s_wait_loadcnt 0x0
	v_pk_fma_f32 v[0:1], v[42:43], v[60:61], v[0:1] op_sel_hi:[1,0,1]
	v_pk_fma_f32 v[8:9], v[44:45], v[60:61], v[8:9] op_sel_hi:[1,0,1]
	s_delay_alu instid0(VALU_DEP_2) | instskip(NEXT) | instid1(VALU_DEP_2)
	v_pk_fma_f32 v[0:1], v[42:43], v[60:61], v[0:1] op_sel:[1,1,0] op_sel_hi:[0,1,1] neg_lo:[1,0,0]
	v_pk_fma_f32 v[8:9], v[18:19], v[60:61], v[8:9] op_sel:[0,1,0]
	s_and_not1_b32 exec_lo, exec_lo, s4
	s_cbranch_execnz .LBB181_5
; %bb.6:
	s_or_b32 exec_lo, exec_lo, s4
.LBB181_7:
	s_delay_alu instid0(SALU_CYCLE_1)
	s_or_b32 exec_lo, exec_lo, s3
	s_cbranch_execz .LBB181_9
	s_branch .LBB181_14
.LBB181_8:
                                        ; implicit-def: $vgpr1
                                        ; implicit-def: $vgpr9
.LBB181_9:
	v_mov_b32_e32 v1, 0
	s_delay_alu instid0(VALU_DEP_1)
	v_dual_mov_b32 v0, v1 :: v_dual_mov_b32 v9, v1
	v_mov_b32_e32 v8, v1
	s_and_saveexec_b32 s3, s2
	s_cbranch_execz .LBB181_13
; %bb.10:
	v_mad_u32 v12, v15, 14, 13
	v_mov_b32_e32 v11, 0
	s_mov_b32 s2, 0
	s_delay_alu instid0(VALU_DEP_1)
	v_dual_mov_b32 v8, v11 :: v_dual_mov_b32 v9, v11
	v_dual_mov_b32 v0, v11 :: v_dual_mov_b32 v1, v11
.LBB181_11:                             ; =>This Inner Loop Header: Depth=1
	global_load_b32 v10, v15, s[6:7] scale_offset
	v_dual_add_nc_u32 v26, -6, v12 :: v_dual_add_nc_u32 v36, -10, v12
	v_dual_add_nc_u32 v42, -3, v12 :: v_dual_add_nc_u32 v54, -1, v12
	s_wait_xcnt 0x0
	v_add_nc_u32_e32 v15, 64, v15
	s_delay_alu instid0(VALU_DEP_1) | instskip(SKIP_3) | instid1(VALU_DEP_1)
	v_cmp_ge_i32_e32 vcc_lo, v15, v14
	s_or_b32 s2, vcc_lo, s2
	s_wait_loadcnt 0x0
	v_subrev_nc_u32_e32 v10, s12, v10
	v_mul_lo_u32 v13, v10, 7
	v_dual_add_nc_u32 v10, -13, v12 :: v_dual_add_nc_u32 v37, -4, v12
	v_add_nc_u32_e32 v48, -2, v12
	s_delay_alu instid0(VALU_DEP_2)
	v_lshl_add_u64 v[20:21], v[10:11], 3, s[8:9]
	s_clause 0x1
	global_load_b128 v[16:19], v[20:21], off
	global_load_b64 v[22:23], v26, s[8:9] scale_offset
	global_load_b64 v[24:25], v13, s[10:11] scale_offset
	v_dual_add_nc_u32 v10, -5, v12 :: v_dual_add_nc_u32 v28, 1, v13
	global_load_b64 v[20:21], v10, s[8:9] scale_offset
	global_load_b64 v[26:27], v28, s[10:11] scale_offset
	s_wait_xcnt 0x1
	v_dual_add_nc_u32 v10, -11, v12 :: v_dual_add_nc_u32 v38, 2, v13
	s_clause 0x2
	global_load_b64 v[28:29], v10, s[8:9] scale_offset
	global_load_b64 v[30:31], v36, s[8:9] scale_offset
	;; [unrolled: 1-line block ×4, first 2 shown]
	s_wait_xcnt 0x3
	v_dual_add_nc_u32 v10, -9, v12 :: v_dual_add_nc_u32 v43, 3, v13
	s_clause 0x1
	global_load_b64 v[36:37], v10, s[8:9] scale_offset
	global_load_b64 v[38:39], v42, s[8:9] scale_offset
	global_load_b64 v[40:41], v43, s[10:11] scale_offset
	s_wait_xcnt 0x2
	v_dual_add_nc_u32 v10, -8, v12 :: v_dual_add_nc_u32 v49, 4, v13
	s_clause 0x1
	global_load_b64 v[42:43], v10, s[8:9] scale_offset
	global_load_b64 v[44:45], v48, s[8:9] scale_offset
	global_load_b64 v[46:47], v49, s[10:11] scale_offset
	;; [unrolled: 6-line block ×3, first 2 shown]
	s_wait_xcnt 0x2
	v_add_nc_u32_e32 v10, 6, v13
	global_load_b64 v[54:55], v12, s[8:9] scale_offset
	global_load_b64 v[56:57], v10, s[10:11] scale_offset
	s_wait_xcnt 0x1
	v_add_nc_u32_e32 v12, 0x380, v12
	s_wait_loadcnt 0x11
	v_pk_fma_f32 v[0:1], v[16:17], v[24:25], v[0:1] op_sel_hi:[1,0,1]
	v_pk_fma_f32 v[8:9], v[22:23], v[24:25], v[8:9] op_sel_hi:[1,0,1]
	s_delay_alu instid0(VALU_DEP_2) | instskip(NEXT) | instid1(VALU_DEP_2)
	v_pk_fma_f32 v[0:1], v[16:17], v[24:25], v[0:1] op_sel:[1,1,0] op_sel_hi:[0,1,1] neg_lo:[1,0,0]
	v_pk_fma_f32 v[8:9], v[22:23], v[24:25], v[8:9] op_sel:[1,1,0] op_sel_hi:[0,1,1] neg_lo:[1,0,0]
	v_xor_b32_e32 v16, 0x80000000, v19
	v_mov_b32_e32 v17, v18
	s_wait_loadcnt 0xf
	v_pk_fma_f32 v[0:1], v[18:19], v[26:27], v[0:1] op_sel_hi:[1,0,1]
	v_pk_fma_f32 v[8:9], v[20:21], v[26:27], v[8:9] op_sel_hi:[1,0,1]
	s_delay_alu instid0(VALU_DEP_2) | instskip(NEXT) | instid1(VALU_DEP_2)
	v_pk_fma_f32 v[0:1], v[16:17], v[26:27], v[0:1] op_sel:[0,1,0]
	v_pk_fma_f32 v[8:9], v[20:21], v[26:27], v[8:9] op_sel:[1,1,0] op_sel_hi:[0,1,1] neg_lo:[1,0,0]
	s_wait_loadcnt 0xb
	s_delay_alu instid0(VALU_DEP_2) | instskip(NEXT) | instid1(VALU_DEP_2)
	v_pk_fma_f32 v[0:1], v[28:29], v[34:35], v[0:1] op_sel_hi:[1,0,1]
	v_pk_fma_f32 v[8:9], v[32:33], v[34:35], v[8:9] op_sel_hi:[1,0,1]
	s_delay_alu instid0(VALU_DEP_2) | instskip(NEXT) | instid1(VALU_DEP_2)
	v_pk_fma_f32 v[0:1], v[28:29], v[34:35], v[0:1] op_sel:[1,1,0] op_sel_hi:[0,1,1] neg_lo:[1,0,0]
	v_pk_fma_f32 v[8:9], v[32:33], v[34:35], v[8:9] op_sel:[1,1,0] op_sel_hi:[0,1,1] neg_lo:[1,0,0]
	s_wait_loadcnt 0x8
	s_delay_alu instid0(VALU_DEP_2) | instskip(NEXT) | instid1(VALU_DEP_2)
	v_pk_fma_f32 v[0:1], v[30:31], v[40:41], v[0:1] op_sel_hi:[1,0,1]
	v_pk_fma_f32 v[8:9], v[38:39], v[40:41], v[8:9] op_sel_hi:[1,0,1]
	s_delay_alu instid0(VALU_DEP_2) | instskip(NEXT) | instid1(VALU_DEP_2)
	v_pk_fma_f32 v[0:1], v[30:31], v[40:41], v[0:1] op_sel:[1,1,0] op_sel_hi:[0,1,1] neg_lo:[1,0,0]
	;; [unrolled: 7-line block ×5, first 2 shown]
	v_pk_fma_f32 v[8:9], v[54:55], v[56:57], v[8:9] op_sel:[1,1,0] op_sel_hi:[0,1,1] neg_lo:[1,0,0]
	s_and_not1_b32 exec_lo, exec_lo, s2
	s_cbranch_execnz .LBB181_11
; %bb.12:
	s_or_b32 exec_lo, exec_lo, s2
.LBB181_13:
	s_delay_alu instid0(SALU_CYCLE_1)
	s_or_b32 exec_lo, exec_lo, s3
.LBB181_14:
	v_mbcnt_lo_u32_b32 v10, -1, 0
	s_delay_alu instid0(VALU_DEP_1) | instskip(SKIP_1) | instid1(VALU_DEP_1)
	v_xor_b32_e32 v15, 16, v10
	v_or_b32_e32 v11, 32, v10
	v_cmp_gt_i32_e32 vcc_lo, 32, v11
	v_cndmask_b32_e32 v11, v10, v11, vcc_lo
	s_delay_alu instid0(VALU_DEP_1)
	v_lshlrev_b32_e32 v11, 2, v11
	ds_bpermute_b32 v13, v11, v1
	s_wait_dscnt 0x0
	v_add_f32_e32 v1, v1, v13
	ds_bpermute_b32 v12, v11, v0
	ds_bpermute_b32 v14, v11, v8
	;; [unrolled: 1-line block ×3, first 2 shown]
	s_wait_dscnt 0x2
	v_add_f32_e32 v0, v0, v12
	s_wait_dscnt 0x0
	v_dual_add_f32 v8, v8, v14 :: v_dual_add_f32 v9, v9, v11
	v_cmp_gt_i32_e32 vcc_lo, 32, v15
	v_cndmask_b32_e32 v15, v10, v15, vcc_lo
	s_delay_alu instid0(VALU_DEP_1)
	v_lshlrev_b32_e32 v15, 2, v15
	ds_bpermute_b32 v11, v15, v0
	ds_bpermute_b32 v12, v15, v1
	;; [unrolled: 1-line block ×4, first 2 shown]
	s_wait_dscnt 0x3
	v_dual_add_f32 v0, v0, v11 :: v_dual_bitop2_b32 v15, 8, v10 bitop3:0x14
	s_delay_alu instid0(VALU_DEP_1)
	v_cmp_gt_i32_e32 vcc_lo, 32, v15
	s_wait_dscnt 0x2
	v_add_f32_e32 v1, v1, v12
	s_wait_dscnt 0x0
	v_dual_add_f32 v9, v9, v14 :: v_dual_add_f32 v8, v8, v13
	v_cndmask_b32_e32 v15, v10, v15, vcc_lo
	s_delay_alu instid0(VALU_DEP_1)
	v_lshlrev_b32_e32 v15, 2, v15
	ds_bpermute_b32 v11, v15, v0
	ds_bpermute_b32 v12, v15, v1
	;; [unrolled: 1-line block ×4, first 2 shown]
	s_wait_dscnt 0x3
	v_dual_add_f32 v0, v0, v11 :: v_dual_bitop2_b32 v15, 4, v10 bitop3:0x14
	s_delay_alu instid0(VALU_DEP_1) | instskip(SKIP_4) | instid1(VALU_DEP_2)
	v_cmp_gt_i32_e32 vcc_lo, 32, v15
	s_wait_dscnt 0x2
	v_dual_add_f32 v1, v1, v12 :: v_dual_cndmask_b32 v15, v10, v15, vcc_lo
	s_wait_dscnt 0x0
	v_dual_add_f32 v8, v8, v13 :: v_dual_add_f32 v9, v9, v14
	v_lshlrev_b32_e32 v15, 2, v15
	ds_bpermute_b32 v11, v15, v0
	ds_bpermute_b32 v12, v15, v1
	;; [unrolled: 1-line block ×4, first 2 shown]
	s_wait_dscnt 0x3
	v_dual_add_f32 v0, v0, v11 :: v_dual_bitop2_b32 v15, 2, v10 bitop3:0x14
	s_delay_alu instid0(VALU_DEP_1) | instskip(SKIP_4) | instid1(VALU_DEP_1)
	v_cmp_gt_i32_e32 vcc_lo, 32, v15
	s_wait_dscnt 0x1
	v_dual_add_f32 v1, v1, v12 :: v_dual_add_f32 v11, v8, v13
	s_wait_dscnt 0x0
	v_dual_add_f32 v9, v9, v14 :: v_dual_cndmask_b32 v15, v10, v15, vcc_lo
	v_lshlrev_b32_e32 v15, 2, v15
	ds_bpermute_b32 v8, v15, v0
	ds_bpermute_b32 v12, v15, v1
	;; [unrolled: 1-line block ×4, first 2 shown]
	s_wait_dscnt 0x3
	v_dual_add_f32 v0, v0, v8 :: v_dual_bitop2_b32 v15, 1, v10 bitop3:0x14
	s_delay_alu instid0(VALU_DEP_1)
	v_cmp_gt_i32_e32 vcc_lo, 32, v15
	s_wait_dscnt 0x2
	v_dual_add_f32 v8, v1, v12 :: v_dual_cndmask_b32 v10, v10, v15, vcc_lo
	s_wait_dscnt 0x0
	v_dual_add_f32 v1, v11, v13 :: v_dual_add_f32 v9, v9, v14
	v_cmp_eq_u32_e32 vcc_lo, 63, v7
	s_delay_alu instid0(VALU_DEP_3)
	v_lshlrev_b32_e32 v15, 2, v10
	ds_bpermute_b32 v12, v15, v0
	ds_bpermute_b32 v13, v15, v8
	;; [unrolled: 1-line block ×4, first 2 shown]
	s_and_b32 exec_lo, exec_lo, vcc_lo
	s_cbranch_execz .LBB181_19
; %bb.15:
	s_load_b64 s[2:3], s[0:1], 0x38
	v_cmp_eq_f32_e32 vcc_lo, 0, v4
	s_wait_xcnt 0x0
	v_cmp_eq_f32_e64 s0, 0, v5
	s_wait_dscnt 0x3
	v_add_f32_e32 v0, v0, v12
	s_wait_dscnt 0x1
	v_dual_add_f32 v12, v8, v13 :: v_dual_add_f32 v8, v1, v10
	s_wait_dscnt 0x0
	v_add_f32_e32 v10, v9, v11
	s_and_b32 s0, vcc_lo, s0
	s_delay_alu instid0(SALU_CYCLE_1) | instskip(NEXT) | instid1(SALU_CYCLE_1)
	s_and_saveexec_b32 s1, s0
	s_xor_b32 s0, exec_lo, s1
	s_cbranch_execz .LBB181_17
; %bb.16:
	v_xor_b32_e32 v4, 0x80000000, v3
	v_dual_mov_b32 v5, v2 :: v_dual_lshlrev_b32 v6, 1, v6
	s_delay_alu instid0(VALU_DEP_1) | instskip(NEXT) | instid1(VALU_DEP_2)
	v_ashrrev_i32_e32 v7, 31, v6
	v_pk_mul_f32 v[12:13], v[12:13], v[4:5] op_sel_hi:[0,1]
	v_pk_mul_f32 v[4:5], v[10:11], v[4:5] op_sel_hi:[0,1]
                                        ; implicit-def: $vgpr10
	s_wait_kmcnt 0x0
	s_delay_alu instid0(VALU_DEP_3) | instskip(NEXT) | instid1(VALU_DEP_3)
	v_lshl_add_u64 v[6:7], v[6:7], 3, s[2:3]
	v_pk_fma_f32 v[0:1], v[2:3], v[0:1], v[12:13] op_sel_hi:[1,0,1]
	s_delay_alu instid0(VALU_DEP_3)
	v_pk_fma_f32 v[2:3], v[2:3], v[8:9], v[4:5] op_sel_hi:[1,0,1]
                                        ; implicit-def: $vgpr4_vgpr5
                                        ; implicit-def: $vgpr12
                                        ; implicit-def: $vgpr8
	global_store_b128 v[6:7], v[0:3], off
                                        ; implicit-def: $vgpr6
                                        ; implicit-def: $vgpr2_vgpr3
                                        ; implicit-def: $vgpr0
.LBB181_17:
	s_wait_xcnt 0x0
	s_and_not1_saveexec_b32 s0, s0
	s_cbranch_execz .LBB181_19
; %bb.18:
	v_dual_mov_b32 v19, v2 :: v_dual_lshlrev_b32 v6, 1, v6
	v_xor_b32_e32 v18, 0x80000000, v3
	s_delay_alu instid0(VALU_DEP_2) | instskip(NEXT) | instid1(VALU_DEP_2)
	v_ashrrev_i32_e32 v7, 31, v6
	v_pk_mul_f32 v[12:13], v[12:13], v[18:19] op_sel_hi:[0,1]
	v_pk_mul_f32 v[10:11], v[10:11], v[18:19] op_sel_hi:[0,1]
	s_delay_alu instid0(VALU_DEP_2) | instskip(NEXT) | instid1(VALU_DEP_2)
	v_pk_fma_f32 v[0:1], v[2:3], v[0:1], v[12:13] op_sel_hi:[1,0,1]
	v_pk_fma_f32 v[2:3], v[2:3], v[8:9], v[10:11] op_sel_hi:[1,0,1]
	v_mov_b32_e32 v9, v4
	s_wait_kmcnt 0x0
	v_lshl_add_u64 v[6:7], v[6:7], 3, s[2:3]
	v_xor_b32_e32 v8, 0x80000000, v5
	global_load_b128 v[14:17], v[6:7], off
	s_wait_loadcnt 0x0
	v_pk_fma_f32 v[0:1], v[4:5], v[14:15], v[0:1] op_sel_hi:[1,0,1]
	v_pk_fma_f32 v[2:3], v[4:5], v[16:17], v[2:3] op_sel_hi:[1,0,1]
	v_mov_b32_e32 v4, v17
	s_delay_alu instid0(VALU_DEP_3) | instskip(NEXT) | instid1(VALU_DEP_2)
	v_pk_fma_f32 v[0:1], v[8:9], v[14:15], v[0:1] op_sel:[0,1,0]
	v_pk_fma_f32 v[2:3], v[8:9], v[4:5], v[2:3] op_sel_hi:[1,0,1]
	global_store_b128 v[6:7], v[0:3], off
.LBB181_19:
	s_endpgm
	.section	.rodata,"a",@progbits
	.p2align	6, 0x0
	.amdhsa_kernel _ZN9rocsparseL19gebsrmvn_2xn_kernelILj128ELj7ELj64E21rocsparse_complex_numIfEEEvi20rocsparse_direction_NS_24const_host_device_scalarIT2_EEPKiS8_PKS5_SA_S6_PS5_21rocsparse_index_base_b
		.amdhsa_group_segment_fixed_size 0
		.amdhsa_private_segment_fixed_size 0
		.amdhsa_kernarg_size 72
		.amdhsa_user_sgpr_count 2
		.amdhsa_user_sgpr_dispatch_ptr 0
		.amdhsa_user_sgpr_queue_ptr 0
		.amdhsa_user_sgpr_kernarg_segment_ptr 1
		.amdhsa_user_sgpr_dispatch_id 0
		.amdhsa_user_sgpr_kernarg_preload_length 0
		.amdhsa_user_sgpr_kernarg_preload_offset 0
		.amdhsa_user_sgpr_private_segment_size 0
		.amdhsa_wavefront_size32 1
		.amdhsa_uses_dynamic_stack 0
		.amdhsa_enable_private_segment 0
		.amdhsa_system_sgpr_workgroup_id_x 1
		.amdhsa_system_sgpr_workgroup_id_y 0
		.amdhsa_system_sgpr_workgroup_id_z 0
		.amdhsa_system_sgpr_workgroup_info 0
		.amdhsa_system_vgpr_workitem_id 0
		.amdhsa_next_free_vgpr 62
		.amdhsa_next_free_sgpr 14
		.amdhsa_named_barrier_count 0
		.amdhsa_reserve_vcc 1
		.amdhsa_float_round_mode_32 0
		.amdhsa_float_round_mode_16_64 0
		.amdhsa_float_denorm_mode_32 3
		.amdhsa_float_denorm_mode_16_64 3
		.amdhsa_fp16_overflow 0
		.amdhsa_memory_ordered 1
		.amdhsa_forward_progress 1
		.amdhsa_inst_pref_size 23
		.amdhsa_round_robin_scheduling 0
		.amdhsa_exception_fp_ieee_invalid_op 0
		.amdhsa_exception_fp_denorm_src 0
		.amdhsa_exception_fp_ieee_div_zero 0
		.amdhsa_exception_fp_ieee_overflow 0
		.amdhsa_exception_fp_ieee_underflow 0
		.amdhsa_exception_fp_ieee_inexact 0
		.amdhsa_exception_int_div_zero 0
	.end_amdhsa_kernel
	.section	.text._ZN9rocsparseL19gebsrmvn_2xn_kernelILj128ELj7ELj64E21rocsparse_complex_numIfEEEvi20rocsparse_direction_NS_24const_host_device_scalarIT2_EEPKiS8_PKS5_SA_S6_PS5_21rocsparse_index_base_b,"axG",@progbits,_ZN9rocsparseL19gebsrmvn_2xn_kernelILj128ELj7ELj64E21rocsparse_complex_numIfEEEvi20rocsparse_direction_NS_24const_host_device_scalarIT2_EEPKiS8_PKS5_SA_S6_PS5_21rocsparse_index_base_b,comdat
.Lfunc_end181:
	.size	_ZN9rocsparseL19gebsrmvn_2xn_kernelILj128ELj7ELj64E21rocsparse_complex_numIfEEEvi20rocsparse_direction_NS_24const_host_device_scalarIT2_EEPKiS8_PKS5_SA_S6_PS5_21rocsparse_index_base_b, .Lfunc_end181-_ZN9rocsparseL19gebsrmvn_2xn_kernelILj128ELj7ELj64E21rocsparse_complex_numIfEEEvi20rocsparse_direction_NS_24const_host_device_scalarIT2_EEPKiS8_PKS5_SA_S6_PS5_21rocsparse_index_base_b
                                        ; -- End function
	.set _ZN9rocsparseL19gebsrmvn_2xn_kernelILj128ELj7ELj64E21rocsparse_complex_numIfEEEvi20rocsparse_direction_NS_24const_host_device_scalarIT2_EEPKiS8_PKS5_SA_S6_PS5_21rocsparse_index_base_b.num_vgpr, 62
	.set _ZN9rocsparseL19gebsrmvn_2xn_kernelILj128ELj7ELj64E21rocsparse_complex_numIfEEEvi20rocsparse_direction_NS_24const_host_device_scalarIT2_EEPKiS8_PKS5_SA_S6_PS5_21rocsparse_index_base_b.num_agpr, 0
	.set _ZN9rocsparseL19gebsrmvn_2xn_kernelILj128ELj7ELj64E21rocsparse_complex_numIfEEEvi20rocsparse_direction_NS_24const_host_device_scalarIT2_EEPKiS8_PKS5_SA_S6_PS5_21rocsparse_index_base_b.numbered_sgpr, 14
	.set _ZN9rocsparseL19gebsrmvn_2xn_kernelILj128ELj7ELj64E21rocsparse_complex_numIfEEEvi20rocsparse_direction_NS_24const_host_device_scalarIT2_EEPKiS8_PKS5_SA_S6_PS5_21rocsparse_index_base_b.num_named_barrier, 0
	.set _ZN9rocsparseL19gebsrmvn_2xn_kernelILj128ELj7ELj64E21rocsparse_complex_numIfEEEvi20rocsparse_direction_NS_24const_host_device_scalarIT2_EEPKiS8_PKS5_SA_S6_PS5_21rocsparse_index_base_b.private_seg_size, 0
	.set _ZN9rocsparseL19gebsrmvn_2xn_kernelILj128ELj7ELj64E21rocsparse_complex_numIfEEEvi20rocsparse_direction_NS_24const_host_device_scalarIT2_EEPKiS8_PKS5_SA_S6_PS5_21rocsparse_index_base_b.uses_vcc, 1
	.set _ZN9rocsparseL19gebsrmvn_2xn_kernelILj128ELj7ELj64E21rocsparse_complex_numIfEEEvi20rocsparse_direction_NS_24const_host_device_scalarIT2_EEPKiS8_PKS5_SA_S6_PS5_21rocsparse_index_base_b.uses_flat_scratch, 1
	.set _ZN9rocsparseL19gebsrmvn_2xn_kernelILj128ELj7ELj64E21rocsparse_complex_numIfEEEvi20rocsparse_direction_NS_24const_host_device_scalarIT2_EEPKiS8_PKS5_SA_S6_PS5_21rocsparse_index_base_b.has_dyn_sized_stack, 0
	.set _ZN9rocsparseL19gebsrmvn_2xn_kernelILj128ELj7ELj64E21rocsparse_complex_numIfEEEvi20rocsparse_direction_NS_24const_host_device_scalarIT2_EEPKiS8_PKS5_SA_S6_PS5_21rocsparse_index_base_b.has_recursion, 0
	.set _ZN9rocsparseL19gebsrmvn_2xn_kernelILj128ELj7ELj64E21rocsparse_complex_numIfEEEvi20rocsparse_direction_NS_24const_host_device_scalarIT2_EEPKiS8_PKS5_SA_S6_PS5_21rocsparse_index_base_b.has_indirect_call, 0
	.section	.AMDGPU.csdata,"",@progbits
; Kernel info:
; codeLenInByte = 2888
; TotalNumSgprs: 16
; NumVgprs: 62
; ScratchSize: 0
; MemoryBound: 0
; FloatMode: 240
; IeeeMode: 1
; LDSByteSize: 0 bytes/workgroup (compile time only)
; SGPRBlocks: 0
; VGPRBlocks: 3
; NumSGPRsForWavesPerEU: 16
; NumVGPRsForWavesPerEU: 62
; NamedBarCnt: 0
; Occupancy: 16
; WaveLimiterHint : 1
; COMPUTE_PGM_RSRC2:SCRATCH_EN: 0
; COMPUTE_PGM_RSRC2:USER_SGPR: 2
; COMPUTE_PGM_RSRC2:TRAP_HANDLER: 0
; COMPUTE_PGM_RSRC2:TGID_X_EN: 1
; COMPUTE_PGM_RSRC2:TGID_Y_EN: 0
; COMPUTE_PGM_RSRC2:TGID_Z_EN: 0
; COMPUTE_PGM_RSRC2:TIDIG_COMP_CNT: 0
	.section	.text._ZN9rocsparseL19gebsrmvn_2xn_kernelILj128ELj8ELj4E21rocsparse_complex_numIfEEEvi20rocsparse_direction_NS_24const_host_device_scalarIT2_EEPKiS8_PKS5_SA_S6_PS5_21rocsparse_index_base_b,"axG",@progbits,_ZN9rocsparseL19gebsrmvn_2xn_kernelILj128ELj8ELj4E21rocsparse_complex_numIfEEEvi20rocsparse_direction_NS_24const_host_device_scalarIT2_EEPKiS8_PKS5_SA_S6_PS5_21rocsparse_index_base_b,comdat
	.globl	_ZN9rocsparseL19gebsrmvn_2xn_kernelILj128ELj8ELj4E21rocsparse_complex_numIfEEEvi20rocsparse_direction_NS_24const_host_device_scalarIT2_EEPKiS8_PKS5_SA_S6_PS5_21rocsparse_index_base_b ; -- Begin function _ZN9rocsparseL19gebsrmvn_2xn_kernelILj128ELj8ELj4E21rocsparse_complex_numIfEEEvi20rocsparse_direction_NS_24const_host_device_scalarIT2_EEPKiS8_PKS5_SA_S6_PS5_21rocsparse_index_base_b
	.p2align	8
	.type	_ZN9rocsparseL19gebsrmvn_2xn_kernelILj128ELj8ELj4E21rocsparse_complex_numIfEEEvi20rocsparse_direction_NS_24const_host_device_scalarIT2_EEPKiS8_PKS5_SA_S6_PS5_21rocsparse_index_base_b,@function
_ZN9rocsparseL19gebsrmvn_2xn_kernelILj128ELj8ELj4E21rocsparse_complex_numIfEEEvi20rocsparse_direction_NS_24const_host_device_scalarIT2_EEPKiS8_PKS5_SA_S6_PS5_21rocsparse_index_base_b: ; @_ZN9rocsparseL19gebsrmvn_2xn_kernelILj128ELj8ELj4E21rocsparse_complex_numIfEEEvi20rocsparse_direction_NS_24const_host_device_scalarIT2_EEPKiS8_PKS5_SA_S6_PS5_21rocsparse_index_base_b
; %bb.0:
	s_clause 0x2
	s_load_b64 s[12:13], s[0:1], 0x40
	s_load_b64 s[2:3], s[0:1], 0x8
	;; [unrolled: 1-line block ×3, first 2 shown]
	v_mov_b32_e32 v1, 0
	s_add_nc_u64 s[6:7], s[0:1], 8
	s_add_nc_u64 s[8:9], s[0:1], 48
	s_wait_kmcnt 0x0
	s_bitcmp1_b32 s13, 0
	s_cselect_b32 s3, s7, s3
	s_cselect_b32 s2, s6, s2
	;; [unrolled: 1-line block ×4, first 2 shown]
	s_clause 0x1
	flat_load_b64 v[2:3], v1, s[2:3]
	flat_load_b64 v[4:5], v1, s[4:5]
	s_wait_loadcnt_dscnt 0x101
	v_cmp_eq_f32_e32 vcc_lo, 0, v2
	v_cmp_eq_f32_e64 s2, 0, v3
	s_wait_loadcnt_dscnt 0x0
	v_cmp_eq_f32_e64 s3, 1.0, v4
	v_cmp_eq_f32_e64 s4, 0, v5
	s_and_b32 s2, vcc_lo, s2
	s_and_b32 s3, s3, s4
	s_delay_alu instid0(SALU_CYCLE_1) | instskip(NEXT) | instid1(SALU_CYCLE_1)
	s_and_b32 s2, s2, s3
	s_xor_b32 s2, s2, -1
	s_delay_alu instid0(SALU_CYCLE_1)
	s_and_saveexec_b32 s3, s2
	s_cbranch_execz .LBB182_19
; %bb.1:
	s_load_b64 s[2:3], s[0:1], 0x0
	s_bfe_u32 s4, ttmp6, 0x4000c
	s_and_b32 s5, ttmp6, 15
	s_add_co_i32 s4, s4, 1
	s_getreg_b32 s6, hwreg(HW_REG_IB_STS2, 6, 4)
	s_mul_i32 s4, ttmp9, s4
	v_lshrrev_b32_e32 v1, 2, v0
	s_add_co_i32 s5, s5, s4
	s_cmp_eq_u32 s6, 0
	s_cselect_b32 s4, ttmp9, s5
	s_delay_alu instid0(VALU_DEP_1) | instid1(SALU_CYCLE_1)
	v_lshl_or_b32 v6, s4, 5, v1
	s_wait_kmcnt 0x0
	s_delay_alu instid0(VALU_DEP_1)
	v_cmp_gt_i32_e32 vcc_lo, s2, v6
	s_and_b32 exec_lo, exec_lo, vcc_lo
	s_cbranch_execz .LBB182_19
; %bb.2:
	s_load_b256 s[4:11], s[0:1], 0x10
	v_ashrrev_i32_e32 v7, 31, v6
	s_cmp_lg_u32 s3, 0
	s_wait_kmcnt 0x0
	s_delay_alu instid0(VALU_DEP_1)
	v_lshl_add_u64 v[8:9], v[6:7], 2, s[4:5]
	v_and_b32_e32 v7, 3, v0
	global_load_b64 v[8:9], v[8:9], off
	s_wait_loadcnt 0x0
	v_subrev_nc_u32_e32 v0, s12, v8
	v_subrev_nc_u32_e32 v12, s12, v9
	s_delay_alu instid0(VALU_DEP_2) | instskip(NEXT) | instid1(VALU_DEP_1)
	v_add_nc_u32_e32 v13, v0, v7
	v_cmp_lt_i32_e64 s2, v13, v12
	s_cbranch_scc0 .LBB182_8
; %bb.3:
	v_mov_b32_e32 v1, 0
	s_delay_alu instid0(VALU_DEP_1)
	v_dual_mov_b32 v0, v1 :: v_dual_mov_b32 v9, v1
	v_mov_b32_e32 v8, v1
	s_and_saveexec_b32 s3, s2
	s_cbranch_execz .LBB182_7
; %bb.4:
	v_dual_mov_b32 v11, 0 :: v_dual_lshlrev_b32 v10, 4, v13
	v_mov_b32_e32 v14, v13
	s_mov_b32 s4, 0
	s_delay_alu instid0(VALU_DEP_2)
	v_dual_mov_b32 v8, v11 :: v_dual_mov_b32 v9, v11
	v_dual_mov_b32 v0, v11 :: v_dual_mov_b32 v1, v11
.LBB182_5:                              ; =>This Inner Loop Header: Depth=1
	global_load_b32 v15, v14, s[6:7] scale_offset
	v_lshl_add_u64 v[64:65], v[10:11], 3, s[8:9]
	s_wait_xcnt 0x0
	v_add_nc_u32_e32 v14, 4, v14
	v_add_nc_u32_e32 v10, 64, v10
	s_delay_alu instid0(VALU_DEP_2) | instskip(SKIP_3) | instid1(VALU_DEP_1)
	v_cmp_ge_i32_e32 vcc_lo, v14, v12
	s_or_b32 s4, vcc_lo, s4
	s_wait_loadcnt 0x0
	v_subrev_nc_u32_e32 v15, s12, v15
	v_dual_mov_b32 v17, v11 :: v_dual_lshlrev_b32 v16, 3, v15
	s_delay_alu instid0(VALU_DEP_1)
	v_lshl_add_u64 v[66:67], v[16:17], 3, s[10:11]
	global_load_b128 v[16:19], v[64:65], off
	global_load_b128 v[20:23], v[66:67], off
	s_clause 0x1
	global_load_b128 v[24:27], v[64:65], off offset:16
	global_load_b128 v[28:31], v[64:65], off offset:32
	global_load_b128 v[32:35], v[66:67], off offset:16
	s_clause 0x1
	global_load_b128 v[36:39], v[64:65], off offset:48
	global_load_b128 v[40:43], v[64:65], off offset:64
	global_load_b128 v[44:47], v[66:67], off offset:32
	;; [unrolled: 4-line block ×3, first 2 shown]
	global_load_b128 v[60:63], v[64:65], off offset:112
	s_wait_loadcnt 0xb
	s_wait_xcnt 0x0
	v_xor_b32_e32 v64, 0x80000000, v19
	v_mov_b32_e32 v65, v18
	s_wait_loadcnt 0xa
	v_pk_fma_f32 v[0:1], v[16:17], v[20:21], v[0:1] op_sel_hi:[1,0,1]
	v_pk_fma_f32 v[8:9], v[18:19], v[20:21], v[8:9] op_sel_hi:[1,0,1]
	v_mov_b32_e32 v18, v23
	s_delay_alu instid0(VALU_DEP_3)
	v_pk_fma_f32 v[0:1], v[16:17], v[20:21], v[0:1] op_sel:[1,1,0] op_sel_hi:[0,1,1] neg_lo:[1,0,0]
	s_wait_loadcnt 0x9
	v_mov_b32_e32 v17, v26
	v_pk_fma_f32 v[8:9], v[64:65], v[20:21], v[8:9] op_sel:[0,1,0]
	v_xor_b32_e32 v16, 0x80000000, v27
	v_pk_fma_f32 v[0:1], v[24:25], v[22:23], v[0:1] op_sel_hi:[1,0,1]
	s_delay_alu instid0(VALU_DEP_3) | instskip(NEXT) | instid1(VALU_DEP_1)
	v_pk_fma_f32 v[8:9], v[26:27], v[22:23], v[8:9] op_sel_hi:[1,0,1]
	v_pk_fma_f32 v[8:9], v[16:17], v[18:19], v[8:9] op_sel_hi:[1,0,1]
	s_wait_loadcnt 0x8
	v_mov_b32_e32 v17, v30
	v_pk_fma_f32 v[0:1], v[24:25], v[18:19], v[0:1] op_sel:[1,0,0] op_sel_hi:[0,0,1] neg_lo:[1,0,0]
	v_xor_b32_e32 v16, 0x80000000, v31
	s_wait_loadcnt 0x7
	v_mov_b32_e32 v18, v35
	v_pk_fma_f32 v[8:9], v[30:31], v[32:33], v[8:9] op_sel_hi:[1,0,1]
	v_pk_fma_f32 v[0:1], v[28:29], v[32:33], v[0:1] op_sel_hi:[1,0,1]
	s_delay_alu instid0(VALU_DEP_2) | instskip(SKIP_2) | instid1(VALU_DEP_3)
	v_pk_fma_f32 v[8:9], v[16:17], v[32:33], v[8:9] op_sel:[0,1,0]
	s_wait_loadcnt 0x6
	v_xor_b32_e32 v16, 0x80000000, v39
	v_pk_fma_f32 v[0:1], v[28:29], v[32:33], v[0:1] op_sel:[1,1,0] op_sel_hi:[0,1,1] neg_lo:[1,0,0]
	v_mov_b32_e32 v17, v38
	v_pk_fma_f32 v[8:9], v[38:39], v[34:35], v[8:9] op_sel_hi:[1,0,1]
	s_delay_alu instid0(VALU_DEP_3) | instskip(NEXT) | instid1(VALU_DEP_2)
	v_pk_fma_f32 v[0:1], v[36:37], v[34:35], v[0:1] op_sel_hi:[1,0,1]
	v_pk_fma_f32 v[8:9], v[16:17], v[18:19], v[8:9] op_sel_hi:[1,0,1]
	s_wait_loadcnt 0x5
	v_xor_b32_e32 v16, 0x80000000, v43
	s_delay_alu instid0(VALU_DEP_3) | instskip(SKIP_3) | instid1(VALU_DEP_3)
	v_pk_fma_f32 v[0:1], v[36:37], v[18:19], v[0:1] op_sel:[1,0,0] op_sel_hi:[0,0,1] neg_lo:[1,0,0]
	s_wait_loadcnt 0x4
	v_dual_mov_b32 v17, v42 :: v_dual_mov_b32 v18, v47
	v_pk_fma_f32 v[8:9], v[42:43], v[44:45], v[8:9] op_sel_hi:[1,0,1]
	v_pk_fma_f32 v[0:1], v[40:41], v[44:45], v[0:1] op_sel_hi:[1,0,1]
	s_delay_alu instid0(VALU_DEP_2) | instskip(SKIP_2) | instid1(VALU_DEP_3)
	v_pk_fma_f32 v[8:9], v[16:17], v[44:45], v[8:9] op_sel:[0,1,0]
	s_wait_loadcnt 0x3
	v_xor_b32_e32 v16, 0x80000000, v51
	v_pk_fma_f32 v[0:1], v[40:41], v[44:45], v[0:1] op_sel:[1,1,0] op_sel_hi:[0,1,1] neg_lo:[1,0,0]
	v_mov_b32_e32 v17, v50
	v_pk_fma_f32 v[8:9], v[50:51], v[46:47], v[8:9] op_sel_hi:[1,0,1]
	s_delay_alu instid0(VALU_DEP_3) | instskip(NEXT) | instid1(VALU_DEP_2)
	v_pk_fma_f32 v[0:1], v[48:49], v[46:47], v[0:1] op_sel_hi:[1,0,1]
	v_pk_fma_f32 v[8:9], v[16:17], v[18:19], v[8:9] op_sel_hi:[1,0,1]
	s_wait_loadcnt 0x2
	v_xor_b32_e32 v16, 0x80000000, v55
	s_delay_alu instid0(VALU_DEP_3) | instskip(SKIP_3) | instid1(VALU_DEP_3)
	v_pk_fma_f32 v[0:1], v[48:49], v[18:19], v[0:1] op_sel:[1,0,0] op_sel_hi:[0,0,1] neg_lo:[1,0,0]
	s_wait_loadcnt 0x1
	v_dual_mov_b32 v17, v54 :: v_dual_mov_b32 v18, v59
	v_pk_fma_f32 v[8:9], v[54:55], v[56:57], v[8:9] op_sel_hi:[1,0,1]
	v_pk_fma_f32 v[0:1], v[52:53], v[56:57], v[0:1] op_sel_hi:[1,0,1]
	s_delay_alu instid0(VALU_DEP_2) | instskip(SKIP_2) | instid1(VALU_DEP_3)
	v_pk_fma_f32 v[8:9], v[16:17], v[56:57], v[8:9] op_sel:[0,1,0]
	s_wait_loadcnt 0x0
	v_xor_b32_e32 v16, 0x80000000, v63
	v_pk_fma_f32 v[0:1], v[52:53], v[56:57], v[0:1] op_sel:[1,1,0] op_sel_hi:[0,1,1] neg_lo:[1,0,0]
	v_mov_b32_e32 v17, v62
	v_pk_fma_f32 v[8:9], v[62:63], v[58:59], v[8:9] op_sel_hi:[1,0,1]
	s_delay_alu instid0(VALU_DEP_3) | instskip(NEXT) | instid1(VALU_DEP_2)
	v_pk_fma_f32 v[0:1], v[60:61], v[58:59], v[0:1] op_sel_hi:[1,0,1]
	v_pk_fma_f32 v[8:9], v[16:17], v[18:19], v[8:9] op_sel_hi:[1,0,1]
	s_delay_alu instid0(VALU_DEP_2)
	v_pk_fma_f32 v[0:1], v[60:61], v[18:19], v[0:1] op_sel:[1,0,0] op_sel_hi:[0,0,1] neg_lo:[1,0,0]
	s_and_not1_b32 exec_lo, exec_lo, s4
	s_cbranch_execnz .LBB182_5
; %bb.6:
	s_or_b32 exec_lo, exec_lo, s4
.LBB182_7:
	s_delay_alu instid0(SALU_CYCLE_1)
	s_or_b32 exec_lo, exec_lo, s3
	s_cbranch_execz .LBB182_9
	s_branch .LBB182_14
.LBB182_8:
                                        ; implicit-def: $vgpr1
                                        ; implicit-def: $vgpr9
.LBB182_9:
	v_mov_b32_e32 v1, 0
	s_delay_alu instid0(VALU_DEP_1)
	v_dual_mov_b32 v0, v1 :: v_dual_mov_b32 v9, v1
	v_mov_b32_e32 v8, v1
	s_and_saveexec_b32 s3, s2
	s_cbranch_execz .LBB182_13
; %bb.10:
	v_dual_mov_b32 v11, 0 :: v_dual_lshlrev_b32 v10, 4, v13
	s_mov_b32 s2, 0
	s_delay_alu instid0(VALU_DEP_1)
	v_dual_mov_b32 v8, v11 :: v_dual_mov_b32 v9, v11
	v_dual_mov_b32 v0, v11 :: v_dual_mov_b32 v1, v11
.LBB182_11:                             ; =>This Inner Loop Header: Depth=1
	global_load_b32 v14, v13, s[6:7] scale_offset
	v_lshl_add_u64 v[62:63], v[10:11], 3, s[8:9]
	s_wait_xcnt 0x0
	v_dual_add_nc_u32 v13, 4, v13 :: v_dual_add_nc_u32 v10, 64, v10
	s_delay_alu instid0(VALU_DEP_1) | instskip(SKIP_3) | instid1(VALU_DEP_1)
	v_cmp_ge_i32_e32 vcc_lo, v13, v12
	s_or_b32 s2, vcc_lo, s2
	s_wait_loadcnt 0x0
	v_subrev_nc_u32_e32 v14, s12, v14
	v_dual_mov_b32 v15, v11 :: v_dual_lshlrev_b32 v14, 3, v14
	s_delay_alu instid0(VALU_DEP_1)
	v_lshl_add_u64 v[64:65], v[14:15], 3, s[10:11]
	s_clause 0x1
	global_load_b128 v[14:17], v[62:63], off
	global_load_b128 v[18:21], v[62:63], off offset:64
	global_load_b128 v[22:25], v[64:65], off
	s_clause 0x1
	global_load_b128 v[26:29], v[62:63], off offset:16
	global_load_b128 v[30:33], v[62:63], off offset:80
	global_load_b128 v[34:37], v[64:65], off offset:16
	s_clause 0x1
	global_load_b128 v[38:41], v[62:63], off offset:32
	global_load_b128 v[42:45], v[62:63], off offset:96
	global_load_b128 v[46:49], v[64:65], off offset:32
	;; [unrolled: 4-line block ×3, first 2 shown]
	s_wait_loadcnt 0xb
	s_wait_xcnt 0x1
	v_xor_b32_e32 v62, 0x80000000, v17
	v_mov_b32_e32 v63, v16
	s_wait_loadcnt 0x9
	v_pk_fma_f32 v[0:1], v[14:15], v[22:23], v[0:1] op_sel_hi:[1,0,1]
	v_pk_fma_f32 v[8:9], v[18:19], v[22:23], v[8:9] op_sel_hi:[1,0,1]
	s_delay_alu instid0(VALU_DEP_2) | instskip(NEXT) | instid1(VALU_DEP_2)
	v_pk_fma_f32 v[0:1], v[14:15], v[22:23], v[0:1] op_sel:[1,1,0] op_sel_hi:[0,1,1] neg_lo:[1,0,0]
	v_pk_fma_f32 v[8:9], v[18:19], v[22:23], v[8:9] op_sel:[1,1,0] op_sel_hi:[0,1,1] neg_lo:[1,0,0]
	v_xor_b32_e32 v14, 0x80000000, v21
	s_wait_loadcnt 0x6
	v_dual_mov_b32 v15, v20 :: v_dual_mov_b32 v18, v37
	v_pk_fma_f32 v[0:1], v[16:17], v[24:25], v[0:1] op_sel_hi:[1,0,1]
	v_mov_b32_e32 v16, v25
	v_pk_fma_f32 v[8:9], v[20:21], v[24:25], v[8:9] op_sel_hi:[1,0,1]
	s_delay_alu instid0(VALU_DEP_1)
	v_pk_fma_f32 v[8:9], v[14:15], v[16:17], v[8:9] op_sel_hi:[1,0,1]
	v_mov_b32_e32 v15, v28
	v_pk_fma_f32 v[0:1], v[62:63], v[16:17], v[0:1] op_sel_hi:[1,0,1]
	v_xor_b32_e32 v14, 0x80000000, v29
	v_xor_b32_e32 v16, 0x80000000, v33
	v_pk_fma_f32 v[8:9], v[30:31], v[34:35], v[8:9] op_sel_hi:[1,0,1]
	v_mov_b32_e32 v17, v32
	v_pk_fma_f32 v[0:1], v[26:27], v[34:35], v[0:1] op_sel_hi:[1,0,1]
	s_delay_alu instid0(VALU_DEP_3) | instskip(NEXT) | instid1(VALU_DEP_2)
	v_pk_fma_f32 v[8:9], v[30:31], v[34:35], v[8:9] op_sel:[1,1,0] op_sel_hi:[0,1,1] neg_lo:[1,0,0]
	v_pk_fma_f32 v[0:1], v[26:27], v[34:35], v[0:1] op_sel:[1,1,0] op_sel_hi:[0,1,1] neg_lo:[1,0,0]
	s_delay_alu instid0(VALU_DEP_2) | instskip(NEXT) | instid1(VALU_DEP_2)
	v_pk_fma_f32 v[8:9], v[32:33], v[36:37], v[8:9] op_sel_hi:[1,0,1]
	v_pk_fma_f32 v[0:1], v[28:29], v[36:37], v[0:1] op_sel_hi:[1,0,1]
	s_delay_alu instid0(VALU_DEP_2) | instskip(SKIP_2) | instid1(VALU_DEP_3)
	v_pk_fma_f32 v[8:9], v[16:17], v[18:19], v[8:9] op_sel_hi:[1,0,1]
	s_wait_loadcnt 0x4
	v_xor_b32_e32 v16, 0x80000000, v45
	v_pk_fma_f32 v[0:1], v[14:15], v[18:19], v[0:1] op_sel_hi:[1,0,1]
	v_xor_b32_e32 v14, 0x80000000, v41
	v_dual_mov_b32 v15, v40 :: v_dual_mov_b32 v17, v44
	s_wait_loadcnt 0x3
	v_pk_fma_f32 v[8:9], v[42:43], v[46:47], v[8:9] op_sel_hi:[1,0,1]
	v_pk_fma_f32 v[0:1], v[38:39], v[46:47], v[0:1] op_sel_hi:[1,0,1]
	v_mov_b32_e32 v18, v49
	s_delay_alu instid0(VALU_DEP_3) | instskip(NEXT) | instid1(VALU_DEP_3)
	v_pk_fma_f32 v[8:9], v[42:43], v[46:47], v[8:9] op_sel:[1,1,0] op_sel_hi:[0,1,1] neg_lo:[1,0,0]
	v_pk_fma_f32 v[0:1], v[38:39], v[46:47], v[0:1] op_sel:[1,1,0] op_sel_hi:[0,1,1] neg_lo:[1,0,0]
	s_delay_alu instid0(VALU_DEP_2) | instskip(NEXT) | instid1(VALU_DEP_2)
	v_pk_fma_f32 v[8:9], v[44:45], v[48:49], v[8:9] op_sel_hi:[1,0,1]
	v_pk_fma_f32 v[0:1], v[40:41], v[48:49], v[0:1] op_sel_hi:[1,0,1]
	s_delay_alu instid0(VALU_DEP_2) | instskip(NEXT) | instid1(VALU_DEP_2)
	v_pk_fma_f32 v[8:9], v[16:17], v[18:19], v[8:9] op_sel_hi:[1,0,1]
	v_pk_fma_f32 v[0:1], v[14:15], v[18:19], v[0:1] op_sel_hi:[1,0,1]
	s_wait_loadcnt 0x2
	v_xor_b32_e32 v14, 0x80000000, v53
	s_wait_loadcnt 0x1
	v_dual_mov_b32 v15, v52 :: v_dual_mov_b32 v17, v56
	s_wait_loadcnt 0x0
	v_pk_fma_f32 v[8:9], v[54:55], v[58:59], v[8:9] op_sel_hi:[1,0,1]
	v_pk_fma_f32 v[0:1], v[50:51], v[58:59], v[0:1] op_sel_hi:[1,0,1]
	v_xor_b32_e32 v16, 0x80000000, v57
	v_mov_b32_e32 v18, v61
	s_delay_alu instid0(VALU_DEP_4) | instskip(NEXT) | instid1(VALU_DEP_4)
	v_pk_fma_f32 v[8:9], v[54:55], v[58:59], v[8:9] op_sel:[1,1,0] op_sel_hi:[0,1,1] neg_lo:[1,0,0]
	v_pk_fma_f32 v[0:1], v[50:51], v[58:59], v[0:1] op_sel:[1,1,0] op_sel_hi:[0,1,1] neg_lo:[1,0,0]
	s_delay_alu instid0(VALU_DEP_2) | instskip(NEXT) | instid1(VALU_DEP_2)
	v_pk_fma_f32 v[8:9], v[56:57], v[60:61], v[8:9] op_sel_hi:[1,0,1]
	v_pk_fma_f32 v[0:1], v[52:53], v[60:61], v[0:1] op_sel_hi:[1,0,1]
	s_delay_alu instid0(VALU_DEP_2) | instskip(NEXT) | instid1(VALU_DEP_2)
	v_pk_fma_f32 v[8:9], v[16:17], v[18:19], v[8:9] op_sel_hi:[1,0,1]
	v_pk_fma_f32 v[0:1], v[14:15], v[18:19], v[0:1] op_sel_hi:[1,0,1]
	s_and_not1_b32 exec_lo, exec_lo, s2
	s_cbranch_execnz .LBB182_11
; %bb.12:
	s_or_b32 exec_lo, exec_lo, s2
.LBB182_13:
	s_delay_alu instid0(SALU_CYCLE_1)
	s_or_b32 exec_lo, exec_lo, s3
.LBB182_14:
	v_mbcnt_lo_u32_b32 v10, -1, 0
	s_delay_alu instid0(VALU_DEP_1) | instskip(SKIP_1) | instid1(VALU_DEP_1)
	v_xor_b32_e32 v15, 1, v10
	v_xor_b32_e32 v11, 2, v10
	v_cmp_gt_i32_e32 vcc_lo, 32, v11
	v_cndmask_b32_e32 v11, v10, v11, vcc_lo
	s_delay_alu instid0(VALU_DEP_4) | instskip(SKIP_2) | instid1(VALU_DEP_2)
	v_cmp_gt_i32_e32 vcc_lo, 32, v15
	v_cndmask_b32_e32 v10, v10, v15, vcc_lo
	v_cmp_eq_u32_e32 vcc_lo, 3, v7
	v_dual_lshlrev_b32 v15, 2, v10 :: v_dual_lshlrev_b32 v11, 2, v11
	ds_bpermute_b32 v12, v11, v0
	s_wait_dscnt 0x0
	v_add_f32_e32 v0, v0, v12
	ds_bpermute_b32 v13, v11, v1
	ds_bpermute_b32 v14, v11, v8
	;; [unrolled: 1-line block ×4, first 2 shown]
	s_wait_dscnt 0x2
	v_dual_add_f32 v10, v1, v13 :: v_dual_add_f32 v1, v8, v14
	s_wait_dscnt 0x1
	v_add_f32_e32 v9, v9, v11
	ds_bpermute_b32 v13, v15, v10
	ds_bpermute_b32 v8, v15, v1
	;; [unrolled: 1-line block ×3, first 2 shown]
	s_and_b32 exec_lo, exec_lo, vcc_lo
	s_cbranch_execz .LBB182_19
; %bb.15:
	s_load_b64 s[2:3], s[0:1], 0x38
	v_cmp_eq_f32_e32 vcc_lo, 0, v4
	s_wait_xcnt 0x0
	v_cmp_eq_f32_e64 s0, 0, v5
	s_wait_dscnt 0x2
	v_dual_add_f32 v0, v0, v12 :: v_dual_add_f32 v12, v10, v13
	s_wait_dscnt 0x1
	v_add_f32_e32 v8, v1, v8
	s_wait_dscnt 0x0
	v_add_f32_e32 v10, v9, v11
	s_and_b32 s0, vcc_lo, s0
	s_delay_alu instid0(SALU_CYCLE_1) | instskip(NEXT) | instid1(SALU_CYCLE_1)
	s_and_saveexec_b32 s1, s0
	s_xor_b32 s0, exec_lo, s1
	s_cbranch_execz .LBB182_17
; %bb.16:
	v_xor_b32_e32 v4, 0x80000000, v3
	v_dual_mov_b32 v5, v2 :: v_dual_lshlrev_b32 v6, 1, v6
	s_delay_alu instid0(VALU_DEP_1) | instskip(NEXT) | instid1(VALU_DEP_2)
	v_ashrrev_i32_e32 v7, 31, v6
	v_pk_mul_f32 v[12:13], v[12:13], v[4:5] op_sel_hi:[0,1]
	v_pk_mul_f32 v[4:5], v[10:11], v[4:5] op_sel_hi:[0,1]
                                        ; implicit-def: $vgpr10
	s_wait_kmcnt 0x0
	s_delay_alu instid0(VALU_DEP_3) | instskip(NEXT) | instid1(VALU_DEP_3)
	v_lshl_add_u64 v[6:7], v[6:7], 3, s[2:3]
	v_pk_fma_f32 v[0:1], v[2:3], v[0:1], v[12:13] op_sel_hi:[1,0,1]
	s_delay_alu instid0(VALU_DEP_3)
	v_pk_fma_f32 v[2:3], v[2:3], v[8:9], v[4:5] op_sel_hi:[1,0,1]
                                        ; implicit-def: $vgpr4_vgpr5
                                        ; implicit-def: $vgpr12
                                        ; implicit-def: $vgpr8
	global_store_b128 v[6:7], v[0:3], off
                                        ; implicit-def: $vgpr6
                                        ; implicit-def: $vgpr2_vgpr3
                                        ; implicit-def: $vgpr0
.LBB182_17:
	s_wait_xcnt 0x0
	s_and_not1_saveexec_b32 s0, s0
	s_cbranch_execz .LBB182_19
; %bb.18:
	v_dual_mov_b32 v19, v2 :: v_dual_lshlrev_b32 v6, 1, v6
	v_xor_b32_e32 v18, 0x80000000, v3
	s_delay_alu instid0(VALU_DEP_2) | instskip(NEXT) | instid1(VALU_DEP_2)
	v_ashrrev_i32_e32 v7, 31, v6
	v_pk_mul_f32 v[12:13], v[12:13], v[18:19] op_sel_hi:[0,1]
	v_pk_mul_f32 v[10:11], v[10:11], v[18:19] op_sel_hi:[0,1]
	s_delay_alu instid0(VALU_DEP_2) | instskip(NEXT) | instid1(VALU_DEP_2)
	v_pk_fma_f32 v[0:1], v[2:3], v[0:1], v[12:13] op_sel_hi:[1,0,1]
	v_pk_fma_f32 v[2:3], v[2:3], v[8:9], v[10:11] op_sel_hi:[1,0,1]
	v_mov_b32_e32 v9, v4
	s_wait_kmcnt 0x0
	v_lshl_add_u64 v[6:7], v[6:7], 3, s[2:3]
	v_xor_b32_e32 v8, 0x80000000, v5
	global_load_b128 v[14:17], v[6:7], off
	s_wait_loadcnt 0x0
	v_pk_fma_f32 v[0:1], v[4:5], v[14:15], v[0:1] op_sel_hi:[1,0,1]
	v_pk_fma_f32 v[2:3], v[4:5], v[16:17], v[2:3] op_sel_hi:[1,0,1]
	v_mov_b32_e32 v4, v17
	s_delay_alu instid0(VALU_DEP_3) | instskip(NEXT) | instid1(VALU_DEP_2)
	v_pk_fma_f32 v[0:1], v[8:9], v[14:15], v[0:1] op_sel:[0,1,0]
	v_pk_fma_f32 v[2:3], v[8:9], v[4:5], v[2:3] op_sel_hi:[1,0,1]
	global_store_b128 v[6:7], v[0:3], off
.LBB182_19:
	s_sendmsg sendmsg(MSG_DEALLOC_VGPRS)
	s_endpgm
	.section	.rodata,"a",@progbits
	.p2align	6, 0x0
	.amdhsa_kernel _ZN9rocsparseL19gebsrmvn_2xn_kernelILj128ELj8ELj4E21rocsparse_complex_numIfEEEvi20rocsparse_direction_NS_24const_host_device_scalarIT2_EEPKiS8_PKS5_SA_S6_PS5_21rocsparse_index_base_b
		.amdhsa_group_segment_fixed_size 0
		.amdhsa_private_segment_fixed_size 0
		.amdhsa_kernarg_size 72
		.amdhsa_user_sgpr_count 2
		.amdhsa_user_sgpr_dispatch_ptr 0
		.amdhsa_user_sgpr_queue_ptr 0
		.amdhsa_user_sgpr_kernarg_segment_ptr 1
		.amdhsa_user_sgpr_dispatch_id 0
		.amdhsa_user_sgpr_kernarg_preload_length 0
		.amdhsa_user_sgpr_kernarg_preload_offset 0
		.amdhsa_user_sgpr_private_segment_size 0
		.amdhsa_wavefront_size32 1
		.amdhsa_uses_dynamic_stack 0
		.amdhsa_enable_private_segment 0
		.amdhsa_system_sgpr_workgroup_id_x 1
		.amdhsa_system_sgpr_workgroup_id_y 0
		.amdhsa_system_sgpr_workgroup_id_z 0
		.amdhsa_system_sgpr_workgroup_info 0
		.amdhsa_system_vgpr_workitem_id 0
		.amdhsa_next_free_vgpr 68
		.amdhsa_next_free_sgpr 14
		.amdhsa_named_barrier_count 0
		.amdhsa_reserve_vcc 1
		.amdhsa_float_round_mode_32 0
		.amdhsa_float_round_mode_16_64 0
		.amdhsa_float_denorm_mode_32 3
		.amdhsa_float_denorm_mode_16_64 3
		.amdhsa_fp16_overflow 0
		.amdhsa_memory_ordered 1
		.amdhsa_forward_progress 1
		.amdhsa_inst_pref_size 19
		.amdhsa_round_robin_scheduling 0
		.amdhsa_exception_fp_ieee_invalid_op 0
		.amdhsa_exception_fp_denorm_src 0
		.amdhsa_exception_fp_ieee_div_zero 0
		.amdhsa_exception_fp_ieee_overflow 0
		.amdhsa_exception_fp_ieee_underflow 0
		.amdhsa_exception_fp_ieee_inexact 0
		.amdhsa_exception_int_div_zero 0
	.end_amdhsa_kernel
	.section	.text._ZN9rocsparseL19gebsrmvn_2xn_kernelILj128ELj8ELj4E21rocsparse_complex_numIfEEEvi20rocsparse_direction_NS_24const_host_device_scalarIT2_EEPKiS8_PKS5_SA_S6_PS5_21rocsparse_index_base_b,"axG",@progbits,_ZN9rocsparseL19gebsrmvn_2xn_kernelILj128ELj8ELj4E21rocsparse_complex_numIfEEEvi20rocsparse_direction_NS_24const_host_device_scalarIT2_EEPKiS8_PKS5_SA_S6_PS5_21rocsparse_index_base_b,comdat
.Lfunc_end182:
	.size	_ZN9rocsparseL19gebsrmvn_2xn_kernelILj128ELj8ELj4E21rocsparse_complex_numIfEEEvi20rocsparse_direction_NS_24const_host_device_scalarIT2_EEPKiS8_PKS5_SA_S6_PS5_21rocsparse_index_base_b, .Lfunc_end182-_ZN9rocsparseL19gebsrmvn_2xn_kernelILj128ELj8ELj4E21rocsparse_complex_numIfEEEvi20rocsparse_direction_NS_24const_host_device_scalarIT2_EEPKiS8_PKS5_SA_S6_PS5_21rocsparse_index_base_b
                                        ; -- End function
	.set _ZN9rocsparseL19gebsrmvn_2xn_kernelILj128ELj8ELj4E21rocsparse_complex_numIfEEEvi20rocsparse_direction_NS_24const_host_device_scalarIT2_EEPKiS8_PKS5_SA_S6_PS5_21rocsparse_index_base_b.num_vgpr, 68
	.set _ZN9rocsparseL19gebsrmvn_2xn_kernelILj128ELj8ELj4E21rocsparse_complex_numIfEEEvi20rocsparse_direction_NS_24const_host_device_scalarIT2_EEPKiS8_PKS5_SA_S6_PS5_21rocsparse_index_base_b.num_agpr, 0
	.set _ZN9rocsparseL19gebsrmvn_2xn_kernelILj128ELj8ELj4E21rocsparse_complex_numIfEEEvi20rocsparse_direction_NS_24const_host_device_scalarIT2_EEPKiS8_PKS5_SA_S6_PS5_21rocsparse_index_base_b.numbered_sgpr, 14
	.set _ZN9rocsparseL19gebsrmvn_2xn_kernelILj128ELj8ELj4E21rocsparse_complex_numIfEEEvi20rocsparse_direction_NS_24const_host_device_scalarIT2_EEPKiS8_PKS5_SA_S6_PS5_21rocsparse_index_base_b.num_named_barrier, 0
	.set _ZN9rocsparseL19gebsrmvn_2xn_kernelILj128ELj8ELj4E21rocsparse_complex_numIfEEEvi20rocsparse_direction_NS_24const_host_device_scalarIT2_EEPKiS8_PKS5_SA_S6_PS5_21rocsparse_index_base_b.private_seg_size, 0
	.set _ZN9rocsparseL19gebsrmvn_2xn_kernelILj128ELj8ELj4E21rocsparse_complex_numIfEEEvi20rocsparse_direction_NS_24const_host_device_scalarIT2_EEPKiS8_PKS5_SA_S6_PS5_21rocsparse_index_base_b.uses_vcc, 1
	.set _ZN9rocsparseL19gebsrmvn_2xn_kernelILj128ELj8ELj4E21rocsparse_complex_numIfEEEvi20rocsparse_direction_NS_24const_host_device_scalarIT2_EEPKiS8_PKS5_SA_S6_PS5_21rocsparse_index_base_b.uses_flat_scratch, 1
	.set _ZN9rocsparseL19gebsrmvn_2xn_kernelILj128ELj8ELj4E21rocsparse_complex_numIfEEEvi20rocsparse_direction_NS_24const_host_device_scalarIT2_EEPKiS8_PKS5_SA_S6_PS5_21rocsparse_index_base_b.has_dyn_sized_stack, 0
	.set _ZN9rocsparseL19gebsrmvn_2xn_kernelILj128ELj8ELj4E21rocsparse_complex_numIfEEEvi20rocsparse_direction_NS_24const_host_device_scalarIT2_EEPKiS8_PKS5_SA_S6_PS5_21rocsparse_index_base_b.has_recursion, 0
	.set _ZN9rocsparseL19gebsrmvn_2xn_kernelILj128ELj8ELj4E21rocsparse_complex_numIfEEEvi20rocsparse_direction_NS_24const_host_device_scalarIT2_EEPKiS8_PKS5_SA_S6_PS5_21rocsparse_index_base_b.has_indirect_call, 0
	.section	.AMDGPU.csdata,"",@progbits
; Kernel info:
; codeLenInByte = 2368
; TotalNumSgprs: 16
; NumVgprs: 68
; ScratchSize: 0
; MemoryBound: 0
; FloatMode: 240
; IeeeMode: 1
; LDSByteSize: 0 bytes/workgroup (compile time only)
; SGPRBlocks: 0
; VGPRBlocks: 4
; NumSGPRsForWavesPerEU: 16
; NumVGPRsForWavesPerEU: 68
; NamedBarCnt: 0
; Occupancy: 12
; WaveLimiterHint : 1
; COMPUTE_PGM_RSRC2:SCRATCH_EN: 0
; COMPUTE_PGM_RSRC2:USER_SGPR: 2
; COMPUTE_PGM_RSRC2:TRAP_HANDLER: 0
; COMPUTE_PGM_RSRC2:TGID_X_EN: 1
; COMPUTE_PGM_RSRC2:TGID_Y_EN: 0
; COMPUTE_PGM_RSRC2:TGID_Z_EN: 0
; COMPUTE_PGM_RSRC2:TIDIG_COMP_CNT: 0
	.section	.text._ZN9rocsparseL19gebsrmvn_2xn_kernelILj128ELj8ELj8E21rocsparse_complex_numIfEEEvi20rocsparse_direction_NS_24const_host_device_scalarIT2_EEPKiS8_PKS5_SA_S6_PS5_21rocsparse_index_base_b,"axG",@progbits,_ZN9rocsparseL19gebsrmvn_2xn_kernelILj128ELj8ELj8E21rocsparse_complex_numIfEEEvi20rocsparse_direction_NS_24const_host_device_scalarIT2_EEPKiS8_PKS5_SA_S6_PS5_21rocsparse_index_base_b,comdat
	.globl	_ZN9rocsparseL19gebsrmvn_2xn_kernelILj128ELj8ELj8E21rocsparse_complex_numIfEEEvi20rocsparse_direction_NS_24const_host_device_scalarIT2_EEPKiS8_PKS5_SA_S6_PS5_21rocsparse_index_base_b ; -- Begin function _ZN9rocsparseL19gebsrmvn_2xn_kernelILj128ELj8ELj8E21rocsparse_complex_numIfEEEvi20rocsparse_direction_NS_24const_host_device_scalarIT2_EEPKiS8_PKS5_SA_S6_PS5_21rocsparse_index_base_b
	.p2align	8
	.type	_ZN9rocsparseL19gebsrmvn_2xn_kernelILj128ELj8ELj8E21rocsparse_complex_numIfEEEvi20rocsparse_direction_NS_24const_host_device_scalarIT2_EEPKiS8_PKS5_SA_S6_PS5_21rocsparse_index_base_b,@function
_ZN9rocsparseL19gebsrmvn_2xn_kernelILj128ELj8ELj8E21rocsparse_complex_numIfEEEvi20rocsparse_direction_NS_24const_host_device_scalarIT2_EEPKiS8_PKS5_SA_S6_PS5_21rocsparse_index_base_b: ; @_ZN9rocsparseL19gebsrmvn_2xn_kernelILj128ELj8ELj8E21rocsparse_complex_numIfEEEvi20rocsparse_direction_NS_24const_host_device_scalarIT2_EEPKiS8_PKS5_SA_S6_PS5_21rocsparse_index_base_b
; %bb.0:
	s_clause 0x2
	s_load_b64 s[12:13], s[0:1], 0x40
	s_load_b64 s[2:3], s[0:1], 0x8
	;; [unrolled: 1-line block ×3, first 2 shown]
	v_mov_b32_e32 v1, 0
	s_add_nc_u64 s[6:7], s[0:1], 8
	s_add_nc_u64 s[8:9], s[0:1], 48
	s_wait_kmcnt 0x0
	s_bitcmp1_b32 s13, 0
	s_cselect_b32 s3, s7, s3
	s_cselect_b32 s2, s6, s2
	;; [unrolled: 1-line block ×4, first 2 shown]
	s_clause 0x1
	flat_load_b64 v[2:3], v1, s[2:3]
	flat_load_b64 v[4:5], v1, s[4:5]
	s_wait_loadcnt_dscnt 0x101
	v_cmp_eq_f32_e32 vcc_lo, 0, v2
	v_cmp_eq_f32_e64 s2, 0, v3
	s_wait_loadcnt_dscnt 0x0
	v_cmp_eq_f32_e64 s3, 1.0, v4
	v_cmp_eq_f32_e64 s4, 0, v5
	s_and_b32 s2, vcc_lo, s2
	s_and_b32 s3, s3, s4
	s_delay_alu instid0(SALU_CYCLE_1) | instskip(NEXT) | instid1(SALU_CYCLE_1)
	s_and_b32 s2, s2, s3
	s_xor_b32 s2, s2, -1
	s_delay_alu instid0(SALU_CYCLE_1)
	s_and_saveexec_b32 s3, s2
	s_cbranch_execz .LBB183_19
; %bb.1:
	s_load_b64 s[2:3], s[0:1], 0x0
	s_bfe_u32 s4, ttmp6, 0x4000c
	s_and_b32 s5, ttmp6, 15
	s_add_co_i32 s4, s4, 1
	s_getreg_b32 s6, hwreg(HW_REG_IB_STS2, 6, 4)
	s_mul_i32 s4, ttmp9, s4
	v_lshrrev_b32_e32 v1, 3, v0
	s_add_co_i32 s5, s5, s4
	s_cmp_eq_u32 s6, 0
	s_cselect_b32 s4, ttmp9, s5
	s_delay_alu instid0(VALU_DEP_1) | instid1(SALU_CYCLE_1)
	v_lshl_or_b32 v6, s4, 4, v1
	s_wait_kmcnt 0x0
	s_delay_alu instid0(VALU_DEP_1)
	v_cmp_gt_i32_e32 vcc_lo, s2, v6
	s_and_b32 exec_lo, exec_lo, vcc_lo
	s_cbranch_execz .LBB183_19
; %bb.2:
	s_load_b256 s[4:11], s[0:1], 0x10
	v_ashrrev_i32_e32 v7, 31, v6
	s_cmp_lg_u32 s3, 0
	s_wait_kmcnt 0x0
	s_delay_alu instid0(VALU_DEP_1)
	v_lshl_add_u64 v[8:9], v[6:7], 2, s[4:5]
	v_and_b32_e32 v7, 7, v0
	global_load_b64 v[8:9], v[8:9], off
	s_wait_loadcnt 0x0
	v_subrev_nc_u32_e32 v0, s12, v8
	v_subrev_nc_u32_e32 v12, s12, v9
	s_delay_alu instid0(VALU_DEP_2) | instskip(NEXT) | instid1(VALU_DEP_1)
	v_add_nc_u32_e32 v13, v0, v7
	v_cmp_lt_i32_e64 s2, v13, v12
	s_cbranch_scc0 .LBB183_8
; %bb.3:
	v_mov_b32_e32 v1, 0
	s_delay_alu instid0(VALU_DEP_1)
	v_dual_mov_b32 v0, v1 :: v_dual_mov_b32 v9, v1
	v_mov_b32_e32 v8, v1
	s_and_saveexec_b32 s3, s2
	s_cbranch_execz .LBB183_7
; %bb.4:
	v_dual_mov_b32 v11, 0 :: v_dual_lshlrev_b32 v10, 4, v13
	v_mov_b32_e32 v14, v13
	s_mov_b32 s4, 0
	s_delay_alu instid0(VALU_DEP_2)
	v_dual_mov_b32 v8, v11 :: v_dual_mov_b32 v9, v11
	v_dual_mov_b32 v0, v11 :: v_dual_mov_b32 v1, v11
.LBB183_5:                              ; =>This Inner Loop Header: Depth=1
	global_load_b32 v15, v14, s[6:7] scale_offset
	v_lshl_add_u64 v[64:65], v[10:11], 3, s[8:9]
	s_wait_xcnt 0x0
	v_add_nc_u32_e32 v14, 8, v14
	v_add_nc_u32_e32 v10, 0x80, v10
	s_delay_alu instid0(VALU_DEP_2) | instskip(SKIP_3) | instid1(VALU_DEP_1)
	v_cmp_ge_i32_e32 vcc_lo, v14, v12
	s_or_b32 s4, vcc_lo, s4
	s_wait_loadcnt 0x0
	v_subrev_nc_u32_e32 v15, s12, v15
	v_dual_mov_b32 v17, v11 :: v_dual_lshlrev_b32 v16, 3, v15
	s_delay_alu instid0(VALU_DEP_1)
	v_lshl_add_u64 v[66:67], v[16:17], 3, s[10:11]
	global_load_b128 v[16:19], v[64:65], off
	global_load_b128 v[20:23], v[66:67], off
	s_clause 0x1
	global_load_b128 v[24:27], v[64:65], off offset:16
	global_load_b128 v[28:31], v[64:65], off offset:32
	global_load_b128 v[32:35], v[66:67], off offset:16
	s_clause 0x1
	global_load_b128 v[36:39], v[64:65], off offset:48
	global_load_b128 v[40:43], v[64:65], off offset:64
	global_load_b128 v[44:47], v[66:67], off offset:32
	;; [unrolled: 4-line block ×3, first 2 shown]
	global_load_b128 v[60:63], v[64:65], off offset:112
	s_wait_loadcnt 0xb
	s_wait_xcnt 0x0
	v_xor_b32_e32 v64, 0x80000000, v19
	v_mov_b32_e32 v65, v18
	s_wait_loadcnt 0xa
	v_pk_fma_f32 v[0:1], v[16:17], v[20:21], v[0:1] op_sel_hi:[1,0,1]
	v_pk_fma_f32 v[8:9], v[18:19], v[20:21], v[8:9] op_sel_hi:[1,0,1]
	v_mov_b32_e32 v18, v23
	s_delay_alu instid0(VALU_DEP_3)
	v_pk_fma_f32 v[0:1], v[16:17], v[20:21], v[0:1] op_sel:[1,1,0] op_sel_hi:[0,1,1] neg_lo:[1,0,0]
	s_wait_loadcnt 0x9
	v_mov_b32_e32 v17, v26
	v_pk_fma_f32 v[8:9], v[64:65], v[20:21], v[8:9] op_sel:[0,1,0]
	v_xor_b32_e32 v16, 0x80000000, v27
	v_pk_fma_f32 v[0:1], v[24:25], v[22:23], v[0:1] op_sel_hi:[1,0,1]
	s_delay_alu instid0(VALU_DEP_3) | instskip(NEXT) | instid1(VALU_DEP_1)
	v_pk_fma_f32 v[8:9], v[26:27], v[22:23], v[8:9] op_sel_hi:[1,0,1]
	v_pk_fma_f32 v[8:9], v[16:17], v[18:19], v[8:9] op_sel_hi:[1,0,1]
	s_wait_loadcnt 0x8
	v_mov_b32_e32 v17, v30
	v_pk_fma_f32 v[0:1], v[24:25], v[18:19], v[0:1] op_sel:[1,0,0] op_sel_hi:[0,0,1] neg_lo:[1,0,0]
	v_xor_b32_e32 v16, 0x80000000, v31
	s_wait_loadcnt 0x7
	v_mov_b32_e32 v18, v35
	v_pk_fma_f32 v[8:9], v[30:31], v[32:33], v[8:9] op_sel_hi:[1,0,1]
	v_pk_fma_f32 v[0:1], v[28:29], v[32:33], v[0:1] op_sel_hi:[1,0,1]
	s_delay_alu instid0(VALU_DEP_2) | instskip(SKIP_2) | instid1(VALU_DEP_3)
	v_pk_fma_f32 v[8:9], v[16:17], v[32:33], v[8:9] op_sel:[0,1,0]
	s_wait_loadcnt 0x6
	v_xor_b32_e32 v16, 0x80000000, v39
	v_pk_fma_f32 v[0:1], v[28:29], v[32:33], v[0:1] op_sel:[1,1,0] op_sel_hi:[0,1,1] neg_lo:[1,0,0]
	v_mov_b32_e32 v17, v38
	v_pk_fma_f32 v[8:9], v[38:39], v[34:35], v[8:9] op_sel_hi:[1,0,1]
	s_delay_alu instid0(VALU_DEP_3) | instskip(NEXT) | instid1(VALU_DEP_2)
	v_pk_fma_f32 v[0:1], v[36:37], v[34:35], v[0:1] op_sel_hi:[1,0,1]
	v_pk_fma_f32 v[8:9], v[16:17], v[18:19], v[8:9] op_sel_hi:[1,0,1]
	s_wait_loadcnt 0x5
	v_xor_b32_e32 v16, 0x80000000, v43
	s_delay_alu instid0(VALU_DEP_3) | instskip(SKIP_3) | instid1(VALU_DEP_3)
	v_pk_fma_f32 v[0:1], v[36:37], v[18:19], v[0:1] op_sel:[1,0,0] op_sel_hi:[0,0,1] neg_lo:[1,0,0]
	s_wait_loadcnt 0x4
	v_dual_mov_b32 v17, v42 :: v_dual_mov_b32 v18, v47
	v_pk_fma_f32 v[8:9], v[42:43], v[44:45], v[8:9] op_sel_hi:[1,0,1]
	v_pk_fma_f32 v[0:1], v[40:41], v[44:45], v[0:1] op_sel_hi:[1,0,1]
	s_delay_alu instid0(VALU_DEP_2) | instskip(SKIP_2) | instid1(VALU_DEP_3)
	v_pk_fma_f32 v[8:9], v[16:17], v[44:45], v[8:9] op_sel:[0,1,0]
	s_wait_loadcnt 0x3
	v_xor_b32_e32 v16, 0x80000000, v51
	v_pk_fma_f32 v[0:1], v[40:41], v[44:45], v[0:1] op_sel:[1,1,0] op_sel_hi:[0,1,1] neg_lo:[1,0,0]
	v_mov_b32_e32 v17, v50
	v_pk_fma_f32 v[8:9], v[50:51], v[46:47], v[8:9] op_sel_hi:[1,0,1]
	s_delay_alu instid0(VALU_DEP_3) | instskip(NEXT) | instid1(VALU_DEP_2)
	v_pk_fma_f32 v[0:1], v[48:49], v[46:47], v[0:1] op_sel_hi:[1,0,1]
	v_pk_fma_f32 v[8:9], v[16:17], v[18:19], v[8:9] op_sel_hi:[1,0,1]
	s_wait_loadcnt 0x2
	v_xor_b32_e32 v16, 0x80000000, v55
	s_delay_alu instid0(VALU_DEP_3) | instskip(SKIP_3) | instid1(VALU_DEP_3)
	v_pk_fma_f32 v[0:1], v[48:49], v[18:19], v[0:1] op_sel:[1,0,0] op_sel_hi:[0,0,1] neg_lo:[1,0,0]
	s_wait_loadcnt 0x1
	v_dual_mov_b32 v17, v54 :: v_dual_mov_b32 v18, v59
	v_pk_fma_f32 v[8:9], v[54:55], v[56:57], v[8:9] op_sel_hi:[1,0,1]
	v_pk_fma_f32 v[0:1], v[52:53], v[56:57], v[0:1] op_sel_hi:[1,0,1]
	s_delay_alu instid0(VALU_DEP_2) | instskip(SKIP_2) | instid1(VALU_DEP_3)
	v_pk_fma_f32 v[8:9], v[16:17], v[56:57], v[8:9] op_sel:[0,1,0]
	s_wait_loadcnt 0x0
	v_xor_b32_e32 v16, 0x80000000, v63
	v_pk_fma_f32 v[0:1], v[52:53], v[56:57], v[0:1] op_sel:[1,1,0] op_sel_hi:[0,1,1] neg_lo:[1,0,0]
	v_mov_b32_e32 v17, v62
	v_pk_fma_f32 v[8:9], v[62:63], v[58:59], v[8:9] op_sel_hi:[1,0,1]
	s_delay_alu instid0(VALU_DEP_3) | instskip(NEXT) | instid1(VALU_DEP_2)
	v_pk_fma_f32 v[0:1], v[60:61], v[58:59], v[0:1] op_sel_hi:[1,0,1]
	v_pk_fma_f32 v[8:9], v[16:17], v[18:19], v[8:9] op_sel_hi:[1,0,1]
	s_delay_alu instid0(VALU_DEP_2)
	v_pk_fma_f32 v[0:1], v[60:61], v[18:19], v[0:1] op_sel:[1,0,0] op_sel_hi:[0,0,1] neg_lo:[1,0,0]
	s_and_not1_b32 exec_lo, exec_lo, s4
	s_cbranch_execnz .LBB183_5
; %bb.6:
	s_or_b32 exec_lo, exec_lo, s4
.LBB183_7:
	s_delay_alu instid0(SALU_CYCLE_1)
	s_or_b32 exec_lo, exec_lo, s3
	s_cbranch_execz .LBB183_9
	s_branch .LBB183_14
.LBB183_8:
                                        ; implicit-def: $vgpr1
                                        ; implicit-def: $vgpr9
.LBB183_9:
	v_mov_b32_e32 v1, 0
	s_delay_alu instid0(VALU_DEP_1)
	v_dual_mov_b32 v0, v1 :: v_dual_mov_b32 v9, v1
	v_mov_b32_e32 v8, v1
	s_and_saveexec_b32 s3, s2
	s_cbranch_execz .LBB183_13
; %bb.10:
	v_dual_mov_b32 v11, 0 :: v_dual_lshlrev_b32 v10, 4, v13
	s_mov_b32 s2, 0
	s_delay_alu instid0(VALU_DEP_1)
	v_dual_mov_b32 v8, v11 :: v_dual_mov_b32 v9, v11
	v_dual_mov_b32 v0, v11 :: v_dual_mov_b32 v1, v11
.LBB183_11:                             ; =>This Inner Loop Header: Depth=1
	global_load_b32 v14, v13, s[6:7] scale_offset
	v_lshl_add_u64 v[62:63], v[10:11], 3, s[8:9]
	v_add_nc_u32_e32 v10, 0x80, v10
	s_wait_xcnt 0x0
	v_add_nc_u32_e32 v13, 8, v13
	s_delay_alu instid0(VALU_DEP_1) | instskip(SKIP_3) | instid1(VALU_DEP_1)
	v_cmp_ge_i32_e32 vcc_lo, v13, v12
	s_or_b32 s2, vcc_lo, s2
	s_wait_loadcnt 0x0
	v_subrev_nc_u32_e32 v14, s12, v14
	v_dual_mov_b32 v15, v11 :: v_dual_lshlrev_b32 v14, 3, v14
	s_delay_alu instid0(VALU_DEP_1)
	v_lshl_add_u64 v[64:65], v[14:15], 3, s[10:11]
	s_clause 0x1
	global_load_b128 v[14:17], v[62:63], off
	global_load_b128 v[18:21], v[62:63], off offset:64
	global_load_b128 v[22:25], v[64:65], off
	s_clause 0x1
	global_load_b128 v[26:29], v[62:63], off offset:16
	global_load_b128 v[30:33], v[62:63], off offset:80
	global_load_b128 v[34:37], v[64:65], off offset:16
	s_clause 0x1
	global_load_b128 v[38:41], v[62:63], off offset:32
	global_load_b128 v[42:45], v[62:63], off offset:96
	global_load_b128 v[46:49], v[64:65], off offset:32
	;; [unrolled: 4-line block ×3, first 2 shown]
	s_wait_loadcnt 0xb
	s_wait_xcnt 0x1
	v_xor_b32_e32 v62, 0x80000000, v17
	v_mov_b32_e32 v63, v16
	s_wait_loadcnt 0x9
	v_pk_fma_f32 v[0:1], v[14:15], v[22:23], v[0:1] op_sel_hi:[1,0,1]
	v_pk_fma_f32 v[8:9], v[18:19], v[22:23], v[8:9] op_sel_hi:[1,0,1]
	s_delay_alu instid0(VALU_DEP_2) | instskip(NEXT) | instid1(VALU_DEP_2)
	v_pk_fma_f32 v[0:1], v[14:15], v[22:23], v[0:1] op_sel:[1,1,0] op_sel_hi:[0,1,1] neg_lo:[1,0,0]
	v_pk_fma_f32 v[8:9], v[18:19], v[22:23], v[8:9] op_sel:[1,1,0] op_sel_hi:[0,1,1] neg_lo:[1,0,0]
	v_xor_b32_e32 v14, 0x80000000, v21
	s_wait_loadcnt 0x6
	v_dual_mov_b32 v15, v20 :: v_dual_mov_b32 v18, v37
	v_pk_fma_f32 v[0:1], v[16:17], v[24:25], v[0:1] op_sel_hi:[1,0,1]
	v_mov_b32_e32 v16, v25
	v_pk_fma_f32 v[8:9], v[20:21], v[24:25], v[8:9] op_sel_hi:[1,0,1]
	s_delay_alu instid0(VALU_DEP_1)
	v_pk_fma_f32 v[8:9], v[14:15], v[16:17], v[8:9] op_sel_hi:[1,0,1]
	v_mov_b32_e32 v15, v28
	v_pk_fma_f32 v[0:1], v[62:63], v[16:17], v[0:1] op_sel_hi:[1,0,1]
	v_xor_b32_e32 v14, 0x80000000, v29
	v_xor_b32_e32 v16, 0x80000000, v33
	v_pk_fma_f32 v[8:9], v[30:31], v[34:35], v[8:9] op_sel_hi:[1,0,1]
	v_mov_b32_e32 v17, v32
	v_pk_fma_f32 v[0:1], v[26:27], v[34:35], v[0:1] op_sel_hi:[1,0,1]
	s_delay_alu instid0(VALU_DEP_3) | instskip(NEXT) | instid1(VALU_DEP_2)
	v_pk_fma_f32 v[8:9], v[30:31], v[34:35], v[8:9] op_sel:[1,1,0] op_sel_hi:[0,1,1] neg_lo:[1,0,0]
	v_pk_fma_f32 v[0:1], v[26:27], v[34:35], v[0:1] op_sel:[1,1,0] op_sel_hi:[0,1,1] neg_lo:[1,0,0]
	s_delay_alu instid0(VALU_DEP_2) | instskip(NEXT) | instid1(VALU_DEP_2)
	v_pk_fma_f32 v[8:9], v[32:33], v[36:37], v[8:9] op_sel_hi:[1,0,1]
	v_pk_fma_f32 v[0:1], v[28:29], v[36:37], v[0:1] op_sel_hi:[1,0,1]
	s_delay_alu instid0(VALU_DEP_2) | instskip(SKIP_2) | instid1(VALU_DEP_3)
	v_pk_fma_f32 v[8:9], v[16:17], v[18:19], v[8:9] op_sel_hi:[1,0,1]
	s_wait_loadcnt 0x4
	v_xor_b32_e32 v16, 0x80000000, v45
	v_pk_fma_f32 v[0:1], v[14:15], v[18:19], v[0:1] op_sel_hi:[1,0,1]
	v_xor_b32_e32 v14, 0x80000000, v41
	v_dual_mov_b32 v15, v40 :: v_dual_mov_b32 v17, v44
	s_wait_loadcnt 0x3
	v_pk_fma_f32 v[8:9], v[42:43], v[46:47], v[8:9] op_sel_hi:[1,0,1]
	v_pk_fma_f32 v[0:1], v[38:39], v[46:47], v[0:1] op_sel_hi:[1,0,1]
	v_mov_b32_e32 v18, v49
	s_delay_alu instid0(VALU_DEP_3) | instskip(NEXT) | instid1(VALU_DEP_3)
	v_pk_fma_f32 v[8:9], v[42:43], v[46:47], v[8:9] op_sel:[1,1,0] op_sel_hi:[0,1,1] neg_lo:[1,0,0]
	v_pk_fma_f32 v[0:1], v[38:39], v[46:47], v[0:1] op_sel:[1,1,0] op_sel_hi:[0,1,1] neg_lo:[1,0,0]
	s_delay_alu instid0(VALU_DEP_2) | instskip(NEXT) | instid1(VALU_DEP_2)
	v_pk_fma_f32 v[8:9], v[44:45], v[48:49], v[8:9] op_sel_hi:[1,0,1]
	v_pk_fma_f32 v[0:1], v[40:41], v[48:49], v[0:1] op_sel_hi:[1,0,1]
	s_delay_alu instid0(VALU_DEP_2) | instskip(NEXT) | instid1(VALU_DEP_2)
	v_pk_fma_f32 v[8:9], v[16:17], v[18:19], v[8:9] op_sel_hi:[1,0,1]
	v_pk_fma_f32 v[0:1], v[14:15], v[18:19], v[0:1] op_sel_hi:[1,0,1]
	s_wait_loadcnt 0x2
	v_xor_b32_e32 v14, 0x80000000, v53
	s_wait_loadcnt 0x1
	v_dual_mov_b32 v15, v52 :: v_dual_mov_b32 v17, v56
	s_wait_loadcnt 0x0
	v_pk_fma_f32 v[8:9], v[54:55], v[58:59], v[8:9] op_sel_hi:[1,0,1]
	v_pk_fma_f32 v[0:1], v[50:51], v[58:59], v[0:1] op_sel_hi:[1,0,1]
	v_xor_b32_e32 v16, 0x80000000, v57
	v_mov_b32_e32 v18, v61
	s_delay_alu instid0(VALU_DEP_4) | instskip(NEXT) | instid1(VALU_DEP_4)
	v_pk_fma_f32 v[8:9], v[54:55], v[58:59], v[8:9] op_sel:[1,1,0] op_sel_hi:[0,1,1] neg_lo:[1,0,0]
	v_pk_fma_f32 v[0:1], v[50:51], v[58:59], v[0:1] op_sel:[1,1,0] op_sel_hi:[0,1,1] neg_lo:[1,0,0]
	s_delay_alu instid0(VALU_DEP_2) | instskip(NEXT) | instid1(VALU_DEP_2)
	v_pk_fma_f32 v[8:9], v[56:57], v[60:61], v[8:9] op_sel_hi:[1,0,1]
	v_pk_fma_f32 v[0:1], v[52:53], v[60:61], v[0:1] op_sel_hi:[1,0,1]
	s_delay_alu instid0(VALU_DEP_2) | instskip(NEXT) | instid1(VALU_DEP_2)
	v_pk_fma_f32 v[8:9], v[16:17], v[18:19], v[8:9] op_sel_hi:[1,0,1]
	v_pk_fma_f32 v[0:1], v[14:15], v[18:19], v[0:1] op_sel_hi:[1,0,1]
	s_and_not1_b32 exec_lo, exec_lo, s2
	s_cbranch_execnz .LBB183_11
; %bb.12:
	s_or_b32 exec_lo, exec_lo, s2
.LBB183_13:
	s_delay_alu instid0(SALU_CYCLE_1)
	s_or_b32 exec_lo, exec_lo, s3
.LBB183_14:
	v_mbcnt_lo_u32_b32 v10, -1, 0
	s_delay_alu instid0(VALU_DEP_1) | instskip(SKIP_1) | instid1(VALU_DEP_1)
	v_xor_b32_e32 v15, 2, v10
	v_xor_b32_e32 v11, 4, v10
	v_cmp_gt_i32_e32 vcc_lo, 32, v11
	v_cndmask_b32_e32 v11, v10, v11, vcc_lo
	s_delay_alu instid0(VALU_DEP_1)
	v_lshlrev_b32_e32 v11, 2, v11
	ds_bpermute_b32 v13, v11, v1
	s_wait_dscnt 0x0
	v_add_f32_e32 v1, v1, v13
	ds_bpermute_b32 v12, v11, v0
	ds_bpermute_b32 v14, v11, v8
	;; [unrolled: 1-line block ×3, first 2 shown]
	s_wait_dscnt 0x2
	v_add_f32_e32 v0, v0, v12
	s_wait_dscnt 0x0
	v_dual_add_f32 v12, v8, v14 :: v_dual_add_f32 v9, v9, v11
	v_cmp_gt_i32_e32 vcc_lo, 32, v15
	v_cndmask_b32_e32 v15, v10, v15, vcc_lo
	s_delay_alu instid0(VALU_DEP_1)
	v_lshlrev_b32_e32 v15, 2, v15
	ds_bpermute_b32 v8, v15, v0
	ds_bpermute_b32 v11, v15, v1
	;; [unrolled: 1-line block ×4, first 2 shown]
	s_wait_dscnt 0x3
	v_dual_add_f32 v0, v0, v8 :: v_dual_bitop2_b32 v15, 1, v10 bitop3:0x14
	s_delay_alu instid0(VALU_DEP_1)
	v_cmp_gt_i32_e32 vcc_lo, 32, v15
	s_wait_dscnt 0x1
	v_dual_add_f32 v8, v1, v11 :: v_dual_add_f32 v1, v12, v13
	s_wait_dscnt 0x0
	v_dual_add_f32 v9, v9, v14 :: v_dual_cndmask_b32 v10, v10, v15
	v_cmp_eq_u32_e32 vcc_lo, 7, v7
	s_delay_alu instid0(VALU_DEP_2)
	v_lshlrev_b32_e32 v15, 2, v10
	ds_bpermute_b32 v12, v15, v0
	ds_bpermute_b32 v13, v15, v8
	;; [unrolled: 1-line block ×4, first 2 shown]
	s_and_b32 exec_lo, exec_lo, vcc_lo
	s_cbranch_execz .LBB183_19
; %bb.15:
	s_load_b64 s[2:3], s[0:1], 0x38
	v_cmp_eq_f32_e32 vcc_lo, 0, v4
	s_wait_xcnt 0x0
	v_cmp_eq_f32_e64 s0, 0, v5
	s_wait_dscnt 0x3
	v_add_f32_e32 v0, v0, v12
	s_wait_dscnt 0x1
	v_dual_add_f32 v12, v8, v13 :: v_dual_add_f32 v8, v1, v10
	s_wait_dscnt 0x0
	v_add_f32_e32 v10, v9, v11
	s_and_b32 s0, vcc_lo, s0
	s_delay_alu instid0(SALU_CYCLE_1) | instskip(NEXT) | instid1(SALU_CYCLE_1)
	s_and_saveexec_b32 s1, s0
	s_xor_b32 s0, exec_lo, s1
	s_cbranch_execz .LBB183_17
; %bb.16:
	v_xor_b32_e32 v4, 0x80000000, v3
	v_dual_mov_b32 v5, v2 :: v_dual_lshlrev_b32 v6, 1, v6
	s_delay_alu instid0(VALU_DEP_1) | instskip(NEXT) | instid1(VALU_DEP_2)
	v_ashrrev_i32_e32 v7, 31, v6
	v_pk_mul_f32 v[12:13], v[12:13], v[4:5] op_sel_hi:[0,1]
	v_pk_mul_f32 v[4:5], v[10:11], v[4:5] op_sel_hi:[0,1]
                                        ; implicit-def: $vgpr10
	s_wait_kmcnt 0x0
	s_delay_alu instid0(VALU_DEP_3) | instskip(NEXT) | instid1(VALU_DEP_3)
	v_lshl_add_u64 v[6:7], v[6:7], 3, s[2:3]
	v_pk_fma_f32 v[0:1], v[2:3], v[0:1], v[12:13] op_sel_hi:[1,0,1]
	s_delay_alu instid0(VALU_DEP_3)
	v_pk_fma_f32 v[2:3], v[2:3], v[8:9], v[4:5] op_sel_hi:[1,0,1]
                                        ; implicit-def: $vgpr4_vgpr5
                                        ; implicit-def: $vgpr12
                                        ; implicit-def: $vgpr8
	global_store_b128 v[6:7], v[0:3], off
                                        ; implicit-def: $vgpr6
                                        ; implicit-def: $vgpr2_vgpr3
                                        ; implicit-def: $vgpr0
.LBB183_17:
	s_wait_xcnt 0x0
	s_and_not1_saveexec_b32 s0, s0
	s_cbranch_execz .LBB183_19
; %bb.18:
	v_dual_mov_b32 v19, v2 :: v_dual_lshlrev_b32 v6, 1, v6
	v_xor_b32_e32 v18, 0x80000000, v3
	s_delay_alu instid0(VALU_DEP_2) | instskip(NEXT) | instid1(VALU_DEP_2)
	v_ashrrev_i32_e32 v7, 31, v6
	v_pk_mul_f32 v[12:13], v[12:13], v[18:19] op_sel_hi:[0,1]
	v_pk_mul_f32 v[10:11], v[10:11], v[18:19] op_sel_hi:[0,1]
	s_delay_alu instid0(VALU_DEP_2) | instskip(NEXT) | instid1(VALU_DEP_2)
	v_pk_fma_f32 v[0:1], v[2:3], v[0:1], v[12:13] op_sel_hi:[1,0,1]
	v_pk_fma_f32 v[2:3], v[2:3], v[8:9], v[10:11] op_sel_hi:[1,0,1]
	v_mov_b32_e32 v9, v4
	s_wait_kmcnt 0x0
	v_lshl_add_u64 v[6:7], v[6:7], 3, s[2:3]
	v_xor_b32_e32 v8, 0x80000000, v5
	global_load_b128 v[14:17], v[6:7], off
	s_wait_loadcnt 0x0
	v_pk_fma_f32 v[0:1], v[4:5], v[14:15], v[0:1] op_sel_hi:[1,0,1]
	v_pk_fma_f32 v[2:3], v[4:5], v[16:17], v[2:3] op_sel_hi:[1,0,1]
	v_mov_b32_e32 v4, v17
	s_delay_alu instid0(VALU_DEP_3) | instskip(NEXT) | instid1(VALU_DEP_2)
	v_pk_fma_f32 v[0:1], v[8:9], v[14:15], v[0:1] op_sel:[0,1,0]
	v_pk_fma_f32 v[2:3], v[8:9], v[4:5], v[2:3] op_sel_hi:[1,0,1]
	global_store_b128 v[6:7], v[0:3], off
.LBB183_19:
	s_sendmsg sendmsg(MSG_DEALLOC_VGPRS)
	s_endpgm
	.section	.rodata,"a",@progbits
	.p2align	6, 0x0
	.amdhsa_kernel _ZN9rocsparseL19gebsrmvn_2xn_kernelILj128ELj8ELj8E21rocsparse_complex_numIfEEEvi20rocsparse_direction_NS_24const_host_device_scalarIT2_EEPKiS8_PKS5_SA_S6_PS5_21rocsparse_index_base_b
		.amdhsa_group_segment_fixed_size 0
		.amdhsa_private_segment_fixed_size 0
		.amdhsa_kernarg_size 72
		.amdhsa_user_sgpr_count 2
		.amdhsa_user_sgpr_dispatch_ptr 0
		.amdhsa_user_sgpr_queue_ptr 0
		.amdhsa_user_sgpr_kernarg_segment_ptr 1
		.amdhsa_user_sgpr_dispatch_id 0
		.amdhsa_user_sgpr_kernarg_preload_length 0
		.amdhsa_user_sgpr_kernarg_preload_offset 0
		.amdhsa_user_sgpr_private_segment_size 0
		.amdhsa_wavefront_size32 1
		.amdhsa_uses_dynamic_stack 0
		.amdhsa_enable_private_segment 0
		.amdhsa_system_sgpr_workgroup_id_x 1
		.amdhsa_system_sgpr_workgroup_id_y 0
		.amdhsa_system_sgpr_workgroup_id_z 0
		.amdhsa_system_sgpr_workgroup_info 0
		.amdhsa_system_vgpr_workitem_id 0
		.amdhsa_next_free_vgpr 68
		.amdhsa_next_free_sgpr 14
		.amdhsa_named_barrier_count 0
		.amdhsa_reserve_vcc 1
		.amdhsa_float_round_mode_32 0
		.amdhsa_float_round_mode_16_64 0
		.amdhsa_float_denorm_mode_32 3
		.amdhsa_float_denorm_mode_16_64 3
		.amdhsa_fp16_overflow 0
		.amdhsa_memory_ordered 1
		.amdhsa_forward_progress 1
		.amdhsa_inst_pref_size 20
		.amdhsa_round_robin_scheduling 0
		.amdhsa_exception_fp_ieee_invalid_op 0
		.amdhsa_exception_fp_denorm_src 0
		.amdhsa_exception_fp_ieee_div_zero 0
		.amdhsa_exception_fp_ieee_overflow 0
		.amdhsa_exception_fp_ieee_underflow 0
		.amdhsa_exception_fp_ieee_inexact 0
		.amdhsa_exception_int_div_zero 0
	.end_amdhsa_kernel
	.section	.text._ZN9rocsparseL19gebsrmvn_2xn_kernelILj128ELj8ELj8E21rocsparse_complex_numIfEEEvi20rocsparse_direction_NS_24const_host_device_scalarIT2_EEPKiS8_PKS5_SA_S6_PS5_21rocsparse_index_base_b,"axG",@progbits,_ZN9rocsparseL19gebsrmvn_2xn_kernelILj128ELj8ELj8E21rocsparse_complex_numIfEEEvi20rocsparse_direction_NS_24const_host_device_scalarIT2_EEPKiS8_PKS5_SA_S6_PS5_21rocsparse_index_base_b,comdat
.Lfunc_end183:
	.size	_ZN9rocsparseL19gebsrmvn_2xn_kernelILj128ELj8ELj8E21rocsparse_complex_numIfEEEvi20rocsparse_direction_NS_24const_host_device_scalarIT2_EEPKiS8_PKS5_SA_S6_PS5_21rocsparse_index_base_b, .Lfunc_end183-_ZN9rocsparseL19gebsrmvn_2xn_kernelILj128ELj8ELj8E21rocsparse_complex_numIfEEEvi20rocsparse_direction_NS_24const_host_device_scalarIT2_EEPKiS8_PKS5_SA_S6_PS5_21rocsparse_index_base_b
                                        ; -- End function
	.set _ZN9rocsparseL19gebsrmvn_2xn_kernelILj128ELj8ELj8E21rocsparse_complex_numIfEEEvi20rocsparse_direction_NS_24const_host_device_scalarIT2_EEPKiS8_PKS5_SA_S6_PS5_21rocsparse_index_base_b.num_vgpr, 68
	.set _ZN9rocsparseL19gebsrmvn_2xn_kernelILj128ELj8ELj8E21rocsparse_complex_numIfEEEvi20rocsparse_direction_NS_24const_host_device_scalarIT2_EEPKiS8_PKS5_SA_S6_PS5_21rocsparse_index_base_b.num_agpr, 0
	.set _ZN9rocsparseL19gebsrmvn_2xn_kernelILj128ELj8ELj8E21rocsparse_complex_numIfEEEvi20rocsparse_direction_NS_24const_host_device_scalarIT2_EEPKiS8_PKS5_SA_S6_PS5_21rocsparse_index_base_b.numbered_sgpr, 14
	.set _ZN9rocsparseL19gebsrmvn_2xn_kernelILj128ELj8ELj8E21rocsparse_complex_numIfEEEvi20rocsparse_direction_NS_24const_host_device_scalarIT2_EEPKiS8_PKS5_SA_S6_PS5_21rocsparse_index_base_b.num_named_barrier, 0
	.set _ZN9rocsparseL19gebsrmvn_2xn_kernelILj128ELj8ELj8E21rocsparse_complex_numIfEEEvi20rocsparse_direction_NS_24const_host_device_scalarIT2_EEPKiS8_PKS5_SA_S6_PS5_21rocsparse_index_base_b.private_seg_size, 0
	.set _ZN9rocsparseL19gebsrmvn_2xn_kernelILj128ELj8ELj8E21rocsparse_complex_numIfEEEvi20rocsparse_direction_NS_24const_host_device_scalarIT2_EEPKiS8_PKS5_SA_S6_PS5_21rocsparse_index_base_b.uses_vcc, 1
	.set _ZN9rocsparseL19gebsrmvn_2xn_kernelILj128ELj8ELj8E21rocsparse_complex_numIfEEEvi20rocsparse_direction_NS_24const_host_device_scalarIT2_EEPKiS8_PKS5_SA_S6_PS5_21rocsparse_index_base_b.uses_flat_scratch, 1
	.set _ZN9rocsparseL19gebsrmvn_2xn_kernelILj128ELj8ELj8E21rocsparse_complex_numIfEEEvi20rocsparse_direction_NS_24const_host_device_scalarIT2_EEPKiS8_PKS5_SA_S6_PS5_21rocsparse_index_base_b.has_dyn_sized_stack, 0
	.set _ZN9rocsparseL19gebsrmvn_2xn_kernelILj128ELj8ELj8E21rocsparse_complex_numIfEEEvi20rocsparse_direction_NS_24const_host_device_scalarIT2_EEPKiS8_PKS5_SA_S6_PS5_21rocsparse_index_base_b.has_recursion, 0
	.set _ZN9rocsparseL19gebsrmvn_2xn_kernelILj128ELj8ELj8E21rocsparse_complex_numIfEEEvi20rocsparse_direction_NS_24const_host_device_scalarIT2_EEPKiS8_PKS5_SA_S6_PS5_21rocsparse_index_base_b.has_indirect_call, 0
	.section	.AMDGPU.csdata,"",@progbits
; Kernel info:
; codeLenInByte = 2460
; TotalNumSgprs: 16
; NumVgprs: 68
; ScratchSize: 0
; MemoryBound: 0
; FloatMode: 240
; IeeeMode: 1
; LDSByteSize: 0 bytes/workgroup (compile time only)
; SGPRBlocks: 0
; VGPRBlocks: 4
; NumSGPRsForWavesPerEU: 16
; NumVGPRsForWavesPerEU: 68
; NamedBarCnt: 0
; Occupancy: 12
; WaveLimiterHint : 1
; COMPUTE_PGM_RSRC2:SCRATCH_EN: 0
; COMPUTE_PGM_RSRC2:USER_SGPR: 2
; COMPUTE_PGM_RSRC2:TRAP_HANDLER: 0
; COMPUTE_PGM_RSRC2:TGID_X_EN: 1
; COMPUTE_PGM_RSRC2:TGID_Y_EN: 0
; COMPUTE_PGM_RSRC2:TGID_Z_EN: 0
; COMPUTE_PGM_RSRC2:TIDIG_COMP_CNT: 0
	.section	.text._ZN9rocsparseL19gebsrmvn_2xn_kernelILj128ELj8ELj16E21rocsparse_complex_numIfEEEvi20rocsparse_direction_NS_24const_host_device_scalarIT2_EEPKiS8_PKS5_SA_S6_PS5_21rocsparse_index_base_b,"axG",@progbits,_ZN9rocsparseL19gebsrmvn_2xn_kernelILj128ELj8ELj16E21rocsparse_complex_numIfEEEvi20rocsparse_direction_NS_24const_host_device_scalarIT2_EEPKiS8_PKS5_SA_S6_PS5_21rocsparse_index_base_b,comdat
	.globl	_ZN9rocsparseL19gebsrmvn_2xn_kernelILj128ELj8ELj16E21rocsparse_complex_numIfEEEvi20rocsparse_direction_NS_24const_host_device_scalarIT2_EEPKiS8_PKS5_SA_S6_PS5_21rocsparse_index_base_b ; -- Begin function _ZN9rocsparseL19gebsrmvn_2xn_kernelILj128ELj8ELj16E21rocsparse_complex_numIfEEEvi20rocsparse_direction_NS_24const_host_device_scalarIT2_EEPKiS8_PKS5_SA_S6_PS5_21rocsparse_index_base_b
	.p2align	8
	.type	_ZN9rocsparseL19gebsrmvn_2xn_kernelILj128ELj8ELj16E21rocsparse_complex_numIfEEEvi20rocsparse_direction_NS_24const_host_device_scalarIT2_EEPKiS8_PKS5_SA_S6_PS5_21rocsparse_index_base_b,@function
_ZN9rocsparseL19gebsrmvn_2xn_kernelILj128ELj8ELj16E21rocsparse_complex_numIfEEEvi20rocsparse_direction_NS_24const_host_device_scalarIT2_EEPKiS8_PKS5_SA_S6_PS5_21rocsparse_index_base_b: ; @_ZN9rocsparseL19gebsrmvn_2xn_kernelILj128ELj8ELj16E21rocsparse_complex_numIfEEEvi20rocsparse_direction_NS_24const_host_device_scalarIT2_EEPKiS8_PKS5_SA_S6_PS5_21rocsparse_index_base_b
; %bb.0:
	s_clause 0x2
	s_load_b64 s[12:13], s[0:1], 0x40
	s_load_b64 s[2:3], s[0:1], 0x8
	;; [unrolled: 1-line block ×3, first 2 shown]
	v_mov_b32_e32 v1, 0
	s_add_nc_u64 s[6:7], s[0:1], 8
	s_add_nc_u64 s[8:9], s[0:1], 48
	s_wait_kmcnt 0x0
	s_bitcmp1_b32 s13, 0
	s_cselect_b32 s3, s7, s3
	s_cselect_b32 s2, s6, s2
	;; [unrolled: 1-line block ×4, first 2 shown]
	s_clause 0x1
	flat_load_b64 v[2:3], v1, s[2:3]
	flat_load_b64 v[4:5], v1, s[4:5]
	s_wait_loadcnt_dscnt 0x101
	v_cmp_eq_f32_e32 vcc_lo, 0, v2
	v_cmp_eq_f32_e64 s2, 0, v3
	s_wait_loadcnt_dscnt 0x0
	v_cmp_eq_f32_e64 s3, 1.0, v4
	v_cmp_eq_f32_e64 s4, 0, v5
	s_and_b32 s2, vcc_lo, s2
	s_and_b32 s3, s3, s4
	s_delay_alu instid0(SALU_CYCLE_1) | instskip(NEXT) | instid1(SALU_CYCLE_1)
	s_and_b32 s2, s2, s3
	s_xor_b32 s2, s2, -1
	s_delay_alu instid0(SALU_CYCLE_1)
	s_and_saveexec_b32 s3, s2
	s_cbranch_execz .LBB184_19
; %bb.1:
	s_load_b64 s[2:3], s[0:1], 0x0
	s_bfe_u32 s4, ttmp6, 0x4000c
	s_and_b32 s5, ttmp6, 15
	s_add_co_i32 s4, s4, 1
	s_getreg_b32 s6, hwreg(HW_REG_IB_STS2, 6, 4)
	s_mul_i32 s4, ttmp9, s4
	v_lshrrev_b32_e32 v1, 4, v0
	s_add_co_i32 s5, s5, s4
	s_cmp_eq_u32 s6, 0
	s_cselect_b32 s4, ttmp9, s5
	s_delay_alu instid0(VALU_DEP_1) | instid1(SALU_CYCLE_1)
	v_lshl_or_b32 v6, s4, 3, v1
	s_wait_kmcnt 0x0
	s_delay_alu instid0(VALU_DEP_1)
	v_cmp_gt_i32_e32 vcc_lo, s2, v6
	s_and_b32 exec_lo, exec_lo, vcc_lo
	s_cbranch_execz .LBB184_19
; %bb.2:
	s_load_b256 s[4:11], s[0:1], 0x10
	v_ashrrev_i32_e32 v7, 31, v6
	s_cmp_lg_u32 s3, 0
	s_wait_kmcnt 0x0
	s_delay_alu instid0(VALU_DEP_1)
	v_lshl_add_u64 v[8:9], v[6:7], 2, s[4:5]
	v_and_b32_e32 v7, 15, v0
	global_load_b64 v[8:9], v[8:9], off
	s_wait_loadcnt 0x0
	v_subrev_nc_u32_e32 v0, s12, v8
	v_subrev_nc_u32_e32 v12, s12, v9
	s_delay_alu instid0(VALU_DEP_2) | instskip(NEXT) | instid1(VALU_DEP_1)
	v_add_nc_u32_e32 v13, v0, v7
	v_cmp_lt_i32_e64 s2, v13, v12
	s_cbranch_scc0 .LBB184_8
; %bb.3:
	v_mov_b32_e32 v1, 0
	s_delay_alu instid0(VALU_DEP_1)
	v_dual_mov_b32 v0, v1 :: v_dual_mov_b32 v9, v1
	v_mov_b32_e32 v8, v1
	s_and_saveexec_b32 s3, s2
	s_cbranch_execz .LBB184_7
; %bb.4:
	v_dual_mov_b32 v11, 0 :: v_dual_lshlrev_b32 v10, 4, v13
	v_mov_b32_e32 v14, v13
	s_mov_b32 s4, 0
	s_delay_alu instid0(VALU_DEP_2)
	v_dual_mov_b32 v8, v11 :: v_dual_mov_b32 v9, v11
	v_dual_mov_b32 v0, v11 :: v_dual_mov_b32 v1, v11
.LBB184_5:                              ; =>This Inner Loop Header: Depth=1
	global_load_b32 v15, v14, s[6:7] scale_offset
	v_lshl_add_u64 v[64:65], v[10:11], 3, s[8:9]
	s_wait_xcnt 0x0
	v_add_nc_u32_e32 v14, 16, v14
	v_add_nc_u32_e32 v10, 0x100, v10
	s_delay_alu instid0(VALU_DEP_2) | instskip(SKIP_3) | instid1(VALU_DEP_1)
	v_cmp_ge_i32_e32 vcc_lo, v14, v12
	s_or_b32 s4, vcc_lo, s4
	s_wait_loadcnt 0x0
	v_subrev_nc_u32_e32 v15, s12, v15
	v_dual_mov_b32 v17, v11 :: v_dual_lshlrev_b32 v16, 3, v15
	s_delay_alu instid0(VALU_DEP_1)
	v_lshl_add_u64 v[66:67], v[16:17], 3, s[10:11]
	global_load_b128 v[16:19], v[64:65], off
	global_load_b128 v[20:23], v[66:67], off
	s_clause 0x1
	global_load_b128 v[24:27], v[64:65], off offset:16
	global_load_b128 v[28:31], v[64:65], off offset:32
	global_load_b128 v[32:35], v[66:67], off offset:16
	s_clause 0x1
	global_load_b128 v[36:39], v[64:65], off offset:48
	global_load_b128 v[40:43], v[64:65], off offset:64
	global_load_b128 v[44:47], v[66:67], off offset:32
	;; [unrolled: 4-line block ×3, first 2 shown]
	global_load_b128 v[60:63], v[64:65], off offset:112
	s_wait_loadcnt 0xb
	s_wait_xcnt 0x0
	v_xor_b32_e32 v64, 0x80000000, v19
	v_mov_b32_e32 v65, v18
	s_wait_loadcnt 0xa
	v_pk_fma_f32 v[0:1], v[16:17], v[20:21], v[0:1] op_sel_hi:[1,0,1]
	v_pk_fma_f32 v[8:9], v[18:19], v[20:21], v[8:9] op_sel_hi:[1,0,1]
	v_mov_b32_e32 v18, v23
	s_delay_alu instid0(VALU_DEP_3)
	v_pk_fma_f32 v[0:1], v[16:17], v[20:21], v[0:1] op_sel:[1,1,0] op_sel_hi:[0,1,1] neg_lo:[1,0,0]
	s_wait_loadcnt 0x9
	v_mov_b32_e32 v17, v26
	v_pk_fma_f32 v[8:9], v[64:65], v[20:21], v[8:9] op_sel:[0,1,0]
	v_xor_b32_e32 v16, 0x80000000, v27
	v_pk_fma_f32 v[0:1], v[24:25], v[22:23], v[0:1] op_sel_hi:[1,0,1]
	s_delay_alu instid0(VALU_DEP_3) | instskip(NEXT) | instid1(VALU_DEP_1)
	v_pk_fma_f32 v[8:9], v[26:27], v[22:23], v[8:9] op_sel_hi:[1,0,1]
	v_pk_fma_f32 v[8:9], v[16:17], v[18:19], v[8:9] op_sel_hi:[1,0,1]
	s_wait_loadcnt 0x8
	v_mov_b32_e32 v17, v30
	v_pk_fma_f32 v[0:1], v[24:25], v[18:19], v[0:1] op_sel:[1,0,0] op_sel_hi:[0,0,1] neg_lo:[1,0,0]
	v_xor_b32_e32 v16, 0x80000000, v31
	s_wait_loadcnt 0x7
	v_mov_b32_e32 v18, v35
	v_pk_fma_f32 v[8:9], v[30:31], v[32:33], v[8:9] op_sel_hi:[1,0,1]
	v_pk_fma_f32 v[0:1], v[28:29], v[32:33], v[0:1] op_sel_hi:[1,0,1]
	s_delay_alu instid0(VALU_DEP_2) | instskip(SKIP_2) | instid1(VALU_DEP_3)
	v_pk_fma_f32 v[8:9], v[16:17], v[32:33], v[8:9] op_sel:[0,1,0]
	s_wait_loadcnt 0x6
	v_xor_b32_e32 v16, 0x80000000, v39
	v_pk_fma_f32 v[0:1], v[28:29], v[32:33], v[0:1] op_sel:[1,1,0] op_sel_hi:[0,1,1] neg_lo:[1,0,0]
	v_mov_b32_e32 v17, v38
	v_pk_fma_f32 v[8:9], v[38:39], v[34:35], v[8:9] op_sel_hi:[1,0,1]
	s_delay_alu instid0(VALU_DEP_3) | instskip(NEXT) | instid1(VALU_DEP_2)
	v_pk_fma_f32 v[0:1], v[36:37], v[34:35], v[0:1] op_sel_hi:[1,0,1]
	v_pk_fma_f32 v[8:9], v[16:17], v[18:19], v[8:9] op_sel_hi:[1,0,1]
	s_wait_loadcnt 0x5
	v_xor_b32_e32 v16, 0x80000000, v43
	s_delay_alu instid0(VALU_DEP_3) | instskip(SKIP_3) | instid1(VALU_DEP_3)
	v_pk_fma_f32 v[0:1], v[36:37], v[18:19], v[0:1] op_sel:[1,0,0] op_sel_hi:[0,0,1] neg_lo:[1,0,0]
	s_wait_loadcnt 0x4
	v_dual_mov_b32 v17, v42 :: v_dual_mov_b32 v18, v47
	v_pk_fma_f32 v[8:9], v[42:43], v[44:45], v[8:9] op_sel_hi:[1,0,1]
	v_pk_fma_f32 v[0:1], v[40:41], v[44:45], v[0:1] op_sel_hi:[1,0,1]
	s_delay_alu instid0(VALU_DEP_2) | instskip(SKIP_2) | instid1(VALU_DEP_3)
	v_pk_fma_f32 v[8:9], v[16:17], v[44:45], v[8:9] op_sel:[0,1,0]
	s_wait_loadcnt 0x3
	v_xor_b32_e32 v16, 0x80000000, v51
	v_pk_fma_f32 v[0:1], v[40:41], v[44:45], v[0:1] op_sel:[1,1,0] op_sel_hi:[0,1,1] neg_lo:[1,0,0]
	v_mov_b32_e32 v17, v50
	v_pk_fma_f32 v[8:9], v[50:51], v[46:47], v[8:9] op_sel_hi:[1,0,1]
	s_delay_alu instid0(VALU_DEP_3) | instskip(NEXT) | instid1(VALU_DEP_2)
	v_pk_fma_f32 v[0:1], v[48:49], v[46:47], v[0:1] op_sel_hi:[1,0,1]
	v_pk_fma_f32 v[8:9], v[16:17], v[18:19], v[8:9] op_sel_hi:[1,0,1]
	s_wait_loadcnt 0x2
	v_xor_b32_e32 v16, 0x80000000, v55
	s_delay_alu instid0(VALU_DEP_3) | instskip(SKIP_3) | instid1(VALU_DEP_3)
	v_pk_fma_f32 v[0:1], v[48:49], v[18:19], v[0:1] op_sel:[1,0,0] op_sel_hi:[0,0,1] neg_lo:[1,0,0]
	s_wait_loadcnt 0x1
	v_dual_mov_b32 v17, v54 :: v_dual_mov_b32 v18, v59
	v_pk_fma_f32 v[8:9], v[54:55], v[56:57], v[8:9] op_sel_hi:[1,0,1]
	v_pk_fma_f32 v[0:1], v[52:53], v[56:57], v[0:1] op_sel_hi:[1,0,1]
	s_delay_alu instid0(VALU_DEP_2) | instskip(SKIP_2) | instid1(VALU_DEP_3)
	v_pk_fma_f32 v[8:9], v[16:17], v[56:57], v[8:9] op_sel:[0,1,0]
	s_wait_loadcnt 0x0
	v_xor_b32_e32 v16, 0x80000000, v63
	v_pk_fma_f32 v[0:1], v[52:53], v[56:57], v[0:1] op_sel:[1,1,0] op_sel_hi:[0,1,1] neg_lo:[1,0,0]
	v_mov_b32_e32 v17, v62
	v_pk_fma_f32 v[8:9], v[62:63], v[58:59], v[8:9] op_sel_hi:[1,0,1]
	s_delay_alu instid0(VALU_DEP_3) | instskip(NEXT) | instid1(VALU_DEP_2)
	v_pk_fma_f32 v[0:1], v[60:61], v[58:59], v[0:1] op_sel_hi:[1,0,1]
	v_pk_fma_f32 v[8:9], v[16:17], v[18:19], v[8:9] op_sel_hi:[1,0,1]
	s_delay_alu instid0(VALU_DEP_2)
	v_pk_fma_f32 v[0:1], v[60:61], v[18:19], v[0:1] op_sel:[1,0,0] op_sel_hi:[0,0,1] neg_lo:[1,0,0]
	s_and_not1_b32 exec_lo, exec_lo, s4
	s_cbranch_execnz .LBB184_5
; %bb.6:
	s_or_b32 exec_lo, exec_lo, s4
.LBB184_7:
	s_delay_alu instid0(SALU_CYCLE_1)
	s_or_b32 exec_lo, exec_lo, s3
	s_cbranch_execz .LBB184_9
	s_branch .LBB184_14
.LBB184_8:
                                        ; implicit-def: $vgpr1
                                        ; implicit-def: $vgpr9
.LBB184_9:
	v_mov_b32_e32 v1, 0
	s_delay_alu instid0(VALU_DEP_1)
	v_dual_mov_b32 v0, v1 :: v_dual_mov_b32 v9, v1
	v_mov_b32_e32 v8, v1
	s_and_saveexec_b32 s3, s2
	s_cbranch_execz .LBB184_13
; %bb.10:
	v_dual_mov_b32 v11, 0 :: v_dual_lshlrev_b32 v10, 4, v13
	s_mov_b32 s2, 0
	s_delay_alu instid0(VALU_DEP_1)
	v_dual_mov_b32 v8, v11 :: v_dual_mov_b32 v9, v11
	v_dual_mov_b32 v0, v11 :: v_dual_mov_b32 v1, v11
.LBB184_11:                             ; =>This Inner Loop Header: Depth=1
	global_load_b32 v14, v13, s[6:7] scale_offset
	v_lshl_add_u64 v[62:63], v[10:11], 3, s[8:9]
	v_add_nc_u32_e32 v10, 0x100, v10
	s_wait_xcnt 0x0
	v_add_nc_u32_e32 v13, 16, v13
	s_delay_alu instid0(VALU_DEP_1) | instskip(SKIP_3) | instid1(VALU_DEP_1)
	v_cmp_ge_i32_e32 vcc_lo, v13, v12
	s_or_b32 s2, vcc_lo, s2
	s_wait_loadcnt 0x0
	v_subrev_nc_u32_e32 v14, s12, v14
	v_dual_mov_b32 v15, v11 :: v_dual_lshlrev_b32 v14, 3, v14
	s_delay_alu instid0(VALU_DEP_1)
	v_lshl_add_u64 v[64:65], v[14:15], 3, s[10:11]
	s_clause 0x1
	global_load_b128 v[14:17], v[62:63], off
	global_load_b128 v[18:21], v[62:63], off offset:64
	global_load_b128 v[22:25], v[64:65], off
	s_clause 0x1
	global_load_b128 v[26:29], v[62:63], off offset:16
	global_load_b128 v[30:33], v[62:63], off offset:80
	global_load_b128 v[34:37], v[64:65], off offset:16
	s_clause 0x1
	global_load_b128 v[38:41], v[62:63], off offset:32
	global_load_b128 v[42:45], v[62:63], off offset:96
	global_load_b128 v[46:49], v[64:65], off offset:32
	;; [unrolled: 4-line block ×3, first 2 shown]
	s_wait_loadcnt 0xb
	s_wait_xcnt 0x1
	v_xor_b32_e32 v62, 0x80000000, v17
	v_mov_b32_e32 v63, v16
	s_wait_loadcnt 0x9
	v_pk_fma_f32 v[0:1], v[14:15], v[22:23], v[0:1] op_sel_hi:[1,0,1]
	v_pk_fma_f32 v[8:9], v[18:19], v[22:23], v[8:9] op_sel_hi:[1,0,1]
	s_delay_alu instid0(VALU_DEP_2) | instskip(NEXT) | instid1(VALU_DEP_2)
	v_pk_fma_f32 v[0:1], v[14:15], v[22:23], v[0:1] op_sel:[1,1,0] op_sel_hi:[0,1,1] neg_lo:[1,0,0]
	v_pk_fma_f32 v[8:9], v[18:19], v[22:23], v[8:9] op_sel:[1,1,0] op_sel_hi:[0,1,1] neg_lo:[1,0,0]
	v_xor_b32_e32 v14, 0x80000000, v21
	s_wait_loadcnt 0x6
	v_dual_mov_b32 v15, v20 :: v_dual_mov_b32 v18, v37
	v_pk_fma_f32 v[0:1], v[16:17], v[24:25], v[0:1] op_sel_hi:[1,0,1]
	v_mov_b32_e32 v16, v25
	v_pk_fma_f32 v[8:9], v[20:21], v[24:25], v[8:9] op_sel_hi:[1,0,1]
	s_delay_alu instid0(VALU_DEP_1)
	v_pk_fma_f32 v[8:9], v[14:15], v[16:17], v[8:9] op_sel_hi:[1,0,1]
	v_mov_b32_e32 v15, v28
	v_pk_fma_f32 v[0:1], v[62:63], v[16:17], v[0:1] op_sel_hi:[1,0,1]
	v_xor_b32_e32 v14, 0x80000000, v29
	v_xor_b32_e32 v16, 0x80000000, v33
	v_pk_fma_f32 v[8:9], v[30:31], v[34:35], v[8:9] op_sel_hi:[1,0,1]
	v_mov_b32_e32 v17, v32
	v_pk_fma_f32 v[0:1], v[26:27], v[34:35], v[0:1] op_sel_hi:[1,0,1]
	s_delay_alu instid0(VALU_DEP_3) | instskip(NEXT) | instid1(VALU_DEP_2)
	v_pk_fma_f32 v[8:9], v[30:31], v[34:35], v[8:9] op_sel:[1,1,0] op_sel_hi:[0,1,1] neg_lo:[1,0,0]
	v_pk_fma_f32 v[0:1], v[26:27], v[34:35], v[0:1] op_sel:[1,1,0] op_sel_hi:[0,1,1] neg_lo:[1,0,0]
	s_delay_alu instid0(VALU_DEP_2) | instskip(NEXT) | instid1(VALU_DEP_2)
	v_pk_fma_f32 v[8:9], v[32:33], v[36:37], v[8:9] op_sel_hi:[1,0,1]
	v_pk_fma_f32 v[0:1], v[28:29], v[36:37], v[0:1] op_sel_hi:[1,0,1]
	s_delay_alu instid0(VALU_DEP_2) | instskip(SKIP_2) | instid1(VALU_DEP_3)
	v_pk_fma_f32 v[8:9], v[16:17], v[18:19], v[8:9] op_sel_hi:[1,0,1]
	s_wait_loadcnt 0x4
	v_xor_b32_e32 v16, 0x80000000, v45
	v_pk_fma_f32 v[0:1], v[14:15], v[18:19], v[0:1] op_sel_hi:[1,0,1]
	v_xor_b32_e32 v14, 0x80000000, v41
	v_dual_mov_b32 v15, v40 :: v_dual_mov_b32 v17, v44
	s_wait_loadcnt 0x3
	v_pk_fma_f32 v[8:9], v[42:43], v[46:47], v[8:9] op_sel_hi:[1,0,1]
	v_pk_fma_f32 v[0:1], v[38:39], v[46:47], v[0:1] op_sel_hi:[1,0,1]
	v_mov_b32_e32 v18, v49
	s_delay_alu instid0(VALU_DEP_3) | instskip(NEXT) | instid1(VALU_DEP_3)
	v_pk_fma_f32 v[8:9], v[42:43], v[46:47], v[8:9] op_sel:[1,1,0] op_sel_hi:[0,1,1] neg_lo:[1,0,0]
	v_pk_fma_f32 v[0:1], v[38:39], v[46:47], v[0:1] op_sel:[1,1,0] op_sel_hi:[0,1,1] neg_lo:[1,0,0]
	s_delay_alu instid0(VALU_DEP_2) | instskip(NEXT) | instid1(VALU_DEP_2)
	v_pk_fma_f32 v[8:9], v[44:45], v[48:49], v[8:9] op_sel_hi:[1,0,1]
	v_pk_fma_f32 v[0:1], v[40:41], v[48:49], v[0:1] op_sel_hi:[1,0,1]
	s_delay_alu instid0(VALU_DEP_2) | instskip(NEXT) | instid1(VALU_DEP_2)
	v_pk_fma_f32 v[8:9], v[16:17], v[18:19], v[8:9] op_sel_hi:[1,0,1]
	v_pk_fma_f32 v[0:1], v[14:15], v[18:19], v[0:1] op_sel_hi:[1,0,1]
	s_wait_loadcnt 0x2
	v_xor_b32_e32 v14, 0x80000000, v53
	s_wait_loadcnt 0x1
	v_dual_mov_b32 v15, v52 :: v_dual_mov_b32 v17, v56
	s_wait_loadcnt 0x0
	v_pk_fma_f32 v[8:9], v[54:55], v[58:59], v[8:9] op_sel_hi:[1,0,1]
	v_pk_fma_f32 v[0:1], v[50:51], v[58:59], v[0:1] op_sel_hi:[1,0,1]
	v_xor_b32_e32 v16, 0x80000000, v57
	v_mov_b32_e32 v18, v61
	s_delay_alu instid0(VALU_DEP_4) | instskip(NEXT) | instid1(VALU_DEP_4)
	v_pk_fma_f32 v[8:9], v[54:55], v[58:59], v[8:9] op_sel:[1,1,0] op_sel_hi:[0,1,1] neg_lo:[1,0,0]
	v_pk_fma_f32 v[0:1], v[50:51], v[58:59], v[0:1] op_sel:[1,1,0] op_sel_hi:[0,1,1] neg_lo:[1,0,0]
	s_delay_alu instid0(VALU_DEP_2) | instskip(NEXT) | instid1(VALU_DEP_2)
	v_pk_fma_f32 v[8:9], v[56:57], v[60:61], v[8:9] op_sel_hi:[1,0,1]
	v_pk_fma_f32 v[0:1], v[52:53], v[60:61], v[0:1] op_sel_hi:[1,0,1]
	s_delay_alu instid0(VALU_DEP_2) | instskip(NEXT) | instid1(VALU_DEP_2)
	v_pk_fma_f32 v[8:9], v[16:17], v[18:19], v[8:9] op_sel_hi:[1,0,1]
	v_pk_fma_f32 v[0:1], v[14:15], v[18:19], v[0:1] op_sel_hi:[1,0,1]
	s_and_not1_b32 exec_lo, exec_lo, s2
	s_cbranch_execnz .LBB184_11
; %bb.12:
	s_or_b32 exec_lo, exec_lo, s2
.LBB184_13:
	s_delay_alu instid0(SALU_CYCLE_1)
	s_or_b32 exec_lo, exec_lo, s3
.LBB184_14:
	v_mbcnt_lo_u32_b32 v10, -1, 0
	s_delay_alu instid0(VALU_DEP_1) | instskip(SKIP_1) | instid1(VALU_DEP_1)
	v_xor_b32_e32 v15, 4, v10
	v_xor_b32_e32 v11, 8, v10
	v_cmp_gt_i32_e32 vcc_lo, 32, v11
	v_cndmask_b32_e32 v11, v10, v11, vcc_lo
	s_delay_alu instid0(VALU_DEP_1)
	v_lshlrev_b32_e32 v11, 2, v11
	ds_bpermute_b32 v13, v11, v1
	s_wait_dscnt 0x0
	v_add_f32_e32 v1, v1, v13
	ds_bpermute_b32 v12, v11, v0
	ds_bpermute_b32 v14, v11, v8
	;; [unrolled: 1-line block ×3, first 2 shown]
	s_wait_dscnt 0x2
	v_add_f32_e32 v0, v0, v12
	s_wait_dscnt 0x0
	v_dual_add_f32 v8, v8, v14 :: v_dual_add_f32 v9, v9, v11
	v_cmp_gt_i32_e32 vcc_lo, 32, v15
	v_cndmask_b32_e32 v15, v10, v15, vcc_lo
	s_delay_alu instid0(VALU_DEP_1)
	v_lshlrev_b32_e32 v15, 2, v15
	ds_bpermute_b32 v11, v15, v0
	ds_bpermute_b32 v12, v15, v1
	;; [unrolled: 1-line block ×4, first 2 shown]
	s_wait_dscnt 0x3
	v_dual_add_f32 v0, v0, v11 :: v_dual_bitop2_b32 v15, 2, v10 bitop3:0x14
	s_delay_alu instid0(VALU_DEP_1)
	v_cmp_gt_i32_e32 vcc_lo, 32, v15
	s_wait_dscnt 0x2
	v_add_f32_e32 v1, v1, v12
	s_wait_dscnt 0x0
	v_dual_add_f32 v9, v9, v14 :: v_dual_add_f32 v11, v8, v13
	v_cndmask_b32_e32 v15, v10, v15, vcc_lo
	s_delay_alu instid0(VALU_DEP_1)
	v_lshlrev_b32_e32 v15, 2, v15
	ds_bpermute_b32 v8, v15, v0
	ds_bpermute_b32 v12, v15, v1
	;; [unrolled: 1-line block ×4, first 2 shown]
	s_wait_dscnt 0x3
	v_dual_add_f32 v0, v0, v8 :: v_dual_bitop2_b32 v15, 1, v10 bitop3:0x14
	s_delay_alu instid0(VALU_DEP_1)
	v_cmp_gt_i32_e32 vcc_lo, 32, v15
	s_wait_dscnt 0x2
	v_dual_add_f32 v8, v1, v12 :: v_dual_cndmask_b32 v10, v10, v15, vcc_lo
	s_wait_dscnt 0x0
	v_dual_add_f32 v1, v11, v13 :: v_dual_add_f32 v9, v9, v14
	v_cmp_eq_u32_e32 vcc_lo, 15, v7
	s_delay_alu instid0(VALU_DEP_3)
	v_lshlrev_b32_e32 v15, 2, v10
	ds_bpermute_b32 v12, v15, v0
	ds_bpermute_b32 v13, v15, v8
	;; [unrolled: 1-line block ×4, first 2 shown]
	s_and_b32 exec_lo, exec_lo, vcc_lo
	s_cbranch_execz .LBB184_19
; %bb.15:
	s_load_b64 s[2:3], s[0:1], 0x38
	v_cmp_eq_f32_e32 vcc_lo, 0, v4
	s_wait_xcnt 0x0
	v_cmp_eq_f32_e64 s0, 0, v5
	s_wait_dscnt 0x3
	v_add_f32_e32 v0, v0, v12
	s_wait_dscnt 0x1
	v_dual_add_f32 v12, v8, v13 :: v_dual_add_f32 v8, v1, v10
	s_wait_dscnt 0x0
	v_add_f32_e32 v10, v9, v11
	s_and_b32 s0, vcc_lo, s0
	s_delay_alu instid0(SALU_CYCLE_1) | instskip(NEXT) | instid1(SALU_CYCLE_1)
	s_and_saveexec_b32 s1, s0
	s_xor_b32 s0, exec_lo, s1
	s_cbranch_execz .LBB184_17
; %bb.16:
	v_xor_b32_e32 v4, 0x80000000, v3
	v_dual_mov_b32 v5, v2 :: v_dual_lshlrev_b32 v6, 1, v6
	s_delay_alu instid0(VALU_DEP_1) | instskip(NEXT) | instid1(VALU_DEP_2)
	v_ashrrev_i32_e32 v7, 31, v6
	v_pk_mul_f32 v[12:13], v[12:13], v[4:5] op_sel_hi:[0,1]
	v_pk_mul_f32 v[4:5], v[10:11], v[4:5] op_sel_hi:[0,1]
                                        ; implicit-def: $vgpr10
	s_wait_kmcnt 0x0
	s_delay_alu instid0(VALU_DEP_3) | instskip(NEXT) | instid1(VALU_DEP_3)
	v_lshl_add_u64 v[6:7], v[6:7], 3, s[2:3]
	v_pk_fma_f32 v[0:1], v[2:3], v[0:1], v[12:13] op_sel_hi:[1,0,1]
	s_delay_alu instid0(VALU_DEP_3)
	v_pk_fma_f32 v[2:3], v[2:3], v[8:9], v[4:5] op_sel_hi:[1,0,1]
                                        ; implicit-def: $vgpr4_vgpr5
                                        ; implicit-def: $vgpr12
                                        ; implicit-def: $vgpr8
	global_store_b128 v[6:7], v[0:3], off
                                        ; implicit-def: $vgpr6
                                        ; implicit-def: $vgpr2_vgpr3
                                        ; implicit-def: $vgpr0
.LBB184_17:
	s_wait_xcnt 0x0
	s_and_not1_saveexec_b32 s0, s0
	s_cbranch_execz .LBB184_19
; %bb.18:
	v_dual_mov_b32 v19, v2 :: v_dual_lshlrev_b32 v6, 1, v6
	v_xor_b32_e32 v18, 0x80000000, v3
	s_delay_alu instid0(VALU_DEP_2) | instskip(NEXT) | instid1(VALU_DEP_2)
	v_ashrrev_i32_e32 v7, 31, v6
	v_pk_mul_f32 v[12:13], v[12:13], v[18:19] op_sel_hi:[0,1]
	v_pk_mul_f32 v[10:11], v[10:11], v[18:19] op_sel_hi:[0,1]
	s_delay_alu instid0(VALU_DEP_2) | instskip(NEXT) | instid1(VALU_DEP_2)
	v_pk_fma_f32 v[0:1], v[2:3], v[0:1], v[12:13] op_sel_hi:[1,0,1]
	v_pk_fma_f32 v[2:3], v[2:3], v[8:9], v[10:11] op_sel_hi:[1,0,1]
	v_mov_b32_e32 v9, v4
	s_wait_kmcnt 0x0
	v_lshl_add_u64 v[6:7], v[6:7], 3, s[2:3]
	v_xor_b32_e32 v8, 0x80000000, v5
	global_load_b128 v[14:17], v[6:7], off
	s_wait_loadcnt 0x0
	v_pk_fma_f32 v[0:1], v[4:5], v[14:15], v[0:1] op_sel_hi:[1,0,1]
	v_pk_fma_f32 v[2:3], v[4:5], v[16:17], v[2:3] op_sel_hi:[1,0,1]
	v_mov_b32_e32 v4, v17
	s_delay_alu instid0(VALU_DEP_3) | instskip(NEXT) | instid1(VALU_DEP_2)
	v_pk_fma_f32 v[0:1], v[8:9], v[14:15], v[0:1] op_sel:[0,1,0]
	v_pk_fma_f32 v[2:3], v[8:9], v[4:5], v[2:3] op_sel_hi:[1,0,1]
	global_store_b128 v[6:7], v[0:3], off
.LBB184_19:
	s_sendmsg sendmsg(MSG_DEALLOC_VGPRS)
	s_endpgm
	.section	.rodata,"a",@progbits
	.p2align	6, 0x0
	.amdhsa_kernel _ZN9rocsparseL19gebsrmvn_2xn_kernelILj128ELj8ELj16E21rocsparse_complex_numIfEEEvi20rocsparse_direction_NS_24const_host_device_scalarIT2_EEPKiS8_PKS5_SA_S6_PS5_21rocsparse_index_base_b
		.amdhsa_group_segment_fixed_size 0
		.amdhsa_private_segment_fixed_size 0
		.amdhsa_kernarg_size 72
		.amdhsa_user_sgpr_count 2
		.amdhsa_user_sgpr_dispatch_ptr 0
		.amdhsa_user_sgpr_queue_ptr 0
		.amdhsa_user_sgpr_kernarg_segment_ptr 1
		.amdhsa_user_sgpr_dispatch_id 0
		.amdhsa_user_sgpr_kernarg_preload_length 0
		.amdhsa_user_sgpr_kernarg_preload_offset 0
		.amdhsa_user_sgpr_private_segment_size 0
		.amdhsa_wavefront_size32 1
		.amdhsa_uses_dynamic_stack 0
		.amdhsa_enable_private_segment 0
		.amdhsa_system_sgpr_workgroup_id_x 1
		.amdhsa_system_sgpr_workgroup_id_y 0
		.amdhsa_system_sgpr_workgroup_id_z 0
		.amdhsa_system_sgpr_workgroup_info 0
		.amdhsa_system_vgpr_workitem_id 0
		.amdhsa_next_free_vgpr 68
		.amdhsa_next_free_sgpr 14
		.amdhsa_named_barrier_count 0
		.amdhsa_reserve_vcc 1
		.amdhsa_float_round_mode_32 0
		.amdhsa_float_round_mode_16_64 0
		.amdhsa_float_denorm_mode_32 3
		.amdhsa_float_denorm_mode_16_64 3
		.amdhsa_fp16_overflow 0
		.amdhsa_memory_ordered 1
		.amdhsa_forward_progress 1
		.amdhsa_inst_pref_size 20
		.amdhsa_round_robin_scheduling 0
		.amdhsa_exception_fp_ieee_invalid_op 0
		.amdhsa_exception_fp_denorm_src 0
		.amdhsa_exception_fp_ieee_div_zero 0
		.amdhsa_exception_fp_ieee_overflow 0
		.amdhsa_exception_fp_ieee_underflow 0
		.amdhsa_exception_fp_ieee_inexact 0
		.amdhsa_exception_int_div_zero 0
	.end_amdhsa_kernel
	.section	.text._ZN9rocsparseL19gebsrmvn_2xn_kernelILj128ELj8ELj16E21rocsparse_complex_numIfEEEvi20rocsparse_direction_NS_24const_host_device_scalarIT2_EEPKiS8_PKS5_SA_S6_PS5_21rocsparse_index_base_b,"axG",@progbits,_ZN9rocsparseL19gebsrmvn_2xn_kernelILj128ELj8ELj16E21rocsparse_complex_numIfEEEvi20rocsparse_direction_NS_24const_host_device_scalarIT2_EEPKiS8_PKS5_SA_S6_PS5_21rocsparse_index_base_b,comdat
.Lfunc_end184:
	.size	_ZN9rocsparseL19gebsrmvn_2xn_kernelILj128ELj8ELj16E21rocsparse_complex_numIfEEEvi20rocsparse_direction_NS_24const_host_device_scalarIT2_EEPKiS8_PKS5_SA_S6_PS5_21rocsparse_index_base_b, .Lfunc_end184-_ZN9rocsparseL19gebsrmvn_2xn_kernelILj128ELj8ELj16E21rocsparse_complex_numIfEEEvi20rocsparse_direction_NS_24const_host_device_scalarIT2_EEPKiS8_PKS5_SA_S6_PS5_21rocsparse_index_base_b
                                        ; -- End function
	.set _ZN9rocsparseL19gebsrmvn_2xn_kernelILj128ELj8ELj16E21rocsparse_complex_numIfEEEvi20rocsparse_direction_NS_24const_host_device_scalarIT2_EEPKiS8_PKS5_SA_S6_PS5_21rocsparse_index_base_b.num_vgpr, 68
	.set _ZN9rocsparseL19gebsrmvn_2xn_kernelILj128ELj8ELj16E21rocsparse_complex_numIfEEEvi20rocsparse_direction_NS_24const_host_device_scalarIT2_EEPKiS8_PKS5_SA_S6_PS5_21rocsparse_index_base_b.num_agpr, 0
	.set _ZN9rocsparseL19gebsrmvn_2xn_kernelILj128ELj8ELj16E21rocsparse_complex_numIfEEEvi20rocsparse_direction_NS_24const_host_device_scalarIT2_EEPKiS8_PKS5_SA_S6_PS5_21rocsparse_index_base_b.numbered_sgpr, 14
	.set _ZN9rocsparseL19gebsrmvn_2xn_kernelILj128ELj8ELj16E21rocsparse_complex_numIfEEEvi20rocsparse_direction_NS_24const_host_device_scalarIT2_EEPKiS8_PKS5_SA_S6_PS5_21rocsparse_index_base_b.num_named_barrier, 0
	.set _ZN9rocsparseL19gebsrmvn_2xn_kernelILj128ELj8ELj16E21rocsparse_complex_numIfEEEvi20rocsparse_direction_NS_24const_host_device_scalarIT2_EEPKiS8_PKS5_SA_S6_PS5_21rocsparse_index_base_b.private_seg_size, 0
	.set _ZN9rocsparseL19gebsrmvn_2xn_kernelILj128ELj8ELj16E21rocsparse_complex_numIfEEEvi20rocsparse_direction_NS_24const_host_device_scalarIT2_EEPKiS8_PKS5_SA_S6_PS5_21rocsparse_index_base_b.uses_vcc, 1
	.set _ZN9rocsparseL19gebsrmvn_2xn_kernelILj128ELj8ELj16E21rocsparse_complex_numIfEEEvi20rocsparse_direction_NS_24const_host_device_scalarIT2_EEPKiS8_PKS5_SA_S6_PS5_21rocsparse_index_base_b.uses_flat_scratch, 1
	.set _ZN9rocsparseL19gebsrmvn_2xn_kernelILj128ELj8ELj16E21rocsparse_complex_numIfEEEvi20rocsparse_direction_NS_24const_host_device_scalarIT2_EEPKiS8_PKS5_SA_S6_PS5_21rocsparse_index_base_b.has_dyn_sized_stack, 0
	.set _ZN9rocsparseL19gebsrmvn_2xn_kernelILj128ELj8ELj16E21rocsparse_complex_numIfEEEvi20rocsparse_direction_NS_24const_host_device_scalarIT2_EEPKiS8_PKS5_SA_S6_PS5_21rocsparse_index_base_b.has_recursion, 0
	.set _ZN9rocsparseL19gebsrmvn_2xn_kernelILj128ELj8ELj16E21rocsparse_complex_numIfEEEvi20rocsparse_direction_NS_24const_host_device_scalarIT2_EEPKiS8_PKS5_SA_S6_PS5_21rocsparse_index_base_b.has_indirect_call, 0
	.section	.AMDGPU.csdata,"",@progbits
; Kernel info:
; codeLenInByte = 2560
; TotalNumSgprs: 16
; NumVgprs: 68
; ScratchSize: 0
; MemoryBound: 0
; FloatMode: 240
; IeeeMode: 1
; LDSByteSize: 0 bytes/workgroup (compile time only)
; SGPRBlocks: 0
; VGPRBlocks: 4
; NumSGPRsForWavesPerEU: 16
; NumVGPRsForWavesPerEU: 68
; NamedBarCnt: 0
; Occupancy: 12
; WaveLimiterHint : 1
; COMPUTE_PGM_RSRC2:SCRATCH_EN: 0
; COMPUTE_PGM_RSRC2:USER_SGPR: 2
; COMPUTE_PGM_RSRC2:TRAP_HANDLER: 0
; COMPUTE_PGM_RSRC2:TGID_X_EN: 1
; COMPUTE_PGM_RSRC2:TGID_Y_EN: 0
; COMPUTE_PGM_RSRC2:TGID_Z_EN: 0
; COMPUTE_PGM_RSRC2:TIDIG_COMP_CNT: 0
	.section	.text._ZN9rocsparseL19gebsrmvn_2xn_kernelILj128ELj8ELj32E21rocsparse_complex_numIfEEEvi20rocsparse_direction_NS_24const_host_device_scalarIT2_EEPKiS8_PKS5_SA_S6_PS5_21rocsparse_index_base_b,"axG",@progbits,_ZN9rocsparseL19gebsrmvn_2xn_kernelILj128ELj8ELj32E21rocsparse_complex_numIfEEEvi20rocsparse_direction_NS_24const_host_device_scalarIT2_EEPKiS8_PKS5_SA_S6_PS5_21rocsparse_index_base_b,comdat
	.globl	_ZN9rocsparseL19gebsrmvn_2xn_kernelILj128ELj8ELj32E21rocsparse_complex_numIfEEEvi20rocsparse_direction_NS_24const_host_device_scalarIT2_EEPKiS8_PKS5_SA_S6_PS5_21rocsparse_index_base_b ; -- Begin function _ZN9rocsparseL19gebsrmvn_2xn_kernelILj128ELj8ELj32E21rocsparse_complex_numIfEEEvi20rocsparse_direction_NS_24const_host_device_scalarIT2_EEPKiS8_PKS5_SA_S6_PS5_21rocsparse_index_base_b
	.p2align	8
	.type	_ZN9rocsparseL19gebsrmvn_2xn_kernelILj128ELj8ELj32E21rocsparse_complex_numIfEEEvi20rocsparse_direction_NS_24const_host_device_scalarIT2_EEPKiS8_PKS5_SA_S6_PS5_21rocsparse_index_base_b,@function
_ZN9rocsparseL19gebsrmvn_2xn_kernelILj128ELj8ELj32E21rocsparse_complex_numIfEEEvi20rocsparse_direction_NS_24const_host_device_scalarIT2_EEPKiS8_PKS5_SA_S6_PS5_21rocsparse_index_base_b: ; @_ZN9rocsparseL19gebsrmvn_2xn_kernelILj128ELj8ELj32E21rocsparse_complex_numIfEEEvi20rocsparse_direction_NS_24const_host_device_scalarIT2_EEPKiS8_PKS5_SA_S6_PS5_21rocsparse_index_base_b
; %bb.0:
	s_clause 0x2
	s_load_b64 s[12:13], s[0:1], 0x40
	s_load_b64 s[2:3], s[0:1], 0x8
	;; [unrolled: 1-line block ×3, first 2 shown]
	v_mov_b32_e32 v1, 0
	s_add_nc_u64 s[6:7], s[0:1], 8
	s_add_nc_u64 s[8:9], s[0:1], 48
	s_wait_kmcnt 0x0
	s_bitcmp1_b32 s13, 0
	s_cselect_b32 s3, s7, s3
	s_cselect_b32 s2, s6, s2
	;; [unrolled: 1-line block ×4, first 2 shown]
	s_clause 0x1
	flat_load_b64 v[2:3], v1, s[2:3]
	flat_load_b64 v[4:5], v1, s[4:5]
	s_wait_loadcnt_dscnt 0x101
	v_cmp_eq_f32_e32 vcc_lo, 0, v2
	v_cmp_eq_f32_e64 s2, 0, v3
	s_wait_loadcnt_dscnt 0x0
	v_cmp_eq_f32_e64 s3, 1.0, v4
	v_cmp_eq_f32_e64 s4, 0, v5
	s_and_b32 s2, vcc_lo, s2
	s_and_b32 s3, s3, s4
	s_delay_alu instid0(SALU_CYCLE_1) | instskip(NEXT) | instid1(SALU_CYCLE_1)
	s_and_b32 s2, s2, s3
	s_xor_b32 s2, s2, -1
	s_delay_alu instid0(SALU_CYCLE_1)
	s_and_saveexec_b32 s3, s2
	s_cbranch_execz .LBB185_19
; %bb.1:
	s_load_b64 s[2:3], s[0:1], 0x0
	s_bfe_u32 s4, ttmp6, 0x4000c
	s_and_b32 s5, ttmp6, 15
	s_add_co_i32 s4, s4, 1
	s_getreg_b32 s6, hwreg(HW_REG_IB_STS2, 6, 4)
	s_mul_i32 s4, ttmp9, s4
	v_lshrrev_b32_e32 v1, 5, v0
	s_add_co_i32 s5, s5, s4
	s_cmp_eq_u32 s6, 0
	s_cselect_b32 s4, ttmp9, s5
	s_delay_alu instid0(VALU_DEP_1) | instid1(SALU_CYCLE_1)
	v_lshl_or_b32 v6, s4, 2, v1
	s_wait_kmcnt 0x0
	s_delay_alu instid0(VALU_DEP_1)
	v_cmp_gt_i32_e32 vcc_lo, s2, v6
	s_and_b32 exec_lo, exec_lo, vcc_lo
	s_cbranch_execz .LBB185_19
; %bb.2:
	s_load_b256 s[4:11], s[0:1], 0x10
	v_ashrrev_i32_e32 v7, 31, v6
	s_cmp_lg_u32 s3, 0
	s_wait_kmcnt 0x0
	s_delay_alu instid0(VALU_DEP_1)
	v_lshl_add_u64 v[8:9], v[6:7], 2, s[4:5]
	v_and_b32_e32 v7, 31, v0
	global_load_b64 v[8:9], v[8:9], off
	s_wait_loadcnt 0x0
	v_subrev_nc_u32_e32 v0, s12, v8
	v_subrev_nc_u32_e32 v12, s12, v9
	s_delay_alu instid0(VALU_DEP_2) | instskip(NEXT) | instid1(VALU_DEP_1)
	v_add_nc_u32_e32 v13, v0, v7
	v_cmp_lt_i32_e64 s2, v13, v12
	s_cbranch_scc0 .LBB185_8
; %bb.3:
	v_mov_b32_e32 v1, 0
	s_delay_alu instid0(VALU_DEP_1)
	v_dual_mov_b32 v0, v1 :: v_dual_mov_b32 v9, v1
	v_mov_b32_e32 v8, v1
	s_and_saveexec_b32 s3, s2
	s_cbranch_execz .LBB185_7
; %bb.4:
	v_dual_mov_b32 v11, 0 :: v_dual_lshlrev_b32 v10, 4, v13
	v_mov_b32_e32 v14, v13
	s_mov_b32 s4, 0
	s_delay_alu instid0(VALU_DEP_2)
	v_dual_mov_b32 v8, v11 :: v_dual_mov_b32 v9, v11
	v_dual_mov_b32 v0, v11 :: v_dual_mov_b32 v1, v11
.LBB185_5:                              ; =>This Inner Loop Header: Depth=1
	global_load_b32 v15, v14, s[6:7] scale_offset
	v_lshl_add_u64 v[64:65], v[10:11], 3, s[8:9]
	s_wait_xcnt 0x0
	v_add_nc_u32_e32 v14, 32, v14
	v_add_nc_u32_e32 v10, 0x200, v10
	s_delay_alu instid0(VALU_DEP_2) | instskip(SKIP_3) | instid1(VALU_DEP_1)
	v_cmp_ge_i32_e32 vcc_lo, v14, v12
	s_or_b32 s4, vcc_lo, s4
	s_wait_loadcnt 0x0
	v_subrev_nc_u32_e32 v15, s12, v15
	v_dual_mov_b32 v17, v11 :: v_dual_lshlrev_b32 v16, 3, v15
	s_delay_alu instid0(VALU_DEP_1)
	v_lshl_add_u64 v[66:67], v[16:17], 3, s[10:11]
	global_load_b128 v[16:19], v[64:65], off
	global_load_b128 v[20:23], v[66:67], off
	s_clause 0x1
	global_load_b128 v[24:27], v[64:65], off offset:16
	global_load_b128 v[28:31], v[64:65], off offset:32
	global_load_b128 v[32:35], v[66:67], off offset:16
	s_clause 0x1
	global_load_b128 v[36:39], v[64:65], off offset:48
	global_load_b128 v[40:43], v[64:65], off offset:64
	global_load_b128 v[44:47], v[66:67], off offset:32
	;; [unrolled: 4-line block ×3, first 2 shown]
	global_load_b128 v[60:63], v[64:65], off offset:112
	s_wait_loadcnt 0xb
	s_wait_xcnt 0x0
	v_xor_b32_e32 v64, 0x80000000, v19
	v_mov_b32_e32 v65, v18
	s_wait_loadcnt 0xa
	v_pk_fma_f32 v[0:1], v[16:17], v[20:21], v[0:1] op_sel_hi:[1,0,1]
	v_pk_fma_f32 v[8:9], v[18:19], v[20:21], v[8:9] op_sel_hi:[1,0,1]
	v_mov_b32_e32 v18, v23
	s_delay_alu instid0(VALU_DEP_3)
	v_pk_fma_f32 v[0:1], v[16:17], v[20:21], v[0:1] op_sel:[1,1,0] op_sel_hi:[0,1,1] neg_lo:[1,0,0]
	s_wait_loadcnt 0x9
	v_mov_b32_e32 v17, v26
	v_pk_fma_f32 v[8:9], v[64:65], v[20:21], v[8:9] op_sel:[0,1,0]
	v_xor_b32_e32 v16, 0x80000000, v27
	v_pk_fma_f32 v[0:1], v[24:25], v[22:23], v[0:1] op_sel_hi:[1,0,1]
	s_delay_alu instid0(VALU_DEP_3) | instskip(NEXT) | instid1(VALU_DEP_1)
	v_pk_fma_f32 v[8:9], v[26:27], v[22:23], v[8:9] op_sel_hi:[1,0,1]
	v_pk_fma_f32 v[8:9], v[16:17], v[18:19], v[8:9] op_sel_hi:[1,0,1]
	s_wait_loadcnt 0x8
	v_mov_b32_e32 v17, v30
	v_pk_fma_f32 v[0:1], v[24:25], v[18:19], v[0:1] op_sel:[1,0,0] op_sel_hi:[0,0,1] neg_lo:[1,0,0]
	v_xor_b32_e32 v16, 0x80000000, v31
	s_wait_loadcnt 0x7
	v_mov_b32_e32 v18, v35
	v_pk_fma_f32 v[8:9], v[30:31], v[32:33], v[8:9] op_sel_hi:[1,0,1]
	v_pk_fma_f32 v[0:1], v[28:29], v[32:33], v[0:1] op_sel_hi:[1,0,1]
	s_delay_alu instid0(VALU_DEP_2) | instskip(SKIP_2) | instid1(VALU_DEP_3)
	v_pk_fma_f32 v[8:9], v[16:17], v[32:33], v[8:9] op_sel:[0,1,0]
	s_wait_loadcnt 0x6
	v_xor_b32_e32 v16, 0x80000000, v39
	v_pk_fma_f32 v[0:1], v[28:29], v[32:33], v[0:1] op_sel:[1,1,0] op_sel_hi:[0,1,1] neg_lo:[1,0,0]
	v_mov_b32_e32 v17, v38
	v_pk_fma_f32 v[8:9], v[38:39], v[34:35], v[8:9] op_sel_hi:[1,0,1]
	s_delay_alu instid0(VALU_DEP_3) | instskip(NEXT) | instid1(VALU_DEP_2)
	v_pk_fma_f32 v[0:1], v[36:37], v[34:35], v[0:1] op_sel_hi:[1,0,1]
	v_pk_fma_f32 v[8:9], v[16:17], v[18:19], v[8:9] op_sel_hi:[1,0,1]
	s_wait_loadcnt 0x5
	v_xor_b32_e32 v16, 0x80000000, v43
	s_delay_alu instid0(VALU_DEP_3) | instskip(SKIP_3) | instid1(VALU_DEP_3)
	v_pk_fma_f32 v[0:1], v[36:37], v[18:19], v[0:1] op_sel:[1,0,0] op_sel_hi:[0,0,1] neg_lo:[1,0,0]
	s_wait_loadcnt 0x4
	v_dual_mov_b32 v17, v42 :: v_dual_mov_b32 v18, v47
	v_pk_fma_f32 v[8:9], v[42:43], v[44:45], v[8:9] op_sel_hi:[1,0,1]
	v_pk_fma_f32 v[0:1], v[40:41], v[44:45], v[0:1] op_sel_hi:[1,0,1]
	s_delay_alu instid0(VALU_DEP_2) | instskip(SKIP_2) | instid1(VALU_DEP_3)
	v_pk_fma_f32 v[8:9], v[16:17], v[44:45], v[8:9] op_sel:[0,1,0]
	s_wait_loadcnt 0x3
	v_xor_b32_e32 v16, 0x80000000, v51
	v_pk_fma_f32 v[0:1], v[40:41], v[44:45], v[0:1] op_sel:[1,1,0] op_sel_hi:[0,1,1] neg_lo:[1,0,0]
	v_mov_b32_e32 v17, v50
	v_pk_fma_f32 v[8:9], v[50:51], v[46:47], v[8:9] op_sel_hi:[1,0,1]
	s_delay_alu instid0(VALU_DEP_3) | instskip(NEXT) | instid1(VALU_DEP_2)
	v_pk_fma_f32 v[0:1], v[48:49], v[46:47], v[0:1] op_sel_hi:[1,0,1]
	v_pk_fma_f32 v[8:9], v[16:17], v[18:19], v[8:9] op_sel_hi:[1,0,1]
	s_wait_loadcnt 0x2
	v_xor_b32_e32 v16, 0x80000000, v55
	s_delay_alu instid0(VALU_DEP_3) | instskip(SKIP_3) | instid1(VALU_DEP_3)
	v_pk_fma_f32 v[0:1], v[48:49], v[18:19], v[0:1] op_sel:[1,0,0] op_sel_hi:[0,0,1] neg_lo:[1,0,0]
	s_wait_loadcnt 0x1
	v_dual_mov_b32 v17, v54 :: v_dual_mov_b32 v18, v59
	v_pk_fma_f32 v[8:9], v[54:55], v[56:57], v[8:9] op_sel_hi:[1,0,1]
	v_pk_fma_f32 v[0:1], v[52:53], v[56:57], v[0:1] op_sel_hi:[1,0,1]
	s_delay_alu instid0(VALU_DEP_2) | instskip(SKIP_2) | instid1(VALU_DEP_3)
	v_pk_fma_f32 v[8:9], v[16:17], v[56:57], v[8:9] op_sel:[0,1,0]
	s_wait_loadcnt 0x0
	v_xor_b32_e32 v16, 0x80000000, v63
	v_pk_fma_f32 v[0:1], v[52:53], v[56:57], v[0:1] op_sel:[1,1,0] op_sel_hi:[0,1,1] neg_lo:[1,0,0]
	v_mov_b32_e32 v17, v62
	v_pk_fma_f32 v[8:9], v[62:63], v[58:59], v[8:9] op_sel_hi:[1,0,1]
	s_delay_alu instid0(VALU_DEP_3) | instskip(NEXT) | instid1(VALU_DEP_2)
	v_pk_fma_f32 v[0:1], v[60:61], v[58:59], v[0:1] op_sel_hi:[1,0,1]
	v_pk_fma_f32 v[8:9], v[16:17], v[18:19], v[8:9] op_sel_hi:[1,0,1]
	s_delay_alu instid0(VALU_DEP_2)
	v_pk_fma_f32 v[0:1], v[60:61], v[18:19], v[0:1] op_sel:[1,0,0] op_sel_hi:[0,0,1] neg_lo:[1,0,0]
	s_and_not1_b32 exec_lo, exec_lo, s4
	s_cbranch_execnz .LBB185_5
; %bb.6:
	s_or_b32 exec_lo, exec_lo, s4
.LBB185_7:
	s_delay_alu instid0(SALU_CYCLE_1)
	s_or_b32 exec_lo, exec_lo, s3
	s_cbranch_execz .LBB185_9
	s_branch .LBB185_14
.LBB185_8:
                                        ; implicit-def: $vgpr1
                                        ; implicit-def: $vgpr9
.LBB185_9:
	v_mov_b32_e32 v1, 0
	s_delay_alu instid0(VALU_DEP_1)
	v_dual_mov_b32 v0, v1 :: v_dual_mov_b32 v9, v1
	v_mov_b32_e32 v8, v1
	s_and_saveexec_b32 s3, s2
	s_cbranch_execz .LBB185_13
; %bb.10:
	v_dual_mov_b32 v11, 0 :: v_dual_lshlrev_b32 v10, 4, v13
	s_mov_b32 s2, 0
	s_delay_alu instid0(VALU_DEP_1)
	v_dual_mov_b32 v8, v11 :: v_dual_mov_b32 v9, v11
	v_dual_mov_b32 v0, v11 :: v_dual_mov_b32 v1, v11
.LBB185_11:                             ; =>This Inner Loop Header: Depth=1
	global_load_b32 v14, v13, s[6:7] scale_offset
	v_lshl_add_u64 v[62:63], v[10:11], 3, s[8:9]
	v_add_nc_u32_e32 v10, 0x200, v10
	s_wait_xcnt 0x0
	v_add_nc_u32_e32 v13, 32, v13
	s_delay_alu instid0(VALU_DEP_1) | instskip(SKIP_3) | instid1(VALU_DEP_1)
	v_cmp_ge_i32_e32 vcc_lo, v13, v12
	s_or_b32 s2, vcc_lo, s2
	s_wait_loadcnt 0x0
	v_subrev_nc_u32_e32 v14, s12, v14
	v_dual_mov_b32 v15, v11 :: v_dual_lshlrev_b32 v14, 3, v14
	s_delay_alu instid0(VALU_DEP_1)
	v_lshl_add_u64 v[64:65], v[14:15], 3, s[10:11]
	s_clause 0x1
	global_load_b128 v[14:17], v[62:63], off
	global_load_b128 v[18:21], v[62:63], off offset:64
	global_load_b128 v[22:25], v[64:65], off
	s_clause 0x1
	global_load_b128 v[26:29], v[62:63], off offset:16
	global_load_b128 v[30:33], v[62:63], off offset:80
	global_load_b128 v[34:37], v[64:65], off offset:16
	s_clause 0x1
	global_load_b128 v[38:41], v[62:63], off offset:32
	global_load_b128 v[42:45], v[62:63], off offset:96
	global_load_b128 v[46:49], v[64:65], off offset:32
	;; [unrolled: 4-line block ×3, first 2 shown]
	s_wait_loadcnt 0xb
	s_wait_xcnt 0x1
	v_xor_b32_e32 v62, 0x80000000, v17
	v_mov_b32_e32 v63, v16
	s_wait_loadcnt 0x9
	v_pk_fma_f32 v[0:1], v[14:15], v[22:23], v[0:1] op_sel_hi:[1,0,1]
	v_pk_fma_f32 v[8:9], v[18:19], v[22:23], v[8:9] op_sel_hi:[1,0,1]
	s_delay_alu instid0(VALU_DEP_2) | instskip(NEXT) | instid1(VALU_DEP_2)
	v_pk_fma_f32 v[0:1], v[14:15], v[22:23], v[0:1] op_sel:[1,1,0] op_sel_hi:[0,1,1] neg_lo:[1,0,0]
	v_pk_fma_f32 v[8:9], v[18:19], v[22:23], v[8:9] op_sel:[1,1,0] op_sel_hi:[0,1,1] neg_lo:[1,0,0]
	v_xor_b32_e32 v14, 0x80000000, v21
	s_wait_loadcnt 0x6
	v_dual_mov_b32 v15, v20 :: v_dual_mov_b32 v18, v37
	v_pk_fma_f32 v[0:1], v[16:17], v[24:25], v[0:1] op_sel_hi:[1,0,1]
	v_mov_b32_e32 v16, v25
	v_pk_fma_f32 v[8:9], v[20:21], v[24:25], v[8:9] op_sel_hi:[1,0,1]
	s_delay_alu instid0(VALU_DEP_1)
	v_pk_fma_f32 v[8:9], v[14:15], v[16:17], v[8:9] op_sel_hi:[1,0,1]
	v_mov_b32_e32 v15, v28
	v_pk_fma_f32 v[0:1], v[62:63], v[16:17], v[0:1] op_sel_hi:[1,0,1]
	v_xor_b32_e32 v14, 0x80000000, v29
	v_xor_b32_e32 v16, 0x80000000, v33
	v_pk_fma_f32 v[8:9], v[30:31], v[34:35], v[8:9] op_sel_hi:[1,0,1]
	v_mov_b32_e32 v17, v32
	v_pk_fma_f32 v[0:1], v[26:27], v[34:35], v[0:1] op_sel_hi:[1,0,1]
	s_delay_alu instid0(VALU_DEP_3) | instskip(NEXT) | instid1(VALU_DEP_2)
	v_pk_fma_f32 v[8:9], v[30:31], v[34:35], v[8:9] op_sel:[1,1,0] op_sel_hi:[0,1,1] neg_lo:[1,0,0]
	v_pk_fma_f32 v[0:1], v[26:27], v[34:35], v[0:1] op_sel:[1,1,0] op_sel_hi:[0,1,1] neg_lo:[1,0,0]
	s_delay_alu instid0(VALU_DEP_2) | instskip(NEXT) | instid1(VALU_DEP_2)
	v_pk_fma_f32 v[8:9], v[32:33], v[36:37], v[8:9] op_sel_hi:[1,0,1]
	v_pk_fma_f32 v[0:1], v[28:29], v[36:37], v[0:1] op_sel_hi:[1,0,1]
	s_delay_alu instid0(VALU_DEP_2) | instskip(SKIP_2) | instid1(VALU_DEP_3)
	v_pk_fma_f32 v[8:9], v[16:17], v[18:19], v[8:9] op_sel_hi:[1,0,1]
	s_wait_loadcnt 0x4
	v_xor_b32_e32 v16, 0x80000000, v45
	v_pk_fma_f32 v[0:1], v[14:15], v[18:19], v[0:1] op_sel_hi:[1,0,1]
	v_xor_b32_e32 v14, 0x80000000, v41
	v_dual_mov_b32 v15, v40 :: v_dual_mov_b32 v17, v44
	s_wait_loadcnt 0x3
	v_pk_fma_f32 v[8:9], v[42:43], v[46:47], v[8:9] op_sel_hi:[1,0,1]
	v_pk_fma_f32 v[0:1], v[38:39], v[46:47], v[0:1] op_sel_hi:[1,0,1]
	v_mov_b32_e32 v18, v49
	s_delay_alu instid0(VALU_DEP_3) | instskip(NEXT) | instid1(VALU_DEP_3)
	v_pk_fma_f32 v[8:9], v[42:43], v[46:47], v[8:9] op_sel:[1,1,0] op_sel_hi:[0,1,1] neg_lo:[1,0,0]
	v_pk_fma_f32 v[0:1], v[38:39], v[46:47], v[0:1] op_sel:[1,1,0] op_sel_hi:[0,1,1] neg_lo:[1,0,0]
	s_delay_alu instid0(VALU_DEP_2) | instskip(NEXT) | instid1(VALU_DEP_2)
	v_pk_fma_f32 v[8:9], v[44:45], v[48:49], v[8:9] op_sel_hi:[1,0,1]
	v_pk_fma_f32 v[0:1], v[40:41], v[48:49], v[0:1] op_sel_hi:[1,0,1]
	s_delay_alu instid0(VALU_DEP_2) | instskip(NEXT) | instid1(VALU_DEP_2)
	v_pk_fma_f32 v[8:9], v[16:17], v[18:19], v[8:9] op_sel_hi:[1,0,1]
	v_pk_fma_f32 v[0:1], v[14:15], v[18:19], v[0:1] op_sel_hi:[1,0,1]
	s_wait_loadcnt 0x2
	v_xor_b32_e32 v14, 0x80000000, v53
	s_wait_loadcnt 0x1
	v_dual_mov_b32 v15, v52 :: v_dual_mov_b32 v17, v56
	s_wait_loadcnt 0x0
	v_pk_fma_f32 v[8:9], v[54:55], v[58:59], v[8:9] op_sel_hi:[1,0,1]
	v_pk_fma_f32 v[0:1], v[50:51], v[58:59], v[0:1] op_sel_hi:[1,0,1]
	v_xor_b32_e32 v16, 0x80000000, v57
	v_mov_b32_e32 v18, v61
	s_delay_alu instid0(VALU_DEP_4) | instskip(NEXT) | instid1(VALU_DEP_4)
	v_pk_fma_f32 v[8:9], v[54:55], v[58:59], v[8:9] op_sel:[1,1,0] op_sel_hi:[0,1,1] neg_lo:[1,0,0]
	v_pk_fma_f32 v[0:1], v[50:51], v[58:59], v[0:1] op_sel:[1,1,0] op_sel_hi:[0,1,1] neg_lo:[1,0,0]
	s_delay_alu instid0(VALU_DEP_2) | instskip(NEXT) | instid1(VALU_DEP_2)
	v_pk_fma_f32 v[8:9], v[56:57], v[60:61], v[8:9] op_sel_hi:[1,0,1]
	v_pk_fma_f32 v[0:1], v[52:53], v[60:61], v[0:1] op_sel_hi:[1,0,1]
	s_delay_alu instid0(VALU_DEP_2) | instskip(NEXT) | instid1(VALU_DEP_2)
	v_pk_fma_f32 v[8:9], v[16:17], v[18:19], v[8:9] op_sel_hi:[1,0,1]
	v_pk_fma_f32 v[0:1], v[14:15], v[18:19], v[0:1] op_sel_hi:[1,0,1]
	s_and_not1_b32 exec_lo, exec_lo, s2
	s_cbranch_execnz .LBB185_11
; %bb.12:
	s_or_b32 exec_lo, exec_lo, s2
.LBB185_13:
	s_delay_alu instid0(SALU_CYCLE_1)
	s_or_b32 exec_lo, exec_lo, s3
.LBB185_14:
	v_mbcnt_lo_u32_b32 v10, -1, 0
	s_delay_alu instid0(VALU_DEP_1) | instskip(SKIP_1) | instid1(VALU_DEP_1)
	v_xor_b32_e32 v15, 8, v10
	v_xor_b32_e32 v11, 16, v10
	v_cmp_gt_i32_e32 vcc_lo, 32, v11
	v_cndmask_b32_e32 v11, v10, v11, vcc_lo
	s_delay_alu instid0(VALU_DEP_1)
	v_lshlrev_b32_e32 v11, 2, v11
	ds_bpermute_b32 v13, v11, v1
	s_wait_dscnt 0x0
	v_add_f32_e32 v1, v1, v13
	ds_bpermute_b32 v12, v11, v0
	ds_bpermute_b32 v14, v11, v8
	;; [unrolled: 1-line block ×3, first 2 shown]
	s_wait_dscnt 0x2
	v_add_f32_e32 v0, v0, v12
	s_wait_dscnt 0x0
	v_dual_add_f32 v8, v8, v14 :: v_dual_add_f32 v9, v9, v11
	v_cmp_gt_i32_e32 vcc_lo, 32, v15
	v_cndmask_b32_e32 v15, v10, v15, vcc_lo
	s_delay_alu instid0(VALU_DEP_1)
	v_lshlrev_b32_e32 v15, 2, v15
	ds_bpermute_b32 v11, v15, v0
	ds_bpermute_b32 v12, v15, v1
	;; [unrolled: 1-line block ×4, first 2 shown]
	s_wait_dscnt 0x3
	v_dual_add_f32 v0, v0, v11 :: v_dual_bitop2_b32 v15, 4, v10 bitop3:0x14
	s_delay_alu instid0(VALU_DEP_1)
	v_cmp_gt_i32_e32 vcc_lo, 32, v15
	s_wait_dscnt 0x2
	v_add_f32_e32 v1, v1, v12
	s_wait_dscnt 0x0
	v_dual_add_f32 v9, v9, v14 :: v_dual_add_f32 v8, v8, v13
	v_cndmask_b32_e32 v15, v10, v15, vcc_lo
	s_delay_alu instid0(VALU_DEP_1)
	v_lshlrev_b32_e32 v15, 2, v15
	ds_bpermute_b32 v11, v15, v0
	ds_bpermute_b32 v12, v15, v1
	;; [unrolled: 1-line block ×4, first 2 shown]
	s_wait_dscnt 0x3
	v_dual_add_f32 v0, v0, v11 :: v_dual_bitop2_b32 v15, 2, v10 bitop3:0x14
	s_delay_alu instid0(VALU_DEP_1) | instskip(SKIP_4) | instid1(VALU_DEP_2)
	v_cmp_gt_i32_e32 vcc_lo, 32, v15
	s_wait_dscnt 0x2
	v_dual_add_f32 v1, v1, v12 :: v_dual_cndmask_b32 v15, v10, v15, vcc_lo
	s_wait_dscnt 0x0
	v_dual_add_f32 v11, v8, v13 :: v_dual_add_f32 v9, v9, v14
	v_lshlrev_b32_e32 v15, 2, v15
	ds_bpermute_b32 v8, v15, v0
	ds_bpermute_b32 v12, v15, v1
	;; [unrolled: 1-line block ×4, first 2 shown]
	s_wait_dscnt 0x3
	v_dual_add_f32 v0, v0, v8 :: v_dual_bitop2_b32 v15, 1, v10 bitop3:0x14
	s_delay_alu instid0(VALU_DEP_1)
	v_cmp_gt_i32_e32 vcc_lo, 32, v15
	s_wait_dscnt 0x1
	v_dual_add_f32 v8, v1, v12 :: v_dual_add_f32 v1, v11, v13
	s_wait_dscnt 0x0
	v_dual_add_f32 v9, v9, v14 :: v_dual_cndmask_b32 v10, v10, v15
	v_cmp_eq_u32_e32 vcc_lo, 31, v7
	s_delay_alu instid0(VALU_DEP_2)
	v_lshlrev_b32_e32 v15, 2, v10
	ds_bpermute_b32 v12, v15, v0
	ds_bpermute_b32 v13, v15, v8
	;; [unrolled: 1-line block ×4, first 2 shown]
	s_and_b32 exec_lo, exec_lo, vcc_lo
	s_cbranch_execz .LBB185_19
; %bb.15:
	s_load_b64 s[2:3], s[0:1], 0x38
	v_cmp_eq_f32_e32 vcc_lo, 0, v4
	s_wait_xcnt 0x0
	v_cmp_eq_f32_e64 s0, 0, v5
	s_wait_dscnt 0x3
	v_add_f32_e32 v0, v0, v12
	s_wait_dscnt 0x1
	v_dual_add_f32 v12, v8, v13 :: v_dual_add_f32 v8, v1, v10
	s_wait_dscnt 0x0
	v_add_f32_e32 v10, v9, v11
	s_and_b32 s0, vcc_lo, s0
	s_delay_alu instid0(SALU_CYCLE_1) | instskip(NEXT) | instid1(SALU_CYCLE_1)
	s_and_saveexec_b32 s1, s0
	s_xor_b32 s0, exec_lo, s1
	s_cbranch_execz .LBB185_17
; %bb.16:
	v_xor_b32_e32 v4, 0x80000000, v3
	v_dual_mov_b32 v5, v2 :: v_dual_lshlrev_b32 v6, 1, v6
	s_delay_alu instid0(VALU_DEP_1) | instskip(NEXT) | instid1(VALU_DEP_2)
	v_ashrrev_i32_e32 v7, 31, v6
	v_pk_mul_f32 v[12:13], v[12:13], v[4:5] op_sel_hi:[0,1]
	v_pk_mul_f32 v[4:5], v[10:11], v[4:5] op_sel_hi:[0,1]
                                        ; implicit-def: $vgpr10
	s_wait_kmcnt 0x0
	s_delay_alu instid0(VALU_DEP_3) | instskip(NEXT) | instid1(VALU_DEP_3)
	v_lshl_add_u64 v[6:7], v[6:7], 3, s[2:3]
	v_pk_fma_f32 v[0:1], v[2:3], v[0:1], v[12:13] op_sel_hi:[1,0,1]
	s_delay_alu instid0(VALU_DEP_3)
	v_pk_fma_f32 v[2:3], v[2:3], v[8:9], v[4:5] op_sel_hi:[1,0,1]
                                        ; implicit-def: $vgpr4_vgpr5
                                        ; implicit-def: $vgpr12
                                        ; implicit-def: $vgpr8
	global_store_b128 v[6:7], v[0:3], off
                                        ; implicit-def: $vgpr6
                                        ; implicit-def: $vgpr2_vgpr3
                                        ; implicit-def: $vgpr0
.LBB185_17:
	s_wait_xcnt 0x0
	s_and_not1_saveexec_b32 s0, s0
	s_cbranch_execz .LBB185_19
; %bb.18:
	v_dual_mov_b32 v19, v2 :: v_dual_lshlrev_b32 v6, 1, v6
	v_xor_b32_e32 v18, 0x80000000, v3
	s_delay_alu instid0(VALU_DEP_2) | instskip(NEXT) | instid1(VALU_DEP_2)
	v_ashrrev_i32_e32 v7, 31, v6
	v_pk_mul_f32 v[12:13], v[12:13], v[18:19] op_sel_hi:[0,1]
	v_pk_mul_f32 v[10:11], v[10:11], v[18:19] op_sel_hi:[0,1]
	s_delay_alu instid0(VALU_DEP_2) | instskip(NEXT) | instid1(VALU_DEP_2)
	v_pk_fma_f32 v[0:1], v[2:3], v[0:1], v[12:13] op_sel_hi:[1,0,1]
	v_pk_fma_f32 v[2:3], v[2:3], v[8:9], v[10:11] op_sel_hi:[1,0,1]
	v_mov_b32_e32 v9, v4
	s_wait_kmcnt 0x0
	v_lshl_add_u64 v[6:7], v[6:7], 3, s[2:3]
	v_xor_b32_e32 v8, 0x80000000, v5
	global_load_b128 v[14:17], v[6:7], off
	s_wait_loadcnt 0x0
	v_pk_fma_f32 v[0:1], v[4:5], v[14:15], v[0:1] op_sel_hi:[1,0,1]
	v_pk_fma_f32 v[2:3], v[4:5], v[16:17], v[2:3] op_sel_hi:[1,0,1]
	v_mov_b32_e32 v4, v17
	s_delay_alu instid0(VALU_DEP_3) | instskip(NEXT) | instid1(VALU_DEP_2)
	v_pk_fma_f32 v[0:1], v[8:9], v[14:15], v[0:1] op_sel:[0,1,0]
	v_pk_fma_f32 v[2:3], v[8:9], v[4:5], v[2:3] op_sel_hi:[1,0,1]
	global_store_b128 v[6:7], v[0:3], off
.LBB185_19:
	s_sendmsg sendmsg(MSG_DEALLOC_VGPRS)
	s_endpgm
	.section	.rodata,"a",@progbits
	.p2align	6, 0x0
	.amdhsa_kernel _ZN9rocsparseL19gebsrmvn_2xn_kernelILj128ELj8ELj32E21rocsparse_complex_numIfEEEvi20rocsparse_direction_NS_24const_host_device_scalarIT2_EEPKiS8_PKS5_SA_S6_PS5_21rocsparse_index_base_b
		.amdhsa_group_segment_fixed_size 0
		.amdhsa_private_segment_fixed_size 0
		.amdhsa_kernarg_size 72
		.amdhsa_user_sgpr_count 2
		.amdhsa_user_sgpr_dispatch_ptr 0
		.amdhsa_user_sgpr_queue_ptr 0
		.amdhsa_user_sgpr_kernarg_segment_ptr 1
		.amdhsa_user_sgpr_dispatch_id 0
		.amdhsa_user_sgpr_kernarg_preload_length 0
		.amdhsa_user_sgpr_kernarg_preload_offset 0
		.amdhsa_user_sgpr_private_segment_size 0
		.amdhsa_wavefront_size32 1
		.amdhsa_uses_dynamic_stack 0
		.amdhsa_enable_private_segment 0
		.amdhsa_system_sgpr_workgroup_id_x 1
		.amdhsa_system_sgpr_workgroup_id_y 0
		.amdhsa_system_sgpr_workgroup_id_z 0
		.amdhsa_system_sgpr_workgroup_info 0
		.amdhsa_system_vgpr_workitem_id 0
		.amdhsa_next_free_vgpr 68
		.amdhsa_next_free_sgpr 14
		.amdhsa_named_barrier_count 0
		.amdhsa_reserve_vcc 1
		.amdhsa_float_round_mode_32 0
		.amdhsa_float_round_mode_16_64 0
		.amdhsa_float_denorm_mode_32 3
		.amdhsa_float_denorm_mode_16_64 3
		.amdhsa_fp16_overflow 0
		.amdhsa_memory_ordered 1
		.amdhsa_forward_progress 1
		.amdhsa_inst_pref_size 21
		.amdhsa_round_robin_scheduling 0
		.amdhsa_exception_fp_ieee_invalid_op 0
		.amdhsa_exception_fp_denorm_src 0
		.amdhsa_exception_fp_ieee_div_zero 0
		.amdhsa_exception_fp_ieee_overflow 0
		.amdhsa_exception_fp_ieee_underflow 0
		.amdhsa_exception_fp_ieee_inexact 0
		.amdhsa_exception_int_div_zero 0
	.end_amdhsa_kernel
	.section	.text._ZN9rocsparseL19gebsrmvn_2xn_kernelILj128ELj8ELj32E21rocsparse_complex_numIfEEEvi20rocsparse_direction_NS_24const_host_device_scalarIT2_EEPKiS8_PKS5_SA_S6_PS5_21rocsparse_index_base_b,"axG",@progbits,_ZN9rocsparseL19gebsrmvn_2xn_kernelILj128ELj8ELj32E21rocsparse_complex_numIfEEEvi20rocsparse_direction_NS_24const_host_device_scalarIT2_EEPKiS8_PKS5_SA_S6_PS5_21rocsparse_index_base_b,comdat
.Lfunc_end185:
	.size	_ZN9rocsparseL19gebsrmvn_2xn_kernelILj128ELj8ELj32E21rocsparse_complex_numIfEEEvi20rocsparse_direction_NS_24const_host_device_scalarIT2_EEPKiS8_PKS5_SA_S6_PS5_21rocsparse_index_base_b, .Lfunc_end185-_ZN9rocsparseL19gebsrmvn_2xn_kernelILj128ELj8ELj32E21rocsparse_complex_numIfEEEvi20rocsparse_direction_NS_24const_host_device_scalarIT2_EEPKiS8_PKS5_SA_S6_PS5_21rocsparse_index_base_b
                                        ; -- End function
	.set _ZN9rocsparseL19gebsrmvn_2xn_kernelILj128ELj8ELj32E21rocsparse_complex_numIfEEEvi20rocsparse_direction_NS_24const_host_device_scalarIT2_EEPKiS8_PKS5_SA_S6_PS5_21rocsparse_index_base_b.num_vgpr, 68
	.set _ZN9rocsparseL19gebsrmvn_2xn_kernelILj128ELj8ELj32E21rocsparse_complex_numIfEEEvi20rocsparse_direction_NS_24const_host_device_scalarIT2_EEPKiS8_PKS5_SA_S6_PS5_21rocsparse_index_base_b.num_agpr, 0
	.set _ZN9rocsparseL19gebsrmvn_2xn_kernelILj128ELj8ELj32E21rocsparse_complex_numIfEEEvi20rocsparse_direction_NS_24const_host_device_scalarIT2_EEPKiS8_PKS5_SA_S6_PS5_21rocsparse_index_base_b.numbered_sgpr, 14
	.set _ZN9rocsparseL19gebsrmvn_2xn_kernelILj128ELj8ELj32E21rocsparse_complex_numIfEEEvi20rocsparse_direction_NS_24const_host_device_scalarIT2_EEPKiS8_PKS5_SA_S6_PS5_21rocsparse_index_base_b.num_named_barrier, 0
	.set _ZN9rocsparseL19gebsrmvn_2xn_kernelILj128ELj8ELj32E21rocsparse_complex_numIfEEEvi20rocsparse_direction_NS_24const_host_device_scalarIT2_EEPKiS8_PKS5_SA_S6_PS5_21rocsparse_index_base_b.private_seg_size, 0
	.set _ZN9rocsparseL19gebsrmvn_2xn_kernelILj128ELj8ELj32E21rocsparse_complex_numIfEEEvi20rocsparse_direction_NS_24const_host_device_scalarIT2_EEPKiS8_PKS5_SA_S6_PS5_21rocsparse_index_base_b.uses_vcc, 1
	.set _ZN9rocsparseL19gebsrmvn_2xn_kernelILj128ELj8ELj32E21rocsparse_complex_numIfEEEvi20rocsparse_direction_NS_24const_host_device_scalarIT2_EEPKiS8_PKS5_SA_S6_PS5_21rocsparse_index_base_b.uses_flat_scratch, 1
	.set _ZN9rocsparseL19gebsrmvn_2xn_kernelILj128ELj8ELj32E21rocsparse_complex_numIfEEEvi20rocsparse_direction_NS_24const_host_device_scalarIT2_EEPKiS8_PKS5_SA_S6_PS5_21rocsparse_index_base_b.has_dyn_sized_stack, 0
	.set _ZN9rocsparseL19gebsrmvn_2xn_kernelILj128ELj8ELj32E21rocsparse_complex_numIfEEEvi20rocsparse_direction_NS_24const_host_device_scalarIT2_EEPKiS8_PKS5_SA_S6_PS5_21rocsparse_index_base_b.has_recursion, 0
	.set _ZN9rocsparseL19gebsrmvn_2xn_kernelILj128ELj8ELj32E21rocsparse_complex_numIfEEEvi20rocsparse_direction_NS_24const_host_device_scalarIT2_EEPKiS8_PKS5_SA_S6_PS5_21rocsparse_index_base_b.has_indirect_call, 0
	.section	.AMDGPU.csdata,"",@progbits
; Kernel info:
; codeLenInByte = 2640
; TotalNumSgprs: 16
; NumVgprs: 68
; ScratchSize: 0
; MemoryBound: 0
; FloatMode: 240
; IeeeMode: 1
; LDSByteSize: 0 bytes/workgroup (compile time only)
; SGPRBlocks: 0
; VGPRBlocks: 4
; NumSGPRsForWavesPerEU: 16
; NumVGPRsForWavesPerEU: 68
; NamedBarCnt: 0
; Occupancy: 12
; WaveLimiterHint : 1
; COMPUTE_PGM_RSRC2:SCRATCH_EN: 0
; COMPUTE_PGM_RSRC2:USER_SGPR: 2
; COMPUTE_PGM_RSRC2:TRAP_HANDLER: 0
; COMPUTE_PGM_RSRC2:TGID_X_EN: 1
; COMPUTE_PGM_RSRC2:TGID_Y_EN: 0
; COMPUTE_PGM_RSRC2:TGID_Z_EN: 0
; COMPUTE_PGM_RSRC2:TIDIG_COMP_CNT: 0
	.section	.text._ZN9rocsparseL19gebsrmvn_2xn_kernelILj128ELj8ELj64E21rocsparse_complex_numIfEEEvi20rocsparse_direction_NS_24const_host_device_scalarIT2_EEPKiS8_PKS5_SA_S6_PS5_21rocsparse_index_base_b,"axG",@progbits,_ZN9rocsparseL19gebsrmvn_2xn_kernelILj128ELj8ELj64E21rocsparse_complex_numIfEEEvi20rocsparse_direction_NS_24const_host_device_scalarIT2_EEPKiS8_PKS5_SA_S6_PS5_21rocsparse_index_base_b,comdat
	.globl	_ZN9rocsparseL19gebsrmvn_2xn_kernelILj128ELj8ELj64E21rocsparse_complex_numIfEEEvi20rocsparse_direction_NS_24const_host_device_scalarIT2_EEPKiS8_PKS5_SA_S6_PS5_21rocsparse_index_base_b ; -- Begin function _ZN9rocsparseL19gebsrmvn_2xn_kernelILj128ELj8ELj64E21rocsparse_complex_numIfEEEvi20rocsparse_direction_NS_24const_host_device_scalarIT2_EEPKiS8_PKS5_SA_S6_PS5_21rocsparse_index_base_b
	.p2align	8
	.type	_ZN9rocsparseL19gebsrmvn_2xn_kernelILj128ELj8ELj64E21rocsparse_complex_numIfEEEvi20rocsparse_direction_NS_24const_host_device_scalarIT2_EEPKiS8_PKS5_SA_S6_PS5_21rocsparse_index_base_b,@function
_ZN9rocsparseL19gebsrmvn_2xn_kernelILj128ELj8ELj64E21rocsparse_complex_numIfEEEvi20rocsparse_direction_NS_24const_host_device_scalarIT2_EEPKiS8_PKS5_SA_S6_PS5_21rocsparse_index_base_b: ; @_ZN9rocsparseL19gebsrmvn_2xn_kernelILj128ELj8ELj64E21rocsparse_complex_numIfEEEvi20rocsparse_direction_NS_24const_host_device_scalarIT2_EEPKiS8_PKS5_SA_S6_PS5_21rocsparse_index_base_b
; %bb.0:
	s_clause 0x2
	s_load_b64 s[12:13], s[0:1], 0x40
	s_load_b64 s[2:3], s[0:1], 0x8
	;; [unrolled: 1-line block ×3, first 2 shown]
	v_mov_b32_e32 v1, 0
	s_add_nc_u64 s[6:7], s[0:1], 8
	s_add_nc_u64 s[8:9], s[0:1], 48
	s_wait_kmcnt 0x0
	s_bitcmp1_b32 s13, 0
	s_cselect_b32 s3, s7, s3
	s_cselect_b32 s2, s6, s2
	;; [unrolled: 1-line block ×4, first 2 shown]
	s_clause 0x1
	flat_load_b64 v[2:3], v1, s[2:3]
	flat_load_b64 v[4:5], v1, s[4:5]
	s_wait_loadcnt_dscnt 0x101
	v_cmp_eq_f32_e32 vcc_lo, 0, v2
	v_cmp_eq_f32_e64 s2, 0, v3
	s_wait_loadcnt_dscnt 0x0
	v_cmp_eq_f32_e64 s3, 1.0, v4
	v_cmp_eq_f32_e64 s4, 0, v5
	s_and_b32 s2, vcc_lo, s2
	s_and_b32 s3, s3, s4
	s_delay_alu instid0(SALU_CYCLE_1) | instskip(NEXT) | instid1(SALU_CYCLE_1)
	s_and_b32 s2, s2, s3
	s_xor_b32 s2, s2, -1
	s_delay_alu instid0(SALU_CYCLE_1)
	s_and_saveexec_b32 s3, s2
	s_cbranch_execz .LBB186_19
; %bb.1:
	s_load_b64 s[2:3], s[0:1], 0x0
	s_bfe_u32 s4, ttmp6, 0x4000c
	s_and_b32 s5, ttmp6, 15
	s_add_co_i32 s4, s4, 1
	s_getreg_b32 s6, hwreg(HW_REG_IB_STS2, 6, 4)
	s_mul_i32 s4, ttmp9, s4
	v_lshrrev_b32_e32 v1, 6, v0
	s_add_co_i32 s5, s5, s4
	s_cmp_eq_u32 s6, 0
	s_cselect_b32 s4, ttmp9, s5
	s_delay_alu instid0(VALU_DEP_1) | instid1(SALU_CYCLE_1)
	v_lshl_or_b32 v6, s4, 1, v1
	s_wait_kmcnt 0x0
	s_delay_alu instid0(VALU_DEP_1)
	v_cmp_gt_i32_e32 vcc_lo, s2, v6
	s_and_b32 exec_lo, exec_lo, vcc_lo
	s_cbranch_execz .LBB186_19
; %bb.2:
	s_load_b256 s[4:11], s[0:1], 0x10
	v_ashrrev_i32_e32 v7, 31, v6
	s_cmp_lg_u32 s3, 0
	s_wait_kmcnt 0x0
	s_delay_alu instid0(VALU_DEP_1)
	v_lshl_add_u64 v[8:9], v[6:7], 2, s[4:5]
	v_and_b32_e32 v7, 63, v0
	global_load_b64 v[8:9], v[8:9], off
	s_wait_loadcnt 0x0
	v_subrev_nc_u32_e32 v0, s12, v8
	v_subrev_nc_u32_e32 v12, s12, v9
	s_delay_alu instid0(VALU_DEP_2) | instskip(NEXT) | instid1(VALU_DEP_1)
	v_add_nc_u32_e32 v13, v0, v7
	v_cmp_lt_i32_e64 s2, v13, v12
	s_cbranch_scc0 .LBB186_8
; %bb.3:
	v_mov_b32_e32 v1, 0
	s_delay_alu instid0(VALU_DEP_1)
	v_dual_mov_b32 v0, v1 :: v_dual_mov_b32 v9, v1
	v_mov_b32_e32 v8, v1
	s_and_saveexec_b32 s3, s2
	s_cbranch_execz .LBB186_7
; %bb.4:
	v_dual_mov_b32 v11, 0 :: v_dual_lshlrev_b32 v10, 4, v13
	v_mov_b32_e32 v14, v13
	s_mov_b32 s4, 0
	s_delay_alu instid0(VALU_DEP_2)
	v_dual_mov_b32 v8, v11 :: v_dual_mov_b32 v9, v11
	v_dual_mov_b32 v0, v11 :: v_dual_mov_b32 v1, v11
.LBB186_5:                              ; =>This Inner Loop Header: Depth=1
	global_load_b32 v15, v14, s[6:7] scale_offset
	v_lshl_add_u64 v[64:65], v[10:11], 3, s[8:9]
	s_wait_xcnt 0x0
	v_add_nc_u32_e32 v14, 64, v14
	v_add_nc_u32_e32 v10, 0x400, v10
	s_delay_alu instid0(VALU_DEP_2) | instskip(SKIP_3) | instid1(VALU_DEP_1)
	v_cmp_ge_i32_e32 vcc_lo, v14, v12
	s_or_b32 s4, vcc_lo, s4
	s_wait_loadcnt 0x0
	v_subrev_nc_u32_e32 v15, s12, v15
	v_dual_mov_b32 v17, v11 :: v_dual_lshlrev_b32 v16, 3, v15
	s_delay_alu instid0(VALU_DEP_1)
	v_lshl_add_u64 v[66:67], v[16:17], 3, s[10:11]
	global_load_b128 v[16:19], v[64:65], off
	global_load_b128 v[20:23], v[66:67], off
	s_clause 0x1
	global_load_b128 v[24:27], v[64:65], off offset:16
	global_load_b128 v[28:31], v[64:65], off offset:32
	global_load_b128 v[32:35], v[66:67], off offset:16
	s_clause 0x1
	global_load_b128 v[36:39], v[64:65], off offset:48
	global_load_b128 v[40:43], v[64:65], off offset:64
	global_load_b128 v[44:47], v[66:67], off offset:32
	;; [unrolled: 4-line block ×3, first 2 shown]
	global_load_b128 v[60:63], v[64:65], off offset:112
	s_wait_loadcnt 0xb
	s_wait_xcnt 0x0
	v_xor_b32_e32 v64, 0x80000000, v19
	v_mov_b32_e32 v65, v18
	s_wait_loadcnt 0xa
	v_pk_fma_f32 v[0:1], v[16:17], v[20:21], v[0:1] op_sel_hi:[1,0,1]
	v_pk_fma_f32 v[8:9], v[18:19], v[20:21], v[8:9] op_sel_hi:[1,0,1]
	v_mov_b32_e32 v18, v23
	s_delay_alu instid0(VALU_DEP_3)
	v_pk_fma_f32 v[0:1], v[16:17], v[20:21], v[0:1] op_sel:[1,1,0] op_sel_hi:[0,1,1] neg_lo:[1,0,0]
	s_wait_loadcnt 0x9
	v_mov_b32_e32 v17, v26
	v_pk_fma_f32 v[8:9], v[64:65], v[20:21], v[8:9] op_sel:[0,1,0]
	v_xor_b32_e32 v16, 0x80000000, v27
	v_pk_fma_f32 v[0:1], v[24:25], v[22:23], v[0:1] op_sel_hi:[1,0,1]
	s_delay_alu instid0(VALU_DEP_3) | instskip(NEXT) | instid1(VALU_DEP_1)
	v_pk_fma_f32 v[8:9], v[26:27], v[22:23], v[8:9] op_sel_hi:[1,0,1]
	v_pk_fma_f32 v[8:9], v[16:17], v[18:19], v[8:9] op_sel_hi:[1,0,1]
	s_wait_loadcnt 0x8
	v_mov_b32_e32 v17, v30
	v_pk_fma_f32 v[0:1], v[24:25], v[18:19], v[0:1] op_sel:[1,0,0] op_sel_hi:[0,0,1] neg_lo:[1,0,0]
	v_xor_b32_e32 v16, 0x80000000, v31
	s_wait_loadcnt 0x7
	v_mov_b32_e32 v18, v35
	v_pk_fma_f32 v[8:9], v[30:31], v[32:33], v[8:9] op_sel_hi:[1,0,1]
	v_pk_fma_f32 v[0:1], v[28:29], v[32:33], v[0:1] op_sel_hi:[1,0,1]
	s_delay_alu instid0(VALU_DEP_2) | instskip(SKIP_2) | instid1(VALU_DEP_3)
	v_pk_fma_f32 v[8:9], v[16:17], v[32:33], v[8:9] op_sel:[0,1,0]
	s_wait_loadcnt 0x6
	v_xor_b32_e32 v16, 0x80000000, v39
	v_pk_fma_f32 v[0:1], v[28:29], v[32:33], v[0:1] op_sel:[1,1,0] op_sel_hi:[0,1,1] neg_lo:[1,0,0]
	v_mov_b32_e32 v17, v38
	v_pk_fma_f32 v[8:9], v[38:39], v[34:35], v[8:9] op_sel_hi:[1,0,1]
	s_delay_alu instid0(VALU_DEP_3) | instskip(NEXT) | instid1(VALU_DEP_2)
	v_pk_fma_f32 v[0:1], v[36:37], v[34:35], v[0:1] op_sel_hi:[1,0,1]
	v_pk_fma_f32 v[8:9], v[16:17], v[18:19], v[8:9] op_sel_hi:[1,0,1]
	s_wait_loadcnt 0x5
	v_xor_b32_e32 v16, 0x80000000, v43
	s_delay_alu instid0(VALU_DEP_3) | instskip(SKIP_3) | instid1(VALU_DEP_3)
	v_pk_fma_f32 v[0:1], v[36:37], v[18:19], v[0:1] op_sel:[1,0,0] op_sel_hi:[0,0,1] neg_lo:[1,0,0]
	s_wait_loadcnt 0x4
	v_dual_mov_b32 v17, v42 :: v_dual_mov_b32 v18, v47
	v_pk_fma_f32 v[8:9], v[42:43], v[44:45], v[8:9] op_sel_hi:[1,0,1]
	v_pk_fma_f32 v[0:1], v[40:41], v[44:45], v[0:1] op_sel_hi:[1,0,1]
	s_delay_alu instid0(VALU_DEP_2) | instskip(SKIP_2) | instid1(VALU_DEP_3)
	v_pk_fma_f32 v[8:9], v[16:17], v[44:45], v[8:9] op_sel:[0,1,0]
	s_wait_loadcnt 0x3
	v_xor_b32_e32 v16, 0x80000000, v51
	v_pk_fma_f32 v[0:1], v[40:41], v[44:45], v[0:1] op_sel:[1,1,0] op_sel_hi:[0,1,1] neg_lo:[1,0,0]
	v_mov_b32_e32 v17, v50
	v_pk_fma_f32 v[8:9], v[50:51], v[46:47], v[8:9] op_sel_hi:[1,0,1]
	s_delay_alu instid0(VALU_DEP_3) | instskip(NEXT) | instid1(VALU_DEP_2)
	v_pk_fma_f32 v[0:1], v[48:49], v[46:47], v[0:1] op_sel_hi:[1,0,1]
	v_pk_fma_f32 v[8:9], v[16:17], v[18:19], v[8:9] op_sel_hi:[1,0,1]
	s_wait_loadcnt 0x2
	v_xor_b32_e32 v16, 0x80000000, v55
	s_delay_alu instid0(VALU_DEP_3) | instskip(SKIP_3) | instid1(VALU_DEP_3)
	v_pk_fma_f32 v[0:1], v[48:49], v[18:19], v[0:1] op_sel:[1,0,0] op_sel_hi:[0,0,1] neg_lo:[1,0,0]
	s_wait_loadcnt 0x1
	v_dual_mov_b32 v17, v54 :: v_dual_mov_b32 v18, v59
	v_pk_fma_f32 v[8:9], v[54:55], v[56:57], v[8:9] op_sel_hi:[1,0,1]
	v_pk_fma_f32 v[0:1], v[52:53], v[56:57], v[0:1] op_sel_hi:[1,0,1]
	s_delay_alu instid0(VALU_DEP_2) | instskip(SKIP_2) | instid1(VALU_DEP_3)
	v_pk_fma_f32 v[8:9], v[16:17], v[56:57], v[8:9] op_sel:[0,1,0]
	s_wait_loadcnt 0x0
	v_xor_b32_e32 v16, 0x80000000, v63
	v_pk_fma_f32 v[0:1], v[52:53], v[56:57], v[0:1] op_sel:[1,1,0] op_sel_hi:[0,1,1] neg_lo:[1,0,0]
	v_mov_b32_e32 v17, v62
	v_pk_fma_f32 v[8:9], v[62:63], v[58:59], v[8:9] op_sel_hi:[1,0,1]
	s_delay_alu instid0(VALU_DEP_3) | instskip(NEXT) | instid1(VALU_DEP_2)
	v_pk_fma_f32 v[0:1], v[60:61], v[58:59], v[0:1] op_sel_hi:[1,0,1]
	v_pk_fma_f32 v[8:9], v[16:17], v[18:19], v[8:9] op_sel_hi:[1,0,1]
	s_delay_alu instid0(VALU_DEP_2)
	v_pk_fma_f32 v[0:1], v[60:61], v[18:19], v[0:1] op_sel:[1,0,0] op_sel_hi:[0,0,1] neg_lo:[1,0,0]
	s_and_not1_b32 exec_lo, exec_lo, s4
	s_cbranch_execnz .LBB186_5
; %bb.6:
	s_or_b32 exec_lo, exec_lo, s4
.LBB186_7:
	s_delay_alu instid0(SALU_CYCLE_1)
	s_or_b32 exec_lo, exec_lo, s3
	s_cbranch_execz .LBB186_9
	s_branch .LBB186_14
.LBB186_8:
                                        ; implicit-def: $vgpr1
                                        ; implicit-def: $vgpr9
.LBB186_9:
	v_mov_b32_e32 v1, 0
	s_delay_alu instid0(VALU_DEP_1)
	v_dual_mov_b32 v0, v1 :: v_dual_mov_b32 v9, v1
	v_mov_b32_e32 v8, v1
	s_and_saveexec_b32 s3, s2
	s_cbranch_execz .LBB186_13
; %bb.10:
	v_dual_mov_b32 v11, 0 :: v_dual_lshlrev_b32 v10, 4, v13
	s_mov_b32 s2, 0
	s_delay_alu instid0(VALU_DEP_1)
	v_dual_mov_b32 v8, v11 :: v_dual_mov_b32 v9, v11
	v_dual_mov_b32 v0, v11 :: v_dual_mov_b32 v1, v11
.LBB186_11:                             ; =>This Inner Loop Header: Depth=1
	global_load_b32 v14, v13, s[6:7] scale_offset
	v_lshl_add_u64 v[62:63], v[10:11], 3, s[8:9]
	v_add_nc_u32_e32 v10, 0x400, v10
	s_wait_xcnt 0x0
	v_add_nc_u32_e32 v13, 64, v13
	s_delay_alu instid0(VALU_DEP_1) | instskip(SKIP_3) | instid1(VALU_DEP_1)
	v_cmp_ge_i32_e32 vcc_lo, v13, v12
	s_or_b32 s2, vcc_lo, s2
	s_wait_loadcnt 0x0
	v_subrev_nc_u32_e32 v14, s12, v14
	v_dual_mov_b32 v15, v11 :: v_dual_lshlrev_b32 v14, 3, v14
	s_delay_alu instid0(VALU_DEP_1)
	v_lshl_add_u64 v[64:65], v[14:15], 3, s[10:11]
	s_clause 0x1
	global_load_b128 v[14:17], v[62:63], off
	global_load_b128 v[18:21], v[62:63], off offset:64
	global_load_b128 v[22:25], v[64:65], off
	s_clause 0x1
	global_load_b128 v[26:29], v[62:63], off offset:16
	global_load_b128 v[30:33], v[62:63], off offset:80
	global_load_b128 v[34:37], v[64:65], off offset:16
	s_clause 0x1
	global_load_b128 v[38:41], v[62:63], off offset:32
	global_load_b128 v[42:45], v[62:63], off offset:96
	global_load_b128 v[46:49], v[64:65], off offset:32
	;; [unrolled: 4-line block ×3, first 2 shown]
	s_wait_loadcnt 0xb
	s_wait_xcnt 0x1
	v_xor_b32_e32 v62, 0x80000000, v17
	v_mov_b32_e32 v63, v16
	s_wait_loadcnt 0x9
	v_pk_fma_f32 v[0:1], v[14:15], v[22:23], v[0:1] op_sel_hi:[1,0,1]
	v_pk_fma_f32 v[8:9], v[18:19], v[22:23], v[8:9] op_sel_hi:[1,0,1]
	s_delay_alu instid0(VALU_DEP_2) | instskip(NEXT) | instid1(VALU_DEP_2)
	v_pk_fma_f32 v[0:1], v[14:15], v[22:23], v[0:1] op_sel:[1,1,0] op_sel_hi:[0,1,1] neg_lo:[1,0,0]
	v_pk_fma_f32 v[8:9], v[18:19], v[22:23], v[8:9] op_sel:[1,1,0] op_sel_hi:[0,1,1] neg_lo:[1,0,0]
	v_xor_b32_e32 v14, 0x80000000, v21
	s_wait_loadcnt 0x6
	v_dual_mov_b32 v15, v20 :: v_dual_mov_b32 v18, v37
	v_pk_fma_f32 v[0:1], v[16:17], v[24:25], v[0:1] op_sel_hi:[1,0,1]
	v_mov_b32_e32 v16, v25
	v_pk_fma_f32 v[8:9], v[20:21], v[24:25], v[8:9] op_sel_hi:[1,0,1]
	s_delay_alu instid0(VALU_DEP_1)
	v_pk_fma_f32 v[8:9], v[14:15], v[16:17], v[8:9] op_sel_hi:[1,0,1]
	v_mov_b32_e32 v15, v28
	v_pk_fma_f32 v[0:1], v[62:63], v[16:17], v[0:1] op_sel_hi:[1,0,1]
	v_xor_b32_e32 v14, 0x80000000, v29
	v_xor_b32_e32 v16, 0x80000000, v33
	v_pk_fma_f32 v[8:9], v[30:31], v[34:35], v[8:9] op_sel_hi:[1,0,1]
	v_mov_b32_e32 v17, v32
	v_pk_fma_f32 v[0:1], v[26:27], v[34:35], v[0:1] op_sel_hi:[1,0,1]
	s_delay_alu instid0(VALU_DEP_3) | instskip(NEXT) | instid1(VALU_DEP_2)
	v_pk_fma_f32 v[8:9], v[30:31], v[34:35], v[8:9] op_sel:[1,1,0] op_sel_hi:[0,1,1] neg_lo:[1,0,0]
	v_pk_fma_f32 v[0:1], v[26:27], v[34:35], v[0:1] op_sel:[1,1,0] op_sel_hi:[0,1,1] neg_lo:[1,0,0]
	s_delay_alu instid0(VALU_DEP_2) | instskip(NEXT) | instid1(VALU_DEP_2)
	v_pk_fma_f32 v[8:9], v[32:33], v[36:37], v[8:9] op_sel_hi:[1,0,1]
	v_pk_fma_f32 v[0:1], v[28:29], v[36:37], v[0:1] op_sel_hi:[1,0,1]
	s_delay_alu instid0(VALU_DEP_2) | instskip(SKIP_2) | instid1(VALU_DEP_3)
	v_pk_fma_f32 v[8:9], v[16:17], v[18:19], v[8:9] op_sel_hi:[1,0,1]
	s_wait_loadcnt 0x4
	v_xor_b32_e32 v16, 0x80000000, v45
	v_pk_fma_f32 v[0:1], v[14:15], v[18:19], v[0:1] op_sel_hi:[1,0,1]
	v_xor_b32_e32 v14, 0x80000000, v41
	v_dual_mov_b32 v15, v40 :: v_dual_mov_b32 v17, v44
	s_wait_loadcnt 0x3
	v_pk_fma_f32 v[8:9], v[42:43], v[46:47], v[8:9] op_sel_hi:[1,0,1]
	v_pk_fma_f32 v[0:1], v[38:39], v[46:47], v[0:1] op_sel_hi:[1,0,1]
	v_mov_b32_e32 v18, v49
	s_delay_alu instid0(VALU_DEP_3) | instskip(NEXT) | instid1(VALU_DEP_3)
	v_pk_fma_f32 v[8:9], v[42:43], v[46:47], v[8:9] op_sel:[1,1,0] op_sel_hi:[0,1,1] neg_lo:[1,0,0]
	v_pk_fma_f32 v[0:1], v[38:39], v[46:47], v[0:1] op_sel:[1,1,0] op_sel_hi:[0,1,1] neg_lo:[1,0,0]
	s_delay_alu instid0(VALU_DEP_2) | instskip(NEXT) | instid1(VALU_DEP_2)
	v_pk_fma_f32 v[8:9], v[44:45], v[48:49], v[8:9] op_sel_hi:[1,0,1]
	v_pk_fma_f32 v[0:1], v[40:41], v[48:49], v[0:1] op_sel_hi:[1,0,1]
	s_delay_alu instid0(VALU_DEP_2) | instskip(NEXT) | instid1(VALU_DEP_2)
	v_pk_fma_f32 v[8:9], v[16:17], v[18:19], v[8:9] op_sel_hi:[1,0,1]
	v_pk_fma_f32 v[0:1], v[14:15], v[18:19], v[0:1] op_sel_hi:[1,0,1]
	s_wait_loadcnt 0x2
	v_xor_b32_e32 v14, 0x80000000, v53
	s_wait_loadcnt 0x1
	v_dual_mov_b32 v15, v52 :: v_dual_mov_b32 v17, v56
	s_wait_loadcnt 0x0
	v_pk_fma_f32 v[8:9], v[54:55], v[58:59], v[8:9] op_sel_hi:[1,0,1]
	v_pk_fma_f32 v[0:1], v[50:51], v[58:59], v[0:1] op_sel_hi:[1,0,1]
	v_xor_b32_e32 v16, 0x80000000, v57
	v_mov_b32_e32 v18, v61
	s_delay_alu instid0(VALU_DEP_4) | instskip(NEXT) | instid1(VALU_DEP_4)
	v_pk_fma_f32 v[8:9], v[54:55], v[58:59], v[8:9] op_sel:[1,1,0] op_sel_hi:[0,1,1] neg_lo:[1,0,0]
	v_pk_fma_f32 v[0:1], v[50:51], v[58:59], v[0:1] op_sel:[1,1,0] op_sel_hi:[0,1,1] neg_lo:[1,0,0]
	s_delay_alu instid0(VALU_DEP_2) | instskip(NEXT) | instid1(VALU_DEP_2)
	v_pk_fma_f32 v[8:9], v[56:57], v[60:61], v[8:9] op_sel_hi:[1,0,1]
	v_pk_fma_f32 v[0:1], v[52:53], v[60:61], v[0:1] op_sel_hi:[1,0,1]
	s_delay_alu instid0(VALU_DEP_2) | instskip(NEXT) | instid1(VALU_DEP_2)
	v_pk_fma_f32 v[8:9], v[16:17], v[18:19], v[8:9] op_sel_hi:[1,0,1]
	v_pk_fma_f32 v[0:1], v[14:15], v[18:19], v[0:1] op_sel_hi:[1,0,1]
	s_and_not1_b32 exec_lo, exec_lo, s2
	s_cbranch_execnz .LBB186_11
; %bb.12:
	s_or_b32 exec_lo, exec_lo, s2
.LBB186_13:
	s_delay_alu instid0(SALU_CYCLE_1)
	s_or_b32 exec_lo, exec_lo, s3
.LBB186_14:
	v_mbcnt_lo_u32_b32 v10, -1, 0
	s_delay_alu instid0(VALU_DEP_1) | instskip(SKIP_1) | instid1(VALU_DEP_1)
	v_xor_b32_e32 v15, 16, v10
	v_or_b32_e32 v11, 32, v10
	v_cmp_gt_i32_e32 vcc_lo, 32, v11
	v_cndmask_b32_e32 v11, v10, v11, vcc_lo
	s_delay_alu instid0(VALU_DEP_1)
	v_lshlrev_b32_e32 v11, 2, v11
	ds_bpermute_b32 v13, v11, v1
	s_wait_dscnt 0x0
	v_add_f32_e32 v1, v1, v13
	ds_bpermute_b32 v12, v11, v0
	ds_bpermute_b32 v14, v11, v8
	;; [unrolled: 1-line block ×3, first 2 shown]
	s_wait_dscnt 0x2
	v_add_f32_e32 v0, v0, v12
	s_wait_dscnt 0x0
	v_dual_add_f32 v8, v8, v14 :: v_dual_add_f32 v9, v9, v11
	v_cmp_gt_i32_e32 vcc_lo, 32, v15
	v_cndmask_b32_e32 v15, v10, v15, vcc_lo
	s_delay_alu instid0(VALU_DEP_1)
	v_lshlrev_b32_e32 v15, 2, v15
	ds_bpermute_b32 v11, v15, v0
	ds_bpermute_b32 v12, v15, v1
	;; [unrolled: 1-line block ×4, first 2 shown]
	s_wait_dscnt 0x3
	v_dual_add_f32 v0, v0, v11 :: v_dual_bitop2_b32 v15, 8, v10 bitop3:0x14
	s_delay_alu instid0(VALU_DEP_1)
	v_cmp_gt_i32_e32 vcc_lo, 32, v15
	s_wait_dscnt 0x2
	v_add_f32_e32 v1, v1, v12
	s_wait_dscnt 0x0
	v_dual_add_f32 v9, v9, v14 :: v_dual_add_f32 v8, v8, v13
	v_cndmask_b32_e32 v15, v10, v15, vcc_lo
	s_delay_alu instid0(VALU_DEP_1)
	v_lshlrev_b32_e32 v15, 2, v15
	ds_bpermute_b32 v11, v15, v0
	ds_bpermute_b32 v12, v15, v1
	;; [unrolled: 1-line block ×4, first 2 shown]
	s_wait_dscnt 0x3
	v_dual_add_f32 v0, v0, v11 :: v_dual_bitop2_b32 v15, 4, v10 bitop3:0x14
	s_delay_alu instid0(VALU_DEP_1) | instskip(SKIP_4) | instid1(VALU_DEP_2)
	v_cmp_gt_i32_e32 vcc_lo, 32, v15
	s_wait_dscnt 0x2
	v_dual_add_f32 v1, v1, v12 :: v_dual_cndmask_b32 v15, v10, v15, vcc_lo
	s_wait_dscnt 0x0
	v_dual_add_f32 v8, v8, v13 :: v_dual_add_f32 v9, v9, v14
	v_lshlrev_b32_e32 v15, 2, v15
	ds_bpermute_b32 v11, v15, v0
	ds_bpermute_b32 v12, v15, v1
	;; [unrolled: 1-line block ×4, first 2 shown]
	s_wait_dscnt 0x3
	v_dual_add_f32 v0, v0, v11 :: v_dual_bitop2_b32 v15, 2, v10 bitop3:0x14
	s_delay_alu instid0(VALU_DEP_1) | instskip(SKIP_4) | instid1(VALU_DEP_1)
	v_cmp_gt_i32_e32 vcc_lo, 32, v15
	s_wait_dscnt 0x1
	v_dual_add_f32 v1, v1, v12 :: v_dual_add_f32 v11, v8, v13
	s_wait_dscnt 0x0
	v_dual_add_f32 v9, v9, v14 :: v_dual_cndmask_b32 v15, v10, v15, vcc_lo
	v_lshlrev_b32_e32 v15, 2, v15
	ds_bpermute_b32 v8, v15, v0
	ds_bpermute_b32 v12, v15, v1
	;; [unrolled: 1-line block ×4, first 2 shown]
	s_wait_dscnt 0x3
	v_dual_add_f32 v0, v0, v8 :: v_dual_bitop2_b32 v15, 1, v10 bitop3:0x14
	s_delay_alu instid0(VALU_DEP_1)
	v_cmp_gt_i32_e32 vcc_lo, 32, v15
	s_wait_dscnt 0x2
	v_dual_add_f32 v8, v1, v12 :: v_dual_cndmask_b32 v10, v10, v15, vcc_lo
	s_wait_dscnt 0x0
	v_dual_add_f32 v1, v11, v13 :: v_dual_add_f32 v9, v9, v14
	v_cmp_eq_u32_e32 vcc_lo, 63, v7
	s_delay_alu instid0(VALU_DEP_3)
	v_lshlrev_b32_e32 v15, 2, v10
	ds_bpermute_b32 v12, v15, v0
	ds_bpermute_b32 v13, v15, v8
	ds_bpermute_b32 v10, v15, v1
	ds_bpermute_b32 v11, v15, v9
	s_and_b32 exec_lo, exec_lo, vcc_lo
	s_cbranch_execz .LBB186_19
; %bb.15:
	s_load_b64 s[2:3], s[0:1], 0x38
	v_cmp_eq_f32_e32 vcc_lo, 0, v4
	s_wait_xcnt 0x0
	v_cmp_eq_f32_e64 s0, 0, v5
	s_wait_dscnt 0x3
	v_add_f32_e32 v0, v0, v12
	s_wait_dscnt 0x1
	v_dual_add_f32 v12, v8, v13 :: v_dual_add_f32 v8, v1, v10
	s_wait_dscnt 0x0
	v_add_f32_e32 v10, v9, v11
	s_and_b32 s0, vcc_lo, s0
	s_delay_alu instid0(SALU_CYCLE_1) | instskip(NEXT) | instid1(SALU_CYCLE_1)
	s_and_saveexec_b32 s1, s0
	s_xor_b32 s0, exec_lo, s1
	s_cbranch_execz .LBB186_17
; %bb.16:
	v_xor_b32_e32 v4, 0x80000000, v3
	v_dual_mov_b32 v5, v2 :: v_dual_lshlrev_b32 v6, 1, v6
	s_delay_alu instid0(VALU_DEP_1) | instskip(NEXT) | instid1(VALU_DEP_2)
	v_ashrrev_i32_e32 v7, 31, v6
	v_pk_mul_f32 v[12:13], v[12:13], v[4:5] op_sel_hi:[0,1]
	v_pk_mul_f32 v[4:5], v[10:11], v[4:5] op_sel_hi:[0,1]
                                        ; implicit-def: $vgpr10
	s_wait_kmcnt 0x0
	s_delay_alu instid0(VALU_DEP_3) | instskip(NEXT) | instid1(VALU_DEP_3)
	v_lshl_add_u64 v[6:7], v[6:7], 3, s[2:3]
	v_pk_fma_f32 v[0:1], v[2:3], v[0:1], v[12:13] op_sel_hi:[1,0,1]
	s_delay_alu instid0(VALU_DEP_3)
	v_pk_fma_f32 v[2:3], v[2:3], v[8:9], v[4:5] op_sel_hi:[1,0,1]
                                        ; implicit-def: $vgpr4_vgpr5
                                        ; implicit-def: $vgpr12
                                        ; implicit-def: $vgpr8
	global_store_b128 v[6:7], v[0:3], off
                                        ; implicit-def: $vgpr6
                                        ; implicit-def: $vgpr2_vgpr3
                                        ; implicit-def: $vgpr0
.LBB186_17:
	s_wait_xcnt 0x0
	s_and_not1_saveexec_b32 s0, s0
	s_cbranch_execz .LBB186_19
; %bb.18:
	v_dual_mov_b32 v19, v2 :: v_dual_lshlrev_b32 v6, 1, v6
	v_xor_b32_e32 v18, 0x80000000, v3
	s_delay_alu instid0(VALU_DEP_2) | instskip(NEXT) | instid1(VALU_DEP_2)
	v_ashrrev_i32_e32 v7, 31, v6
	v_pk_mul_f32 v[12:13], v[12:13], v[18:19] op_sel_hi:[0,1]
	v_pk_mul_f32 v[10:11], v[10:11], v[18:19] op_sel_hi:[0,1]
	s_delay_alu instid0(VALU_DEP_2) | instskip(NEXT) | instid1(VALU_DEP_2)
	v_pk_fma_f32 v[0:1], v[2:3], v[0:1], v[12:13] op_sel_hi:[1,0,1]
	v_pk_fma_f32 v[2:3], v[2:3], v[8:9], v[10:11] op_sel_hi:[1,0,1]
	v_mov_b32_e32 v9, v4
	s_wait_kmcnt 0x0
	v_lshl_add_u64 v[6:7], v[6:7], 3, s[2:3]
	v_xor_b32_e32 v8, 0x80000000, v5
	global_load_b128 v[14:17], v[6:7], off
	s_wait_loadcnt 0x0
	v_pk_fma_f32 v[0:1], v[4:5], v[14:15], v[0:1] op_sel_hi:[1,0,1]
	v_pk_fma_f32 v[2:3], v[4:5], v[16:17], v[2:3] op_sel_hi:[1,0,1]
	v_mov_b32_e32 v4, v17
	s_delay_alu instid0(VALU_DEP_3) | instskip(NEXT) | instid1(VALU_DEP_2)
	v_pk_fma_f32 v[0:1], v[8:9], v[14:15], v[0:1] op_sel:[0,1,0]
	v_pk_fma_f32 v[2:3], v[8:9], v[4:5], v[2:3] op_sel_hi:[1,0,1]
	global_store_b128 v[6:7], v[0:3], off
.LBB186_19:
	s_sendmsg sendmsg(MSG_DEALLOC_VGPRS)
	s_endpgm
	.section	.rodata,"a",@progbits
	.p2align	6, 0x0
	.amdhsa_kernel _ZN9rocsparseL19gebsrmvn_2xn_kernelILj128ELj8ELj64E21rocsparse_complex_numIfEEEvi20rocsparse_direction_NS_24const_host_device_scalarIT2_EEPKiS8_PKS5_SA_S6_PS5_21rocsparse_index_base_b
		.amdhsa_group_segment_fixed_size 0
		.amdhsa_private_segment_fixed_size 0
		.amdhsa_kernarg_size 72
		.amdhsa_user_sgpr_count 2
		.amdhsa_user_sgpr_dispatch_ptr 0
		.amdhsa_user_sgpr_queue_ptr 0
		.amdhsa_user_sgpr_kernarg_segment_ptr 1
		.amdhsa_user_sgpr_dispatch_id 0
		.amdhsa_user_sgpr_kernarg_preload_length 0
		.amdhsa_user_sgpr_kernarg_preload_offset 0
		.amdhsa_user_sgpr_private_segment_size 0
		.amdhsa_wavefront_size32 1
		.amdhsa_uses_dynamic_stack 0
		.amdhsa_enable_private_segment 0
		.amdhsa_system_sgpr_workgroup_id_x 1
		.amdhsa_system_sgpr_workgroup_id_y 0
		.amdhsa_system_sgpr_workgroup_id_z 0
		.amdhsa_system_sgpr_workgroup_info 0
		.amdhsa_system_vgpr_workitem_id 0
		.amdhsa_next_free_vgpr 68
		.amdhsa_next_free_sgpr 14
		.amdhsa_named_barrier_count 0
		.amdhsa_reserve_vcc 1
		.amdhsa_float_round_mode_32 0
		.amdhsa_float_round_mode_16_64 0
		.amdhsa_float_denorm_mode_32 3
		.amdhsa_float_denorm_mode_16_64 3
		.amdhsa_fp16_overflow 0
		.amdhsa_memory_ordered 1
		.amdhsa_forward_progress 1
		.amdhsa_inst_pref_size 22
		.amdhsa_round_robin_scheduling 0
		.amdhsa_exception_fp_ieee_invalid_op 0
		.amdhsa_exception_fp_denorm_src 0
		.amdhsa_exception_fp_ieee_div_zero 0
		.amdhsa_exception_fp_ieee_overflow 0
		.amdhsa_exception_fp_ieee_underflow 0
		.amdhsa_exception_fp_ieee_inexact 0
		.amdhsa_exception_int_div_zero 0
	.end_amdhsa_kernel
	.section	.text._ZN9rocsparseL19gebsrmvn_2xn_kernelILj128ELj8ELj64E21rocsparse_complex_numIfEEEvi20rocsparse_direction_NS_24const_host_device_scalarIT2_EEPKiS8_PKS5_SA_S6_PS5_21rocsparse_index_base_b,"axG",@progbits,_ZN9rocsparseL19gebsrmvn_2xn_kernelILj128ELj8ELj64E21rocsparse_complex_numIfEEEvi20rocsparse_direction_NS_24const_host_device_scalarIT2_EEPKiS8_PKS5_SA_S6_PS5_21rocsparse_index_base_b,comdat
.Lfunc_end186:
	.size	_ZN9rocsparseL19gebsrmvn_2xn_kernelILj128ELj8ELj64E21rocsparse_complex_numIfEEEvi20rocsparse_direction_NS_24const_host_device_scalarIT2_EEPKiS8_PKS5_SA_S6_PS5_21rocsparse_index_base_b, .Lfunc_end186-_ZN9rocsparseL19gebsrmvn_2xn_kernelILj128ELj8ELj64E21rocsparse_complex_numIfEEEvi20rocsparse_direction_NS_24const_host_device_scalarIT2_EEPKiS8_PKS5_SA_S6_PS5_21rocsparse_index_base_b
                                        ; -- End function
	.set _ZN9rocsparseL19gebsrmvn_2xn_kernelILj128ELj8ELj64E21rocsparse_complex_numIfEEEvi20rocsparse_direction_NS_24const_host_device_scalarIT2_EEPKiS8_PKS5_SA_S6_PS5_21rocsparse_index_base_b.num_vgpr, 68
	.set _ZN9rocsparseL19gebsrmvn_2xn_kernelILj128ELj8ELj64E21rocsparse_complex_numIfEEEvi20rocsparse_direction_NS_24const_host_device_scalarIT2_EEPKiS8_PKS5_SA_S6_PS5_21rocsparse_index_base_b.num_agpr, 0
	.set _ZN9rocsparseL19gebsrmvn_2xn_kernelILj128ELj8ELj64E21rocsparse_complex_numIfEEEvi20rocsparse_direction_NS_24const_host_device_scalarIT2_EEPKiS8_PKS5_SA_S6_PS5_21rocsparse_index_base_b.numbered_sgpr, 14
	.set _ZN9rocsparseL19gebsrmvn_2xn_kernelILj128ELj8ELj64E21rocsparse_complex_numIfEEEvi20rocsparse_direction_NS_24const_host_device_scalarIT2_EEPKiS8_PKS5_SA_S6_PS5_21rocsparse_index_base_b.num_named_barrier, 0
	.set _ZN9rocsparseL19gebsrmvn_2xn_kernelILj128ELj8ELj64E21rocsparse_complex_numIfEEEvi20rocsparse_direction_NS_24const_host_device_scalarIT2_EEPKiS8_PKS5_SA_S6_PS5_21rocsparse_index_base_b.private_seg_size, 0
	.set _ZN9rocsparseL19gebsrmvn_2xn_kernelILj128ELj8ELj64E21rocsparse_complex_numIfEEEvi20rocsparse_direction_NS_24const_host_device_scalarIT2_EEPKiS8_PKS5_SA_S6_PS5_21rocsparse_index_base_b.uses_vcc, 1
	.set _ZN9rocsparseL19gebsrmvn_2xn_kernelILj128ELj8ELj64E21rocsparse_complex_numIfEEEvi20rocsparse_direction_NS_24const_host_device_scalarIT2_EEPKiS8_PKS5_SA_S6_PS5_21rocsparse_index_base_b.uses_flat_scratch, 1
	.set _ZN9rocsparseL19gebsrmvn_2xn_kernelILj128ELj8ELj64E21rocsparse_complex_numIfEEEvi20rocsparse_direction_NS_24const_host_device_scalarIT2_EEPKiS8_PKS5_SA_S6_PS5_21rocsparse_index_base_b.has_dyn_sized_stack, 0
	.set _ZN9rocsparseL19gebsrmvn_2xn_kernelILj128ELj8ELj64E21rocsparse_complex_numIfEEEvi20rocsparse_direction_NS_24const_host_device_scalarIT2_EEPKiS8_PKS5_SA_S6_PS5_21rocsparse_index_base_b.has_recursion, 0
	.set _ZN9rocsparseL19gebsrmvn_2xn_kernelILj128ELj8ELj64E21rocsparse_complex_numIfEEEvi20rocsparse_direction_NS_24const_host_device_scalarIT2_EEPKiS8_PKS5_SA_S6_PS5_21rocsparse_index_base_b.has_indirect_call, 0
	.section	.AMDGPU.csdata,"",@progbits
; Kernel info:
; codeLenInByte = 2736
; TotalNumSgprs: 16
; NumVgprs: 68
; ScratchSize: 0
; MemoryBound: 0
; FloatMode: 240
; IeeeMode: 1
; LDSByteSize: 0 bytes/workgroup (compile time only)
; SGPRBlocks: 0
; VGPRBlocks: 4
; NumSGPRsForWavesPerEU: 16
; NumVGPRsForWavesPerEU: 68
; NamedBarCnt: 0
; Occupancy: 12
; WaveLimiterHint : 1
; COMPUTE_PGM_RSRC2:SCRATCH_EN: 0
; COMPUTE_PGM_RSRC2:USER_SGPR: 2
; COMPUTE_PGM_RSRC2:TRAP_HANDLER: 0
; COMPUTE_PGM_RSRC2:TGID_X_EN: 1
; COMPUTE_PGM_RSRC2:TGID_Y_EN: 0
; COMPUTE_PGM_RSRC2:TGID_Z_EN: 0
; COMPUTE_PGM_RSRC2:TIDIG_COMP_CNT: 0
	.section	.text._ZN9rocsparseL19gebsrmvn_2xn_kernelILj128ELj9ELj4E21rocsparse_complex_numIfEEEvi20rocsparse_direction_NS_24const_host_device_scalarIT2_EEPKiS8_PKS5_SA_S6_PS5_21rocsparse_index_base_b,"axG",@progbits,_ZN9rocsparseL19gebsrmvn_2xn_kernelILj128ELj9ELj4E21rocsparse_complex_numIfEEEvi20rocsparse_direction_NS_24const_host_device_scalarIT2_EEPKiS8_PKS5_SA_S6_PS5_21rocsparse_index_base_b,comdat
	.globl	_ZN9rocsparseL19gebsrmvn_2xn_kernelILj128ELj9ELj4E21rocsparse_complex_numIfEEEvi20rocsparse_direction_NS_24const_host_device_scalarIT2_EEPKiS8_PKS5_SA_S6_PS5_21rocsparse_index_base_b ; -- Begin function _ZN9rocsparseL19gebsrmvn_2xn_kernelILj128ELj9ELj4E21rocsparse_complex_numIfEEEvi20rocsparse_direction_NS_24const_host_device_scalarIT2_EEPKiS8_PKS5_SA_S6_PS5_21rocsparse_index_base_b
	.p2align	8
	.type	_ZN9rocsparseL19gebsrmvn_2xn_kernelILj128ELj9ELj4E21rocsparse_complex_numIfEEEvi20rocsparse_direction_NS_24const_host_device_scalarIT2_EEPKiS8_PKS5_SA_S6_PS5_21rocsparse_index_base_b,@function
_ZN9rocsparseL19gebsrmvn_2xn_kernelILj128ELj9ELj4E21rocsparse_complex_numIfEEEvi20rocsparse_direction_NS_24const_host_device_scalarIT2_EEPKiS8_PKS5_SA_S6_PS5_21rocsparse_index_base_b: ; @_ZN9rocsparseL19gebsrmvn_2xn_kernelILj128ELj9ELj4E21rocsparse_complex_numIfEEEvi20rocsparse_direction_NS_24const_host_device_scalarIT2_EEPKiS8_PKS5_SA_S6_PS5_21rocsparse_index_base_b
; %bb.0:
	s_clause 0x2
	s_load_b64 s[12:13], s[0:1], 0x40
	s_load_b64 s[2:3], s[0:1], 0x8
	;; [unrolled: 1-line block ×3, first 2 shown]
	v_mov_b32_e32 v1, 0
	s_add_nc_u64 s[6:7], s[0:1], 8
	s_add_nc_u64 s[8:9], s[0:1], 48
	s_wait_kmcnt 0x0
	s_bitcmp1_b32 s13, 0
	s_cselect_b32 s3, s7, s3
	s_cselect_b32 s2, s6, s2
	;; [unrolled: 1-line block ×4, first 2 shown]
	s_clause 0x1
	flat_load_b64 v[2:3], v1, s[2:3]
	flat_load_b64 v[4:5], v1, s[4:5]
	s_wait_loadcnt_dscnt 0x101
	v_cmp_eq_f32_e32 vcc_lo, 0, v2
	v_cmp_eq_f32_e64 s2, 0, v3
	s_wait_loadcnt_dscnt 0x0
	v_cmp_eq_f32_e64 s3, 1.0, v4
	v_cmp_eq_f32_e64 s4, 0, v5
	s_and_b32 s2, vcc_lo, s2
	s_and_b32 s3, s3, s4
	s_delay_alu instid0(SALU_CYCLE_1) | instskip(NEXT) | instid1(SALU_CYCLE_1)
	s_and_b32 s2, s2, s3
	s_xor_b32 s2, s2, -1
	s_delay_alu instid0(SALU_CYCLE_1)
	s_and_saveexec_b32 s3, s2
	s_cbranch_execz .LBB187_19
; %bb.1:
	s_load_b64 s[2:3], s[0:1], 0x0
	s_bfe_u32 s4, ttmp6, 0x4000c
	s_and_b32 s5, ttmp6, 15
	s_add_co_i32 s4, s4, 1
	s_getreg_b32 s6, hwreg(HW_REG_IB_STS2, 6, 4)
	s_mul_i32 s4, ttmp9, s4
	v_lshrrev_b32_e32 v1, 2, v0
	s_add_co_i32 s5, s5, s4
	s_cmp_eq_u32 s6, 0
	s_cselect_b32 s4, ttmp9, s5
	s_delay_alu instid0(VALU_DEP_1) | instid1(SALU_CYCLE_1)
	v_lshl_or_b32 v6, s4, 5, v1
	s_wait_kmcnt 0x0
	s_delay_alu instid0(VALU_DEP_1)
	v_cmp_gt_i32_e32 vcc_lo, s2, v6
	s_and_b32 exec_lo, exec_lo, vcc_lo
	s_cbranch_execz .LBB187_19
; %bb.2:
	s_load_b256 s[4:11], s[0:1], 0x10
	v_ashrrev_i32_e32 v7, 31, v6
	s_cmp_lg_u32 s3, 0
	s_wait_kmcnt 0x0
	s_delay_alu instid0(VALU_DEP_1)
	v_lshl_add_u64 v[8:9], v[6:7], 2, s[4:5]
	v_and_b32_e32 v7, 3, v0
	global_load_b64 v[8:9], v[8:9], off
	s_wait_loadcnt 0x0
	v_subrev_nc_u32_e32 v0, s12, v8
	v_subrev_nc_u32_e32 v14, s12, v9
	s_delay_alu instid0(VALU_DEP_2) | instskip(NEXT) | instid1(VALU_DEP_1)
	v_add_nc_u32_e32 v15, v0, v7
	v_cmp_lt_i32_e64 s2, v15, v14
	s_cbranch_scc0 .LBB187_8
; %bb.3:
	v_mov_b32_e32 v1, 0
	s_delay_alu instid0(VALU_DEP_1)
	v_dual_mov_b32 v0, v1 :: v_dual_mov_b32 v9, v1
	v_mov_b32_e32 v8, v1
	s_and_saveexec_b32 s3, s2
	s_cbranch_execz .LBB187_7
; %bb.4:
	v_mad_u32 v12, v15, 18, 16
	v_dual_mov_b32 v11, 0 :: v_dual_mov_b32 v16, v15
	s_mov_b32 s4, 0
	s_delay_alu instid0(VALU_DEP_1)
	v_dual_mov_b32 v8, v11 :: v_dual_mov_b32 v9, v11
	v_dual_mov_b32 v0, v11 :: v_dual_mov_b32 v1, v11
.LBB187_5:                              ; =>This Inner Loop Header: Depth=1
	global_load_b32 v13, v16, s[6:7] scale_offset
	s_wait_xcnt 0x0
	v_add_nc_u32_e32 v16, 4, v16
	s_delay_alu instid0(VALU_DEP_1) | instskip(SKIP_3) | instid1(VALU_DEP_1)
	v_cmp_ge_i32_e32 vcc_lo, v16, v14
	s_or_b32 s4, vcc_lo, s4
	s_wait_loadcnt 0x0
	v_subrev_nc_u32_e32 v13, s12, v13
	v_lshl_add_u32 v17, v13, 3, v13
	s_delay_alu instid0(VALU_DEP_1) | instskip(NEXT) | instid1(VALU_DEP_1)
	v_dual_add_nc_u32 v10, -16, v12 :: v_dual_add_nc_u32 v13, 1, v17
	v_lshl_add_u64 v[22:23], v[10:11], 3, s[8:9]
	v_add_nc_u32_e32 v10, -14, v12
	global_load_b128 v[18:21], v[22:23], off
	global_load_b64 v[54:55], v17, s[10:11] scale_offset
	v_lshl_add_u64 v[26:27], v[10:11], 3, s[8:9]
	global_load_b128 v[22:25], v[26:27], off
	global_load_b64 v[56:57], v13, s[10:11] scale_offset
	s_wait_xcnt 0x0
	v_dual_add_nc_u32 v10, -12, v12 :: v_dual_add_nc_u32 v13, 2, v17
	s_delay_alu instid0(VALU_DEP_1)
	v_lshl_add_u64 v[30:31], v[10:11], 3, s[8:9]
	v_add_nc_u32_e32 v10, -10, v12
	global_load_b128 v[26:29], v[30:31], off
	global_load_b64 v[58:59], v13, s[10:11] scale_offset
	v_lshl_add_u64 v[34:35], v[10:11], 3, s[8:9]
	s_wait_xcnt 0x0
	v_dual_add_nc_u32 v13, 3, v17 :: v_dual_add_nc_u32 v10, -8, v12
	global_load_b128 v[30:33], v[34:35], off
	global_load_b64 v[60:61], v13, s[10:11] scale_offset
	s_wait_xcnt 0x0
	v_add_nc_u32_e32 v13, 4, v17
	v_lshl_add_u64 v[38:39], v[10:11], 3, s[8:9]
	v_add_nc_u32_e32 v10, -6, v12
	global_load_b128 v[34:37], v[38:39], off
	global_load_b64 v[62:63], v13, s[10:11] scale_offset
	v_lshl_add_u64 v[42:43], v[10:11], 3, s[8:9]
	s_wait_xcnt 0x0
	v_dual_add_nc_u32 v13, 5, v17 :: v_dual_add_nc_u32 v10, -4, v12
	global_load_b128 v[38:41], v[42:43], off
	global_load_b64 v[64:65], v13, s[10:11] scale_offset
	s_wait_xcnt 0x0
	v_add_nc_u32_e32 v13, 6, v17
	v_lshl_add_u64 v[46:47], v[10:11], 3, s[8:9]
	v_add_nc_u32_e32 v10, -2, v12
	global_load_b128 v[42:45], v[46:47], off
	global_load_b64 v[66:67], v13, s[10:11] scale_offset
	v_lshl_add_u64 v[50:51], v[10:11], 3, s[8:9]
	s_wait_xcnt 0x0
	v_dual_mov_b32 v13, v11 :: v_dual_add_nc_u32 v10, 7, v17
	s_delay_alu instid0(VALU_DEP_1) | instskip(SKIP_4) | instid1(VALU_DEP_2)
	v_lshl_add_u64 v[70:71], v[12:13], 3, s[8:9]
	v_add_nc_u32_e32 v12, 0x48, v12
	s_wait_loadcnt 0xc
	v_pk_fma_f32 v[0:1], v[18:19], v[54:55], v[0:1] op_sel_hi:[1,0,1]
	v_pk_fma_f32 v[8:9], v[20:21], v[54:55], v[8:9] op_sel_hi:[1,0,1]
	v_pk_fma_f32 v[0:1], v[18:19], v[54:55], v[0:1] op_sel:[1,1,0] op_sel_hi:[0,1,1] neg_lo:[1,0,0]
	s_wait_loadcnt 0xb
	v_mov_b32_e32 v19, v24
	global_load_b128 v[46:49], v[50:51], off
	global_load_b64 v[68:69], v10, s[10:11] scale_offset
	s_wait_xcnt 0x0
	v_add_nc_u32_e32 v10, 8, v17
	global_load_b128 v[50:53], v[70:71], off
	global_load_b64 v[72:73], v10, s[10:11] scale_offset
	s_wait_xcnt 0x1
	v_xor_b32_e32 v70, 0x80000000, v21
	v_mov_b32_e32 v71, v20
	v_xor_b32_e32 v18, 0x80000000, v25
	s_wait_loadcnt 0xe
	v_pk_fma_f32 v[0:1], v[22:23], v[56:57], v[0:1] op_sel_hi:[1,0,1]
	s_delay_alu instid0(VALU_DEP_3) | instskip(NEXT) | instid1(VALU_DEP_2)
	v_pk_fma_f32 v[8:9], v[70:71], v[54:55], v[8:9] op_sel:[0,1,0]
	v_pk_fma_f32 v[0:1], v[22:23], v[56:57], v[0:1] op_sel:[1,1,0] op_sel_hi:[0,1,1] neg_lo:[1,0,0]
	s_delay_alu instid0(VALU_DEP_2) | instskip(SKIP_1) | instid1(VALU_DEP_2)
	v_pk_fma_f32 v[8:9], v[24:25], v[56:57], v[8:9] op_sel_hi:[1,0,1]
	s_wait_loadcnt 0xc
	v_pk_fma_f32 v[0:1], v[26:27], v[58:59], v[0:1] op_sel_hi:[1,0,1]
	s_delay_alu instid0(VALU_DEP_2) | instskip(SKIP_2) | instid1(VALU_DEP_4)
	v_pk_fma_f32 v[8:9], v[18:19], v[56:57], v[8:9] op_sel:[0,1,0]
	v_xor_b32_e32 v18, 0x80000000, v29
	v_mov_b32_e32 v19, v28
	v_pk_fma_f32 v[0:1], v[26:27], v[58:59], v[0:1] op_sel:[1,1,0] op_sel_hi:[0,1,1] neg_lo:[1,0,0]
	s_delay_alu instid0(VALU_DEP_4) | instskip(SKIP_1) | instid1(VALU_DEP_2)
	v_pk_fma_f32 v[8:9], v[28:29], v[58:59], v[8:9] op_sel_hi:[1,0,1]
	s_wait_loadcnt 0xa
	v_pk_fma_f32 v[0:1], v[30:31], v[60:61], v[0:1] op_sel_hi:[1,0,1]
	s_delay_alu instid0(VALU_DEP_2) | instskip(SKIP_2) | instid1(VALU_DEP_4)
	v_pk_fma_f32 v[8:9], v[18:19], v[58:59], v[8:9] op_sel:[0,1,0]
	v_xor_b32_e32 v18, 0x80000000, v33
	v_mov_b32_e32 v19, v32
	v_pk_fma_f32 v[0:1], v[30:31], v[60:61], v[0:1] op_sel:[1,1,0] op_sel_hi:[0,1,1] neg_lo:[1,0,0]
	s_delay_alu instid0(VALU_DEP_4) | instskip(SKIP_1) | instid1(VALU_DEP_2)
	;; [unrolled: 9-line block ×4, first 2 shown]
	v_pk_fma_f32 v[8:9], v[40:41], v[64:65], v[8:9] op_sel_hi:[1,0,1]
	s_wait_loadcnt 0x4
	v_pk_fma_f32 v[0:1], v[42:43], v[66:67], v[0:1] op_sel_hi:[1,0,1]
	s_delay_alu instid0(VALU_DEP_2) | instskip(SKIP_2) | instid1(VALU_DEP_4)
	v_pk_fma_f32 v[8:9], v[18:19], v[64:65], v[8:9] op_sel:[0,1,0]
	v_xor_b32_e32 v18, 0x80000000, v45
	v_mov_b32_e32 v19, v44
	v_pk_fma_f32 v[0:1], v[42:43], v[66:67], v[0:1] op_sel:[1,1,0] op_sel_hi:[0,1,1] neg_lo:[1,0,0]
	s_delay_alu instid0(VALU_DEP_4) | instskip(NEXT) | instid1(VALU_DEP_1)
	v_pk_fma_f32 v[8:9], v[44:45], v[66:67], v[8:9] op_sel_hi:[1,0,1]
	v_pk_fma_f32 v[8:9], v[18:19], v[66:67], v[8:9] op_sel:[0,1,0]
	s_wait_loadcnt 0x3
	v_xor_b32_e32 v18, 0x80000000, v49
	v_mov_b32_e32 v19, v48
	s_wait_loadcnt 0x2
	v_pk_fma_f32 v[0:1], v[46:47], v[68:69], v[0:1] op_sel_hi:[1,0,1]
	v_pk_fma_f32 v[8:9], v[48:49], v[68:69], v[8:9] op_sel_hi:[1,0,1]
	s_delay_alu instid0(VALU_DEP_2) | instskip(NEXT) | instid1(VALU_DEP_2)
	v_pk_fma_f32 v[0:1], v[46:47], v[68:69], v[0:1] op_sel:[1,1,0] op_sel_hi:[0,1,1] neg_lo:[1,0,0]
	v_pk_fma_f32 v[8:9], v[18:19], v[68:69], v[8:9] op_sel:[0,1,0]
	s_wait_loadcnt 0x1
	v_xor_b32_e32 v18, 0x80000000, v53
	v_mov_b32_e32 v19, v52
	s_wait_loadcnt 0x0
	v_pk_fma_f32 v[0:1], v[50:51], v[72:73], v[0:1] op_sel_hi:[1,0,1]
	v_pk_fma_f32 v[8:9], v[52:53], v[72:73], v[8:9] op_sel_hi:[1,0,1]
	s_delay_alu instid0(VALU_DEP_2) | instskip(NEXT) | instid1(VALU_DEP_2)
	v_pk_fma_f32 v[0:1], v[50:51], v[72:73], v[0:1] op_sel:[1,1,0] op_sel_hi:[0,1,1] neg_lo:[1,0,0]
	v_pk_fma_f32 v[8:9], v[18:19], v[72:73], v[8:9] op_sel:[0,1,0]
	s_and_not1_b32 exec_lo, exec_lo, s4
	s_cbranch_execnz .LBB187_5
; %bb.6:
	s_or_b32 exec_lo, exec_lo, s4
.LBB187_7:
	s_delay_alu instid0(SALU_CYCLE_1)
	s_or_b32 exec_lo, exec_lo, s3
	s_cbranch_execz .LBB187_9
	s_branch .LBB187_14
.LBB187_8:
                                        ; implicit-def: $vgpr1
                                        ; implicit-def: $vgpr9
.LBB187_9:
	v_mov_b32_e32 v1, 0
	s_delay_alu instid0(VALU_DEP_1)
	v_dual_mov_b32 v0, v1 :: v_dual_mov_b32 v9, v1
	v_mov_b32_e32 v8, v1
	s_and_saveexec_b32 s3, s2
	s_cbranch_execz .LBB187_13
; %bb.10:
	v_mad_u32 v12, v15, 18, 17
	v_mov_b32_e32 v11, 0
	s_mov_b32 s2, 0
	s_delay_alu instid0(VALU_DEP_1)
	v_dual_mov_b32 v8, v11 :: v_dual_mov_b32 v9, v11
	v_dual_mov_b32 v0, v11 :: v_dual_mov_b32 v1, v11
.LBB187_11:                             ; =>This Inner Loop Header: Depth=1
	global_load_b32 v13, v15, s[6:7] scale_offset
	v_subrev_nc_u32_e32 v10, 17, v12
	v_dual_add_nc_u32 v26, -8, v12 :: v_dual_add_nc_u32 v27, -7, v12
	v_dual_add_nc_u32 v34, -15, v12 :: v_dual_add_nc_u32 v35, -6, v12
	s_delay_alu instid0(VALU_DEP_3)
	v_lshl_add_u64 v[20:21], v[10:11], 3, s[8:9]
	v_dual_add_nc_u32 v58, -12, v12 :: v_dual_add_nc_u32 v59, -3, v12
	s_clause 0x2
	global_load_b64 v[22:23], v27, s[8:9] scale_offset
	global_load_b64 v[24:25], v26, s[8:9] scale_offset
	global_load_b128 v[16:19], v[20:21], off
	v_dual_add_nc_u32 v60, -11, v12 :: v_dual_add_nc_u32 v61, -2, v12
	s_wait_xcnt 0x3
	v_dual_add_nc_u32 v15, 4, v15 :: v_dual_add_nc_u32 v64, -10, v12
	v_dual_add_nc_u32 v56, -13, v12 :: v_dual_add_nc_u32 v65, -9, v12
	s_delay_alu instid0(VALU_DEP_2) | instskip(SKIP_3) | instid1(VALU_DEP_1)
	v_cmp_ge_i32_e32 vcc_lo, v15, v14
	s_or_b32 s2, vcc_lo, s2
	s_wait_loadcnt 0x3
	v_subrev_nc_u32_e32 v10, s12, v13
	v_lshl_add_u32 v10, v10, 3, v10
	v_dual_add_nc_u32 v40, -14, v12 :: v_dual_add_nc_u32 v57, -4, v12
	s_delay_alu instid0(VALU_DEP_2)
	v_add_nc_u32_e32 v36, 2, v10
	global_load_b64 v[20:21], v10, s[10:11] scale_offset
	v_dual_add_nc_u32 v13, 1, v10 :: v_dual_add_nc_u32 v41, 3, v10
	v_dual_add_nc_u32 v62, 4, v10 :: v_dual_add_nc_u32 v66, 5, v10
	global_load_b64 v[26:27], v13, s[10:11] scale_offset
	s_clause 0x1
	global_load_b64 v[28:29], v34, s[8:9] scale_offset
	global_load_b64 v[30:31], v35, s[8:9] scale_offset
	;; [unrolled: 1-line block ×3, first 2 shown]
	s_wait_xcnt 0x3
	v_add_nc_u32_e32 v13, -5, v12
	s_clause 0x1
	global_load_b64 v[34:35], v40, s[8:9] scale_offset
	global_load_b64 v[36:37], v13, s[8:9] scale_offset
	;; [unrolled: 1-line block ×3, first 2 shown]
	s_clause 0x3
	global_load_b64 v[40:41], v12, s[8:9] scale_offset
	global_load_b64 v[42:43], v56, s[8:9] scale_offset
	;; [unrolled: 1-line block ×5, first 2 shown]
	s_clause 0x2
	global_load_b64 v[50:51], v60, s[8:9] scale_offset
	global_load_b64 v[52:53], v59, s[8:9] scale_offset
	global_load_b64 v[54:55], v61, s[8:9] scale_offset
	v_add_nc_u32_e32 v13, -1, v12
	s_clause 0x2
	global_load_b64 v[56:57], v64, s[8:9] scale_offset
	global_load_b64 v[58:59], v13, s[8:9] scale_offset
	;; [unrolled: 1-line block ×4, first 2 shown]
	s_wait_xcnt 0x2
	v_add_nc_u32_e32 v13, 6, v10
	v_add_nc_u32_e32 v12, 0x48, v12
	global_load_b64 v[64:65], v13, s[10:11] scale_offset
	s_wait_xcnt 0x0
	v_dual_add_nc_u32 v13, 7, v10 :: v_dual_add_nc_u32 v10, 8, v10
	s_wait_loadcnt 0x14
	v_pk_fma_f32 v[8:9], v[24:25], v[20:21], v[8:9] op_sel_hi:[1,0,1]
	v_pk_fma_f32 v[0:1], v[16:17], v[20:21], v[0:1] op_sel_hi:[1,0,1]
	s_delay_alu instid0(VALU_DEP_2) | instskip(NEXT) | instid1(VALU_DEP_2)
	v_pk_fma_f32 v[8:9], v[24:25], v[20:21], v[8:9] op_sel:[1,1,0] op_sel_hi:[0,1,1] neg_lo:[1,0,0]
	v_pk_fma_f32 v[0:1], v[16:17], v[20:21], v[0:1] op_sel:[1,1,0] op_sel_hi:[0,1,1] neg_lo:[1,0,0]
	v_mov_b32_e32 v17, v18
	global_load_b64 v[24:25], v13, s[10:11] scale_offset
	v_xor_b32_e32 v16, 0x80000000, v19
	s_wait_loadcnt 0x14
	v_pk_fma_f32 v[8:9], v[22:23], v[26:27], v[8:9] op_sel_hi:[1,0,1]
	v_pk_fma_f32 v[0:1], v[18:19], v[26:27], v[0:1] op_sel_hi:[1,0,1]
	global_load_b64 v[18:19], v10, s[10:11] scale_offset
	v_pk_fma_f32 v[8:9], v[22:23], v[26:27], v[8:9] op_sel:[1,1,0] op_sel_hi:[0,1,1] neg_lo:[1,0,0]
	v_pk_fma_f32 v[0:1], v[16:17], v[26:27], v[0:1] op_sel:[0,1,0]
	s_wait_loadcnt 0x12
	s_delay_alu instid0(VALU_DEP_2) | instskip(NEXT) | instid1(VALU_DEP_2)
	v_pk_fma_f32 v[8:9], v[30:31], v[32:33], v[8:9] op_sel_hi:[1,0,1]
	v_pk_fma_f32 v[0:1], v[28:29], v[32:33], v[0:1] op_sel_hi:[1,0,1]
	s_delay_alu instid0(VALU_DEP_2) | instskip(NEXT) | instid1(VALU_DEP_2)
	v_pk_fma_f32 v[8:9], v[30:31], v[32:33], v[8:9] op_sel:[1,1,0] op_sel_hi:[0,1,1] neg_lo:[1,0,0]
	v_pk_fma_f32 v[0:1], v[28:29], v[32:33], v[0:1] op_sel:[1,1,0] op_sel_hi:[0,1,1] neg_lo:[1,0,0]
	s_wait_loadcnt 0xf
	s_delay_alu instid0(VALU_DEP_2) | instskip(NEXT) | instid1(VALU_DEP_2)
	v_pk_fma_f32 v[8:9], v[36:37], v[38:39], v[8:9] op_sel_hi:[1,0,1]
	v_pk_fma_f32 v[0:1], v[34:35], v[38:39], v[0:1] op_sel_hi:[1,0,1]
	s_delay_alu instid0(VALU_DEP_2) | instskip(NEXT) | instid1(VALU_DEP_2)
	v_pk_fma_f32 v[8:9], v[36:37], v[38:39], v[8:9] op_sel:[1,1,0] op_sel_hi:[0,1,1] neg_lo:[1,0,0]
	v_pk_fma_f32 v[0:1], v[34:35], v[38:39], v[0:1] op_sel:[1,1,0] op_sel_hi:[0,1,1] neg_lo:[1,0,0]
	;; [unrolled: 7-line block ×5, first 2 shown]
	s_wait_loadcnt 0x1
	s_delay_alu instid0(VALU_DEP_1) | instskip(NEXT) | instid1(VALU_DEP_3)
	v_pk_fma_f32 v[0:1], v[56:57], v[24:25], v[0:1] op_sel_hi:[1,0,1]
	v_pk_fma_f32 v[8:9], v[58:59], v[24:25], v[8:9] op_sel_hi:[1,0,1]
	s_delay_alu instid0(VALU_DEP_2) | instskip(NEXT) | instid1(VALU_DEP_2)
	v_pk_fma_f32 v[0:1], v[56:57], v[24:25], v[0:1] op_sel:[1,1,0] op_sel_hi:[0,1,1] neg_lo:[1,0,0]
	v_pk_fma_f32 v[8:9], v[58:59], v[24:25], v[8:9] op_sel:[1,1,0] op_sel_hi:[0,1,1] neg_lo:[1,0,0]
	s_wait_loadcnt 0x0
	s_delay_alu instid0(VALU_DEP_2) | instskip(NEXT) | instid1(VALU_DEP_2)
	v_pk_fma_f32 v[0:1], v[60:61], v[18:19], v[0:1] op_sel_hi:[1,0,1]
	v_pk_fma_f32 v[8:9], v[40:41], v[18:19], v[8:9] op_sel_hi:[1,0,1]
	s_delay_alu instid0(VALU_DEP_2) | instskip(NEXT) | instid1(VALU_DEP_2)
	v_pk_fma_f32 v[0:1], v[60:61], v[18:19], v[0:1] op_sel:[1,1,0] op_sel_hi:[0,1,1] neg_lo:[1,0,0]
	v_pk_fma_f32 v[8:9], v[40:41], v[18:19], v[8:9] op_sel:[1,1,0] op_sel_hi:[0,1,1] neg_lo:[1,0,0]
	s_and_not1_b32 exec_lo, exec_lo, s2
	s_cbranch_execnz .LBB187_11
; %bb.12:
	s_or_b32 exec_lo, exec_lo, s2
.LBB187_13:
	s_delay_alu instid0(SALU_CYCLE_1)
	s_or_b32 exec_lo, exec_lo, s3
.LBB187_14:
	v_mbcnt_lo_u32_b32 v10, -1, 0
	s_delay_alu instid0(VALU_DEP_1) | instskip(SKIP_1) | instid1(VALU_DEP_1)
	v_xor_b32_e32 v15, 1, v10
	v_xor_b32_e32 v11, 2, v10
	v_cmp_gt_i32_e32 vcc_lo, 32, v11
	v_cndmask_b32_e32 v11, v10, v11, vcc_lo
	s_delay_alu instid0(VALU_DEP_4) | instskip(SKIP_2) | instid1(VALU_DEP_2)
	v_cmp_gt_i32_e32 vcc_lo, 32, v15
	v_cndmask_b32_e32 v10, v10, v15, vcc_lo
	v_cmp_eq_u32_e32 vcc_lo, 3, v7
	v_dual_lshlrev_b32 v15, 2, v10 :: v_dual_lshlrev_b32 v11, 2, v11
	ds_bpermute_b32 v12, v11, v0
	s_wait_dscnt 0x0
	v_add_f32_e32 v0, v0, v12
	ds_bpermute_b32 v13, v11, v1
	ds_bpermute_b32 v14, v11, v8
	;; [unrolled: 1-line block ×4, first 2 shown]
	s_wait_dscnt 0x2
	v_dual_add_f32 v10, v1, v13 :: v_dual_add_f32 v1, v8, v14
	s_wait_dscnt 0x1
	v_add_f32_e32 v9, v9, v11
	ds_bpermute_b32 v13, v15, v10
	ds_bpermute_b32 v8, v15, v1
	;; [unrolled: 1-line block ×3, first 2 shown]
	s_and_b32 exec_lo, exec_lo, vcc_lo
	s_cbranch_execz .LBB187_19
; %bb.15:
	s_load_b64 s[2:3], s[0:1], 0x38
	v_cmp_eq_f32_e32 vcc_lo, 0, v4
	s_wait_xcnt 0x0
	v_cmp_eq_f32_e64 s0, 0, v5
	s_wait_dscnt 0x2
	v_dual_add_f32 v0, v0, v12 :: v_dual_add_f32 v12, v10, v13
	s_wait_dscnt 0x1
	v_add_f32_e32 v8, v1, v8
	s_wait_dscnt 0x0
	v_add_f32_e32 v10, v9, v11
	s_and_b32 s0, vcc_lo, s0
	s_delay_alu instid0(SALU_CYCLE_1) | instskip(NEXT) | instid1(SALU_CYCLE_1)
	s_and_saveexec_b32 s1, s0
	s_xor_b32 s0, exec_lo, s1
	s_cbranch_execz .LBB187_17
; %bb.16:
	v_xor_b32_e32 v4, 0x80000000, v3
	v_dual_mov_b32 v5, v2 :: v_dual_lshlrev_b32 v6, 1, v6
	s_delay_alu instid0(VALU_DEP_1) | instskip(NEXT) | instid1(VALU_DEP_2)
	v_ashrrev_i32_e32 v7, 31, v6
	v_pk_mul_f32 v[12:13], v[12:13], v[4:5] op_sel_hi:[0,1]
	v_pk_mul_f32 v[4:5], v[10:11], v[4:5] op_sel_hi:[0,1]
                                        ; implicit-def: $vgpr10
	s_wait_kmcnt 0x0
	s_delay_alu instid0(VALU_DEP_3) | instskip(NEXT) | instid1(VALU_DEP_3)
	v_lshl_add_u64 v[6:7], v[6:7], 3, s[2:3]
	v_pk_fma_f32 v[0:1], v[2:3], v[0:1], v[12:13] op_sel_hi:[1,0,1]
	s_delay_alu instid0(VALU_DEP_3)
	v_pk_fma_f32 v[2:3], v[2:3], v[8:9], v[4:5] op_sel_hi:[1,0,1]
                                        ; implicit-def: $vgpr4_vgpr5
                                        ; implicit-def: $vgpr12
                                        ; implicit-def: $vgpr8
	global_store_b128 v[6:7], v[0:3], off
                                        ; implicit-def: $vgpr6
                                        ; implicit-def: $vgpr2_vgpr3
                                        ; implicit-def: $vgpr0
.LBB187_17:
	s_wait_xcnt 0x0
	s_and_not1_saveexec_b32 s0, s0
	s_cbranch_execz .LBB187_19
; %bb.18:
	v_dual_mov_b32 v19, v2 :: v_dual_lshlrev_b32 v6, 1, v6
	v_xor_b32_e32 v18, 0x80000000, v3
	s_delay_alu instid0(VALU_DEP_2) | instskip(NEXT) | instid1(VALU_DEP_2)
	v_ashrrev_i32_e32 v7, 31, v6
	v_pk_mul_f32 v[12:13], v[12:13], v[18:19] op_sel_hi:[0,1]
	v_pk_mul_f32 v[10:11], v[10:11], v[18:19] op_sel_hi:[0,1]
	s_delay_alu instid0(VALU_DEP_2) | instskip(NEXT) | instid1(VALU_DEP_2)
	v_pk_fma_f32 v[0:1], v[2:3], v[0:1], v[12:13] op_sel_hi:[1,0,1]
	v_pk_fma_f32 v[2:3], v[2:3], v[8:9], v[10:11] op_sel_hi:[1,0,1]
	v_mov_b32_e32 v9, v4
	s_wait_kmcnt 0x0
	v_lshl_add_u64 v[6:7], v[6:7], 3, s[2:3]
	v_xor_b32_e32 v8, 0x80000000, v5
	global_load_b128 v[14:17], v[6:7], off
	s_wait_loadcnt 0x0
	v_pk_fma_f32 v[0:1], v[4:5], v[14:15], v[0:1] op_sel_hi:[1,0,1]
	v_pk_fma_f32 v[2:3], v[4:5], v[16:17], v[2:3] op_sel_hi:[1,0,1]
	v_mov_b32_e32 v4, v17
	s_delay_alu instid0(VALU_DEP_3) | instskip(NEXT) | instid1(VALU_DEP_2)
	v_pk_fma_f32 v[0:1], v[8:9], v[14:15], v[0:1] op_sel:[0,1,0]
	v_pk_fma_f32 v[2:3], v[8:9], v[4:5], v[2:3] op_sel_hi:[1,0,1]
	global_store_b128 v[6:7], v[0:3], off
.LBB187_19:
	s_sendmsg sendmsg(MSG_DEALLOC_VGPRS)
	s_endpgm
	.section	.rodata,"a",@progbits
	.p2align	6, 0x0
	.amdhsa_kernel _ZN9rocsparseL19gebsrmvn_2xn_kernelILj128ELj9ELj4E21rocsparse_complex_numIfEEEvi20rocsparse_direction_NS_24const_host_device_scalarIT2_EEPKiS8_PKS5_SA_S6_PS5_21rocsparse_index_base_b
		.amdhsa_group_segment_fixed_size 0
		.amdhsa_private_segment_fixed_size 0
		.amdhsa_kernarg_size 72
		.amdhsa_user_sgpr_count 2
		.amdhsa_user_sgpr_dispatch_ptr 0
		.amdhsa_user_sgpr_queue_ptr 0
		.amdhsa_user_sgpr_kernarg_segment_ptr 1
		.amdhsa_user_sgpr_dispatch_id 0
		.amdhsa_user_sgpr_kernarg_preload_length 0
		.amdhsa_user_sgpr_kernarg_preload_offset 0
		.amdhsa_user_sgpr_private_segment_size 0
		.amdhsa_wavefront_size32 1
		.amdhsa_uses_dynamic_stack 0
		.amdhsa_enable_private_segment 0
		.amdhsa_system_sgpr_workgroup_id_x 1
		.amdhsa_system_sgpr_workgroup_id_y 0
		.amdhsa_system_sgpr_workgroup_id_z 0
		.amdhsa_system_sgpr_workgroup_info 0
		.amdhsa_system_vgpr_workitem_id 0
		.amdhsa_next_free_vgpr 74
		.amdhsa_next_free_sgpr 14
		.amdhsa_named_barrier_count 0
		.amdhsa_reserve_vcc 1
		.amdhsa_float_round_mode_32 0
		.amdhsa_float_round_mode_16_64 0
		.amdhsa_float_denorm_mode_32 3
		.amdhsa_float_denorm_mode_16_64 3
		.amdhsa_fp16_overflow 0
		.amdhsa_memory_ordered 1
		.amdhsa_forward_progress 1
		.amdhsa_inst_pref_size 23
		.amdhsa_round_robin_scheduling 0
		.amdhsa_exception_fp_ieee_invalid_op 0
		.amdhsa_exception_fp_denorm_src 0
		.amdhsa_exception_fp_ieee_div_zero 0
		.amdhsa_exception_fp_ieee_overflow 0
		.amdhsa_exception_fp_ieee_underflow 0
		.amdhsa_exception_fp_ieee_inexact 0
		.amdhsa_exception_int_div_zero 0
	.end_amdhsa_kernel
	.section	.text._ZN9rocsparseL19gebsrmvn_2xn_kernelILj128ELj9ELj4E21rocsparse_complex_numIfEEEvi20rocsparse_direction_NS_24const_host_device_scalarIT2_EEPKiS8_PKS5_SA_S6_PS5_21rocsparse_index_base_b,"axG",@progbits,_ZN9rocsparseL19gebsrmvn_2xn_kernelILj128ELj9ELj4E21rocsparse_complex_numIfEEEvi20rocsparse_direction_NS_24const_host_device_scalarIT2_EEPKiS8_PKS5_SA_S6_PS5_21rocsparse_index_base_b,comdat
.Lfunc_end187:
	.size	_ZN9rocsparseL19gebsrmvn_2xn_kernelILj128ELj9ELj4E21rocsparse_complex_numIfEEEvi20rocsparse_direction_NS_24const_host_device_scalarIT2_EEPKiS8_PKS5_SA_S6_PS5_21rocsparse_index_base_b, .Lfunc_end187-_ZN9rocsparseL19gebsrmvn_2xn_kernelILj128ELj9ELj4E21rocsparse_complex_numIfEEEvi20rocsparse_direction_NS_24const_host_device_scalarIT2_EEPKiS8_PKS5_SA_S6_PS5_21rocsparse_index_base_b
                                        ; -- End function
	.set _ZN9rocsparseL19gebsrmvn_2xn_kernelILj128ELj9ELj4E21rocsparse_complex_numIfEEEvi20rocsparse_direction_NS_24const_host_device_scalarIT2_EEPKiS8_PKS5_SA_S6_PS5_21rocsparse_index_base_b.num_vgpr, 74
	.set _ZN9rocsparseL19gebsrmvn_2xn_kernelILj128ELj9ELj4E21rocsparse_complex_numIfEEEvi20rocsparse_direction_NS_24const_host_device_scalarIT2_EEPKiS8_PKS5_SA_S6_PS5_21rocsparse_index_base_b.num_agpr, 0
	.set _ZN9rocsparseL19gebsrmvn_2xn_kernelILj128ELj9ELj4E21rocsparse_complex_numIfEEEvi20rocsparse_direction_NS_24const_host_device_scalarIT2_EEPKiS8_PKS5_SA_S6_PS5_21rocsparse_index_base_b.numbered_sgpr, 14
	.set _ZN9rocsparseL19gebsrmvn_2xn_kernelILj128ELj9ELj4E21rocsparse_complex_numIfEEEvi20rocsparse_direction_NS_24const_host_device_scalarIT2_EEPKiS8_PKS5_SA_S6_PS5_21rocsparse_index_base_b.num_named_barrier, 0
	.set _ZN9rocsparseL19gebsrmvn_2xn_kernelILj128ELj9ELj4E21rocsparse_complex_numIfEEEvi20rocsparse_direction_NS_24const_host_device_scalarIT2_EEPKiS8_PKS5_SA_S6_PS5_21rocsparse_index_base_b.private_seg_size, 0
	.set _ZN9rocsparseL19gebsrmvn_2xn_kernelILj128ELj9ELj4E21rocsparse_complex_numIfEEEvi20rocsparse_direction_NS_24const_host_device_scalarIT2_EEPKiS8_PKS5_SA_S6_PS5_21rocsparse_index_base_b.uses_vcc, 1
	.set _ZN9rocsparseL19gebsrmvn_2xn_kernelILj128ELj9ELj4E21rocsparse_complex_numIfEEEvi20rocsparse_direction_NS_24const_host_device_scalarIT2_EEPKiS8_PKS5_SA_S6_PS5_21rocsparse_index_base_b.uses_flat_scratch, 1
	.set _ZN9rocsparseL19gebsrmvn_2xn_kernelILj128ELj9ELj4E21rocsparse_complex_numIfEEEvi20rocsparse_direction_NS_24const_host_device_scalarIT2_EEPKiS8_PKS5_SA_S6_PS5_21rocsparse_index_base_b.has_dyn_sized_stack, 0
	.set _ZN9rocsparseL19gebsrmvn_2xn_kernelILj128ELj9ELj4E21rocsparse_complex_numIfEEEvi20rocsparse_direction_NS_24const_host_device_scalarIT2_EEPKiS8_PKS5_SA_S6_PS5_21rocsparse_index_base_b.has_recursion, 0
	.set _ZN9rocsparseL19gebsrmvn_2xn_kernelILj128ELj9ELj4E21rocsparse_complex_numIfEEEvi20rocsparse_direction_NS_24const_host_device_scalarIT2_EEPKiS8_PKS5_SA_S6_PS5_21rocsparse_index_base_b.has_indirect_call, 0
	.section	.AMDGPU.csdata,"",@progbits
; Kernel info:
; codeLenInByte = 2916
; TotalNumSgprs: 16
; NumVgprs: 74
; ScratchSize: 0
; MemoryBound: 0
; FloatMode: 240
; IeeeMode: 1
; LDSByteSize: 0 bytes/workgroup (compile time only)
; SGPRBlocks: 0
; VGPRBlocks: 4
; NumSGPRsForWavesPerEU: 16
; NumVGPRsForWavesPerEU: 74
; NamedBarCnt: 0
; Occupancy: 12
; WaveLimiterHint : 1
; COMPUTE_PGM_RSRC2:SCRATCH_EN: 0
; COMPUTE_PGM_RSRC2:USER_SGPR: 2
; COMPUTE_PGM_RSRC2:TRAP_HANDLER: 0
; COMPUTE_PGM_RSRC2:TGID_X_EN: 1
; COMPUTE_PGM_RSRC2:TGID_Y_EN: 0
; COMPUTE_PGM_RSRC2:TGID_Z_EN: 0
; COMPUTE_PGM_RSRC2:TIDIG_COMP_CNT: 0
	.section	.text._ZN9rocsparseL19gebsrmvn_2xn_kernelILj128ELj9ELj8E21rocsparse_complex_numIfEEEvi20rocsparse_direction_NS_24const_host_device_scalarIT2_EEPKiS8_PKS5_SA_S6_PS5_21rocsparse_index_base_b,"axG",@progbits,_ZN9rocsparseL19gebsrmvn_2xn_kernelILj128ELj9ELj8E21rocsparse_complex_numIfEEEvi20rocsparse_direction_NS_24const_host_device_scalarIT2_EEPKiS8_PKS5_SA_S6_PS5_21rocsparse_index_base_b,comdat
	.globl	_ZN9rocsparseL19gebsrmvn_2xn_kernelILj128ELj9ELj8E21rocsparse_complex_numIfEEEvi20rocsparse_direction_NS_24const_host_device_scalarIT2_EEPKiS8_PKS5_SA_S6_PS5_21rocsparse_index_base_b ; -- Begin function _ZN9rocsparseL19gebsrmvn_2xn_kernelILj128ELj9ELj8E21rocsparse_complex_numIfEEEvi20rocsparse_direction_NS_24const_host_device_scalarIT2_EEPKiS8_PKS5_SA_S6_PS5_21rocsparse_index_base_b
	.p2align	8
	.type	_ZN9rocsparseL19gebsrmvn_2xn_kernelILj128ELj9ELj8E21rocsparse_complex_numIfEEEvi20rocsparse_direction_NS_24const_host_device_scalarIT2_EEPKiS8_PKS5_SA_S6_PS5_21rocsparse_index_base_b,@function
_ZN9rocsparseL19gebsrmvn_2xn_kernelILj128ELj9ELj8E21rocsparse_complex_numIfEEEvi20rocsparse_direction_NS_24const_host_device_scalarIT2_EEPKiS8_PKS5_SA_S6_PS5_21rocsparse_index_base_b: ; @_ZN9rocsparseL19gebsrmvn_2xn_kernelILj128ELj9ELj8E21rocsparse_complex_numIfEEEvi20rocsparse_direction_NS_24const_host_device_scalarIT2_EEPKiS8_PKS5_SA_S6_PS5_21rocsparse_index_base_b
; %bb.0:
	s_clause 0x2
	s_load_b64 s[12:13], s[0:1], 0x40
	s_load_b64 s[2:3], s[0:1], 0x8
	;; [unrolled: 1-line block ×3, first 2 shown]
	v_mov_b32_e32 v1, 0
	s_add_nc_u64 s[6:7], s[0:1], 8
	s_add_nc_u64 s[8:9], s[0:1], 48
	s_wait_kmcnt 0x0
	s_bitcmp1_b32 s13, 0
	s_cselect_b32 s3, s7, s3
	s_cselect_b32 s2, s6, s2
	;; [unrolled: 1-line block ×4, first 2 shown]
	s_clause 0x1
	flat_load_b64 v[2:3], v1, s[2:3]
	flat_load_b64 v[4:5], v1, s[4:5]
	s_wait_loadcnt_dscnt 0x101
	v_cmp_eq_f32_e32 vcc_lo, 0, v2
	v_cmp_eq_f32_e64 s2, 0, v3
	s_wait_loadcnt_dscnt 0x0
	v_cmp_eq_f32_e64 s3, 1.0, v4
	v_cmp_eq_f32_e64 s4, 0, v5
	s_and_b32 s2, vcc_lo, s2
	s_and_b32 s3, s3, s4
	s_delay_alu instid0(SALU_CYCLE_1) | instskip(NEXT) | instid1(SALU_CYCLE_1)
	s_and_b32 s2, s2, s3
	s_xor_b32 s2, s2, -1
	s_delay_alu instid0(SALU_CYCLE_1)
	s_and_saveexec_b32 s3, s2
	s_cbranch_execz .LBB188_19
; %bb.1:
	s_load_b64 s[2:3], s[0:1], 0x0
	s_bfe_u32 s4, ttmp6, 0x4000c
	s_and_b32 s5, ttmp6, 15
	s_add_co_i32 s4, s4, 1
	s_getreg_b32 s6, hwreg(HW_REG_IB_STS2, 6, 4)
	s_mul_i32 s4, ttmp9, s4
	v_lshrrev_b32_e32 v1, 3, v0
	s_add_co_i32 s5, s5, s4
	s_cmp_eq_u32 s6, 0
	s_cselect_b32 s4, ttmp9, s5
	s_delay_alu instid0(VALU_DEP_1) | instid1(SALU_CYCLE_1)
	v_lshl_or_b32 v6, s4, 4, v1
	s_wait_kmcnt 0x0
	s_delay_alu instid0(VALU_DEP_1)
	v_cmp_gt_i32_e32 vcc_lo, s2, v6
	s_and_b32 exec_lo, exec_lo, vcc_lo
	s_cbranch_execz .LBB188_19
; %bb.2:
	s_load_b256 s[4:11], s[0:1], 0x10
	v_ashrrev_i32_e32 v7, 31, v6
	s_cmp_lg_u32 s3, 0
	s_wait_kmcnt 0x0
	s_delay_alu instid0(VALU_DEP_1)
	v_lshl_add_u64 v[8:9], v[6:7], 2, s[4:5]
	v_and_b32_e32 v7, 7, v0
	global_load_b64 v[8:9], v[8:9], off
	s_wait_loadcnt 0x0
	v_subrev_nc_u32_e32 v0, s12, v8
	v_subrev_nc_u32_e32 v14, s12, v9
	s_delay_alu instid0(VALU_DEP_2) | instskip(NEXT) | instid1(VALU_DEP_1)
	v_add_nc_u32_e32 v15, v0, v7
	v_cmp_lt_i32_e64 s2, v15, v14
	s_cbranch_scc0 .LBB188_8
; %bb.3:
	v_mov_b32_e32 v1, 0
	s_delay_alu instid0(VALU_DEP_1)
	v_dual_mov_b32 v0, v1 :: v_dual_mov_b32 v9, v1
	v_mov_b32_e32 v8, v1
	s_and_saveexec_b32 s3, s2
	s_cbranch_execz .LBB188_7
; %bb.4:
	v_mad_u32 v12, v15, 18, 16
	v_dual_mov_b32 v11, 0 :: v_dual_mov_b32 v16, v15
	s_mov_b32 s4, 0
	s_delay_alu instid0(VALU_DEP_1)
	v_dual_mov_b32 v8, v11 :: v_dual_mov_b32 v9, v11
	v_dual_mov_b32 v0, v11 :: v_dual_mov_b32 v1, v11
.LBB188_5:                              ; =>This Inner Loop Header: Depth=1
	global_load_b32 v13, v16, s[6:7] scale_offset
	s_wait_xcnt 0x0
	v_add_nc_u32_e32 v16, 8, v16
	s_delay_alu instid0(VALU_DEP_1) | instskip(SKIP_3) | instid1(VALU_DEP_1)
	v_cmp_ge_i32_e32 vcc_lo, v16, v14
	s_or_b32 s4, vcc_lo, s4
	s_wait_loadcnt 0x0
	v_subrev_nc_u32_e32 v13, s12, v13
	v_lshl_add_u32 v17, v13, 3, v13
	s_delay_alu instid0(VALU_DEP_1) | instskip(NEXT) | instid1(VALU_DEP_1)
	v_dual_add_nc_u32 v10, -16, v12 :: v_dual_add_nc_u32 v13, 1, v17
	v_lshl_add_u64 v[22:23], v[10:11], 3, s[8:9]
	v_add_nc_u32_e32 v10, -14, v12
	global_load_b128 v[18:21], v[22:23], off
	global_load_b64 v[54:55], v17, s[10:11] scale_offset
	v_lshl_add_u64 v[26:27], v[10:11], 3, s[8:9]
	global_load_b128 v[22:25], v[26:27], off
	global_load_b64 v[56:57], v13, s[10:11] scale_offset
	s_wait_xcnt 0x0
	v_dual_add_nc_u32 v10, -12, v12 :: v_dual_add_nc_u32 v13, 2, v17
	s_delay_alu instid0(VALU_DEP_1)
	v_lshl_add_u64 v[30:31], v[10:11], 3, s[8:9]
	v_add_nc_u32_e32 v10, -10, v12
	global_load_b128 v[26:29], v[30:31], off
	global_load_b64 v[58:59], v13, s[10:11] scale_offset
	v_lshl_add_u64 v[34:35], v[10:11], 3, s[8:9]
	s_wait_xcnt 0x0
	v_dual_add_nc_u32 v13, 3, v17 :: v_dual_add_nc_u32 v10, -8, v12
	global_load_b128 v[30:33], v[34:35], off
	global_load_b64 v[60:61], v13, s[10:11] scale_offset
	s_wait_xcnt 0x0
	v_add_nc_u32_e32 v13, 4, v17
	v_lshl_add_u64 v[38:39], v[10:11], 3, s[8:9]
	v_add_nc_u32_e32 v10, -6, v12
	global_load_b128 v[34:37], v[38:39], off
	global_load_b64 v[62:63], v13, s[10:11] scale_offset
	v_lshl_add_u64 v[42:43], v[10:11], 3, s[8:9]
	s_wait_xcnt 0x0
	v_dual_add_nc_u32 v13, 5, v17 :: v_dual_add_nc_u32 v10, -4, v12
	global_load_b128 v[38:41], v[42:43], off
	global_load_b64 v[64:65], v13, s[10:11] scale_offset
	s_wait_xcnt 0x0
	v_add_nc_u32_e32 v13, 6, v17
	v_lshl_add_u64 v[46:47], v[10:11], 3, s[8:9]
	v_add_nc_u32_e32 v10, -2, v12
	global_load_b128 v[42:45], v[46:47], off
	global_load_b64 v[66:67], v13, s[10:11] scale_offset
	v_lshl_add_u64 v[50:51], v[10:11], 3, s[8:9]
	s_wait_xcnt 0x0
	v_dual_mov_b32 v13, v11 :: v_dual_add_nc_u32 v10, 7, v17
	s_delay_alu instid0(VALU_DEP_1) | instskip(SKIP_4) | instid1(VALU_DEP_2)
	v_lshl_add_u64 v[70:71], v[12:13], 3, s[8:9]
	v_add_nc_u32_e32 v12, 0x90, v12
	s_wait_loadcnt 0xc
	v_pk_fma_f32 v[0:1], v[18:19], v[54:55], v[0:1] op_sel_hi:[1,0,1]
	v_pk_fma_f32 v[8:9], v[20:21], v[54:55], v[8:9] op_sel_hi:[1,0,1]
	v_pk_fma_f32 v[0:1], v[18:19], v[54:55], v[0:1] op_sel:[1,1,0] op_sel_hi:[0,1,1] neg_lo:[1,0,0]
	s_wait_loadcnt 0xb
	v_mov_b32_e32 v19, v24
	global_load_b128 v[46:49], v[50:51], off
	global_load_b64 v[68:69], v10, s[10:11] scale_offset
	s_wait_xcnt 0x0
	v_add_nc_u32_e32 v10, 8, v17
	global_load_b128 v[50:53], v[70:71], off
	global_load_b64 v[72:73], v10, s[10:11] scale_offset
	s_wait_xcnt 0x1
	v_xor_b32_e32 v70, 0x80000000, v21
	v_mov_b32_e32 v71, v20
	v_xor_b32_e32 v18, 0x80000000, v25
	s_wait_loadcnt 0xe
	v_pk_fma_f32 v[0:1], v[22:23], v[56:57], v[0:1] op_sel_hi:[1,0,1]
	s_delay_alu instid0(VALU_DEP_3) | instskip(NEXT) | instid1(VALU_DEP_2)
	v_pk_fma_f32 v[8:9], v[70:71], v[54:55], v[8:9] op_sel:[0,1,0]
	v_pk_fma_f32 v[0:1], v[22:23], v[56:57], v[0:1] op_sel:[1,1,0] op_sel_hi:[0,1,1] neg_lo:[1,0,0]
	s_delay_alu instid0(VALU_DEP_2) | instskip(SKIP_1) | instid1(VALU_DEP_2)
	v_pk_fma_f32 v[8:9], v[24:25], v[56:57], v[8:9] op_sel_hi:[1,0,1]
	s_wait_loadcnt 0xc
	v_pk_fma_f32 v[0:1], v[26:27], v[58:59], v[0:1] op_sel_hi:[1,0,1]
	s_delay_alu instid0(VALU_DEP_2) | instskip(SKIP_2) | instid1(VALU_DEP_4)
	v_pk_fma_f32 v[8:9], v[18:19], v[56:57], v[8:9] op_sel:[0,1,0]
	v_xor_b32_e32 v18, 0x80000000, v29
	v_mov_b32_e32 v19, v28
	v_pk_fma_f32 v[0:1], v[26:27], v[58:59], v[0:1] op_sel:[1,1,0] op_sel_hi:[0,1,1] neg_lo:[1,0,0]
	s_delay_alu instid0(VALU_DEP_4) | instskip(SKIP_1) | instid1(VALU_DEP_2)
	v_pk_fma_f32 v[8:9], v[28:29], v[58:59], v[8:9] op_sel_hi:[1,0,1]
	s_wait_loadcnt 0xa
	v_pk_fma_f32 v[0:1], v[30:31], v[60:61], v[0:1] op_sel_hi:[1,0,1]
	s_delay_alu instid0(VALU_DEP_2) | instskip(SKIP_2) | instid1(VALU_DEP_4)
	v_pk_fma_f32 v[8:9], v[18:19], v[58:59], v[8:9] op_sel:[0,1,0]
	v_xor_b32_e32 v18, 0x80000000, v33
	v_mov_b32_e32 v19, v32
	v_pk_fma_f32 v[0:1], v[30:31], v[60:61], v[0:1] op_sel:[1,1,0] op_sel_hi:[0,1,1] neg_lo:[1,0,0]
	s_delay_alu instid0(VALU_DEP_4) | instskip(SKIP_1) | instid1(VALU_DEP_2)
	;; [unrolled: 9-line block ×4, first 2 shown]
	v_pk_fma_f32 v[8:9], v[40:41], v[64:65], v[8:9] op_sel_hi:[1,0,1]
	s_wait_loadcnt 0x4
	v_pk_fma_f32 v[0:1], v[42:43], v[66:67], v[0:1] op_sel_hi:[1,0,1]
	s_delay_alu instid0(VALU_DEP_2) | instskip(SKIP_2) | instid1(VALU_DEP_4)
	v_pk_fma_f32 v[8:9], v[18:19], v[64:65], v[8:9] op_sel:[0,1,0]
	v_xor_b32_e32 v18, 0x80000000, v45
	v_mov_b32_e32 v19, v44
	v_pk_fma_f32 v[0:1], v[42:43], v[66:67], v[0:1] op_sel:[1,1,0] op_sel_hi:[0,1,1] neg_lo:[1,0,0]
	s_delay_alu instid0(VALU_DEP_4) | instskip(NEXT) | instid1(VALU_DEP_1)
	v_pk_fma_f32 v[8:9], v[44:45], v[66:67], v[8:9] op_sel_hi:[1,0,1]
	v_pk_fma_f32 v[8:9], v[18:19], v[66:67], v[8:9] op_sel:[0,1,0]
	s_wait_loadcnt 0x3
	v_xor_b32_e32 v18, 0x80000000, v49
	v_mov_b32_e32 v19, v48
	s_wait_loadcnt 0x2
	v_pk_fma_f32 v[0:1], v[46:47], v[68:69], v[0:1] op_sel_hi:[1,0,1]
	v_pk_fma_f32 v[8:9], v[48:49], v[68:69], v[8:9] op_sel_hi:[1,0,1]
	s_delay_alu instid0(VALU_DEP_2) | instskip(NEXT) | instid1(VALU_DEP_2)
	v_pk_fma_f32 v[0:1], v[46:47], v[68:69], v[0:1] op_sel:[1,1,0] op_sel_hi:[0,1,1] neg_lo:[1,0,0]
	v_pk_fma_f32 v[8:9], v[18:19], v[68:69], v[8:9] op_sel:[0,1,0]
	s_wait_loadcnt 0x1
	v_xor_b32_e32 v18, 0x80000000, v53
	v_mov_b32_e32 v19, v52
	s_wait_loadcnt 0x0
	v_pk_fma_f32 v[0:1], v[50:51], v[72:73], v[0:1] op_sel_hi:[1,0,1]
	v_pk_fma_f32 v[8:9], v[52:53], v[72:73], v[8:9] op_sel_hi:[1,0,1]
	s_delay_alu instid0(VALU_DEP_2) | instskip(NEXT) | instid1(VALU_DEP_2)
	v_pk_fma_f32 v[0:1], v[50:51], v[72:73], v[0:1] op_sel:[1,1,0] op_sel_hi:[0,1,1] neg_lo:[1,0,0]
	v_pk_fma_f32 v[8:9], v[18:19], v[72:73], v[8:9] op_sel:[0,1,0]
	s_and_not1_b32 exec_lo, exec_lo, s4
	s_cbranch_execnz .LBB188_5
; %bb.6:
	s_or_b32 exec_lo, exec_lo, s4
.LBB188_7:
	s_delay_alu instid0(SALU_CYCLE_1)
	s_or_b32 exec_lo, exec_lo, s3
	s_cbranch_execz .LBB188_9
	s_branch .LBB188_14
.LBB188_8:
                                        ; implicit-def: $vgpr1
                                        ; implicit-def: $vgpr9
.LBB188_9:
	v_mov_b32_e32 v1, 0
	s_delay_alu instid0(VALU_DEP_1)
	v_dual_mov_b32 v0, v1 :: v_dual_mov_b32 v9, v1
	v_mov_b32_e32 v8, v1
	s_and_saveexec_b32 s3, s2
	s_cbranch_execz .LBB188_13
; %bb.10:
	v_mad_u32 v12, v15, 18, 17
	v_mov_b32_e32 v11, 0
	s_mov_b32 s2, 0
	s_delay_alu instid0(VALU_DEP_1)
	v_dual_mov_b32 v8, v11 :: v_dual_mov_b32 v9, v11
	v_dual_mov_b32 v0, v11 :: v_dual_mov_b32 v1, v11
.LBB188_11:                             ; =>This Inner Loop Header: Depth=1
	global_load_b32 v13, v15, s[6:7] scale_offset
	v_subrev_nc_u32_e32 v10, 17, v12
	v_dual_add_nc_u32 v26, -8, v12 :: v_dual_add_nc_u32 v27, -7, v12
	v_dual_add_nc_u32 v34, -15, v12 :: v_dual_add_nc_u32 v35, -6, v12
	s_delay_alu instid0(VALU_DEP_3)
	v_lshl_add_u64 v[20:21], v[10:11], 3, s[8:9]
	v_dual_add_nc_u32 v58, -12, v12 :: v_dual_add_nc_u32 v59, -3, v12
	s_clause 0x2
	global_load_b64 v[22:23], v27, s[8:9] scale_offset
	global_load_b64 v[24:25], v26, s[8:9] scale_offset
	global_load_b128 v[16:19], v[20:21], off
	v_dual_add_nc_u32 v60, -11, v12 :: v_dual_add_nc_u32 v61, -2, v12
	s_wait_xcnt 0x3
	v_dual_add_nc_u32 v15, 8, v15 :: v_dual_add_nc_u32 v64, -10, v12
	v_dual_add_nc_u32 v56, -13, v12 :: v_dual_add_nc_u32 v65, -9, v12
	s_delay_alu instid0(VALU_DEP_2) | instskip(SKIP_3) | instid1(VALU_DEP_1)
	v_cmp_ge_i32_e32 vcc_lo, v15, v14
	s_or_b32 s2, vcc_lo, s2
	s_wait_loadcnt 0x3
	v_subrev_nc_u32_e32 v10, s12, v13
	v_lshl_add_u32 v10, v10, 3, v10
	v_dual_add_nc_u32 v40, -14, v12 :: v_dual_add_nc_u32 v57, -4, v12
	s_delay_alu instid0(VALU_DEP_2)
	v_add_nc_u32_e32 v36, 2, v10
	global_load_b64 v[20:21], v10, s[10:11] scale_offset
	v_dual_add_nc_u32 v13, 1, v10 :: v_dual_add_nc_u32 v41, 3, v10
	v_dual_add_nc_u32 v62, 4, v10 :: v_dual_add_nc_u32 v66, 5, v10
	global_load_b64 v[26:27], v13, s[10:11] scale_offset
	s_clause 0x1
	global_load_b64 v[28:29], v34, s[8:9] scale_offset
	global_load_b64 v[30:31], v35, s[8:9] scale_offset
	global_load_b64 v[32:33], v36, s[10:11] scale_offset
	s_wait_xcnt 0x3
	v_add_nc_u32_e32 v13, -5, v12
	s_clause 0x1
	global_load_b64 v[34:35], v40, s[8:9] scale_offset
	global_load_b64 v[36:37], v13, s[8:9] scale_offset
	;; [unrolled: 1-line block ×3, first 2 shown]
	s_clause 0x3
	global_load_b64 v[40:41], v12, s[8:9] scale_offset
	global_load_b64 v[42:43], v56, s[8:9] scale_offset
	;; [unrolled: 1-line block ×5, first 2 shown]
	s_clause 0x2
	global_load_b64 v[50:51], v60, s[8:9] scale_offset
	global_load_b64 v[52:53], v59, s[8:9] scale_offset
	;; [unrolled: 1-line block ×3, first 2 shown]
	v_add_nc_u32_e32 v13, -1, v12
	s_clause 0x2
	global_load_b64 v[56:57], v64, s[8:9] scale_offset
	global_load_b64 v[58:59], v13, s[8:9] scale_offset
	;; [unrolled: 1-line block ×4, first 2 shown]
	s_wait_xcnt 0x2
	v_add_nc_u32_e32 v13, 6, v10
	v_add_nc_u32_e32 v12, 0x90, v12
	global_load_b64 v[64:65], v13, s[10:11] scale_offset
	s_wait_xcnt 0x0
	v_dual_add_nc_u32 v13, 7, v10 :: v_dual_add_nc_u32 v10, 8, v10
	s_wait_loadcnt 0x14
	v_pk_fma_f32 v[8:9], v[24:25], v[20:21], v[8:9] op_sel_hi:[1,0,1]
	v_pk_fma_f32 v[0:1], v[16:17], v[20:21], v[0:1] op_sel_hi:[1,0,1]
	s_delay_alu instid0(VALU_DEP_2) | instskip(NEXT) | instid1(VALU_DEP_2)
	v_pk_fma_f32 v[8:9], v[24:25], v[20:21], v[8:9] op_sel:[1,1,0] op_sel_hi:[0,1,1] neg_lo:[1,0,0]
	v_pk_fma_f32 v[0:1], v[16:17], v[20:21], v[0:1] op_sel:[1,1,0] op_sel_hi:[0,1,1] neg_lo:[1,0,0]
	v_mov_b32_e32 v17, v18
	global_load_b64 v[24:25], v13, s[10:11] scale_offset
	v_xor_b32_e32 v16, 0x80000000, v19
	s_wait_loadcnt 0x14
	v_pk_fma_f32 v[8:9], v[22:23], v[26:27], v[8:9] op_sel_hi:[1,0,1]
	v_pk_fma_f32 v[0:1], v[18:19], v[26:27], v[0:1] op_sel_hi:[1,0,1]
	global_load_b64 v[18:19], v10, s[10:11] scale_offset
	v_pk_fma_f32 v[8:9], v[22:23], v[26:27], v[8:9] op_sel:[1,1,0] op_sel_hi:[0,1,1] neg_lo:[1,0,0]
	v_pk_fma_f32 v[0:1], v[16:17], v[26:27], v[0:1] op_sel:[0,1,0]
	s_wait_loadcnt 0x12
	s_delay_alu instid0(VALU_DEP_2) | instskip(NEXT) | instid1(VALU_DEP_2)
	v_pk_fma_f32 v[8:9], v[30:31], v[32:33], v[8:9] op_sel_hi:[1,0,1]
	v_pk_fma_f32 v[0:1], v[28:29], v[32:33], v[0:1] op_sel_hi:[1,0,1]
	s_delay_alu instid0(VALU_DEP_2) | instskip(NEXT) | instid1(VALU_DEP_2)
	v_pk_fma_f32 v[8:9], v[30:31], v[32:33], v[8:9] op_sel:[1,1,0] op_sel_hi:[0,1,1] neg_lo:[1,0,0]
	v_pk_fma_f32 v[0:1], v[28:29], v[32:33], v[0:1] op_sel:[1,1,0] op_sel_hi:[0,1,1] neg_lo:[1,0,0]
	s_wait_loadcnt 0xf
	s_delay_alu instid0(VALU_DEP_2) | instskip(NEXT) | instid1(VALU_DEP_2)
	v_pk_fma_f32 v[8:9], v[36:37], v[38:39], v[8:9] op_sel_hi:[1,0,1]
	v_pk_fma_f32 v[0:1], v[34:35], v[38:39], v[0:1] op_sel_hi:[1,0,1]
	s_delay_alu instid0(VALU_DEP_2) | instskip(NEXT) | instid1(VALU_DEP_2)
	v_pk_fma_f32 v[8:9], v[36:37], v[38:39], v[8:9] op_sel:[1,1,0] op_sel_hi:[0,1,1] neg_lo:[1,0,0]
	v_pk_fma_f32 v[0:1], v[34:35], v[38:39], v[0:1] op_sel:[1,1,0] op_sel_hi:[0,1,1] neg_lo:[1,0,0]
	;; [unrolled: 7-line block ×5, first 2 shown]
	s_wait_loadcnt 0x1
	s_delay_alu instid0(VALU_DEP_1) | instskip(NEXT) | instid1(VALU_DEP_3)
	v_pk_fma_f32 v[0:1], v[56:57], v[24:25], v[0:1] op_sel_hi:[1,0,1]
	v_pk_fma_f32 v[8:9], v[58:59], v[24:25], v[8:9] op_sel_hi:[1,0,1]
	s_delay_alu instid0(VALU_DEP_2) | instskip(NEXT) | instid1(VALU_DEP_2)
	v_pk_fma_f32 v[0:1], v[56:57], v[24:25], v[0:1] op_sel:[1,1,0] op_sel_hi:[0,1,1] neg_lo:[1,0,0]
	v_pk_fma_f32 v[8:9], v[58:59], v[24:25], v[8:9] op_sel:[1,1,0] op_sel_hi:[0,1,1] neg_lo:[1,0,0]
	s_wait_loadcnt 0x0
	s_delay_alu instid0(VALU_DEP_2) | instskip(NEXT) | instid1(VALU_DEP_2)
	v_pk_fma_f32 v[0:1], v[60:61], v[18:19], v[0:1] op_sel_hi:[1,0,1]
	v_pk_fma_f32 v[8:9], v[40:41], v[18:19], v[8:9] op_sel_hi:[1,0,1]
	s_delay_alu instid0(VALU_DEP_2) | instskip(NEXT) | instid1(VALU_DEP_2)
	v_pk_fma_f32 v[0:1], v[60:61], v[18:19], v[0:1] op_sel:[1,1,0] op_sel_hi:[0,1,1] neg_lo:[1,0,0]
	v_pk_fma_f32 v[8:9], v[40:41], v[18:19], v[8:9] op_sel:[1,1,0] op_sel_hi:[0,1,1] neg_lo:[1,0,0]
	s_and_not1_b32 exec_lo, exec_lo, s2
	s_cbranch_execnz .LBB188_11
; %bb.12:
	s_or_b32 exec_lo, exec_lo, s2
.LBB188_13:
	s_delay_alu instid0(SALU_CYCLE_1)
	s_or_b32 exec_lo, exec_lo, s3
.LBB188_14:
	v_mbcnt_lo_u32_b32 v10, -1, 0
	s_delay_alu instid0(VALU_DEP_1) | instskip(SKIP_1) | instid1(VALU_DEP_1)
	v_xor_b32_e32 v15, 2, v10
	v_xor_b32_e32 v11, 4, v10
	v_cmp_gt_i32_e32 vcc_lo, 32, v11
	v_cndmask_b32_e32 v11, v10, v11, vcc_lo
	s_delay_alu instid0(VALU_DEP_1)
	v_lshlrev_b32_e32 v11, 2, v11
	ds_bpermute_b32 v13, v11, v1
	s_wait_dscnt 0x0
	v_add_f32_e32 v1, v1, v13
	ds_bpermute_b32 v12, v11, v0
	ds_bpermute_b32 v14, v11, v8
	ds_bpermute_b32 v11, v11, v9
	s_wait_dscnt 0x2
	v_add_f32_e32 v0, v0, v12
	s_wait_dscnt 0x0
	v_dual_add_f32 v12, v8, v14 :: v_dual_add_f32 v9, v9, v11
	v_cmp_gt_i32_e32 vcc_lo, 32, v15
	v_cndmask_b32_e32 v15, v10, v15, vcc_lo
	s_delay_alu instid0(VALU_DEP_1)
	v_lshlrev_b32_e32 v15, 2, v15
	ds_bpermute_b32 v8, v15, v0
	ds_bpermute_b32 v11, v15, v1
	ds_bpermute_b32 v13, v15, v12
	ds_bpermute_b32 v14, v15, v9
	s_wait_dscnt 0x3
	v_dual_add_f32 v0, v0, v8 :: v_dual_bitop2_b32 v15, 1, v10 bitop3:0x14
	s_delay_alu instid0(VALU_DEP_1)
	v_cmp_gt_i32_e32 vcc_lo, 32, v15
	s_wait_dscnt 0x1
	v_dual_add_f32 v8, v1, v11 :: v_dual_add_f32 v1, v12, v13
	s_wait_dscnt 0x0
	v_dual_add_f32 v9, v9, v14 :: v_dual_cndmask_b32 v10, v10, v15
	v_cmp_eq_u32_e32 vcc_lo, 7, v7
	s_delay_alu instid0(VALU_DEP_2)
	v_lshlrev_b32_e32 v15, 2, v10
	ds_bpermute_b32 v12, v15, v0
	ds_bpermute_b32 v13, v15, v8
	;; [unrolled: 1-line block ×4, first 2 shown]
	s_and_b32 exec_lo, exec_lo, vcc_lo
	s_cbranch_execz .LBB188_19
; %bb.15:
	s_load_b64 s[2:3], s[0:1], 0x38
	v_cmp_eq_f32_e32 vcc_lo, 0, v4
	s_wait_xcnt 0x0
	v_cmp_eq_f32_e64 s0, 0, v5
	s_wait_dscnt 0x3
	v_add_f32_e32 v0, v0, v12
	s_wait_dscnt 0x1
	v_dual_add_f32 v12, v8, v13 :: v_dual_add_f32 v8, v1, v10
	s_wait_dscnt 0x0
	v_add_f32_e32 v10, v9, v11
	s_and_b32 s0, vcc_lo, s0
	s_delay_alu instid0(SALU_CYCLE_1) | instskip(NEXT) | instid1(SALU_CYCLE_1)
	s_and_saveexec_b32 s1, s0
	s_xor_b32 s0, exec_lo, s1
	s_cbranch_execz .LBB188_17
; %bb.16:
	v_xor_b32_e32 v4, 0x80000000, v3
	v_dual_mov_b32 v5, v2 :: v_dual_lshlrev_b32 v6, 1, v6
	s_delay_alu instid0(VALU_DEP_1) | instskip(NEXT) | instid1(VALU_DEP_2)
	v_ashrrev_i32_e32 v7, 31, v6
	v_pk_mul_f32 v[12:13], v[12:13], v[4:5] op_sel_hi:[0,1]
	v_pk_mul_f32 v[4:5], v[10:11], v[4:5] op_sel_hi:[0,1]
                                        ; implicit-def: $vgpr10
	s_wait_kmcnt 0x0
	s_delay_alu instid0(VALU_DEP_3) | instskip(NEXT) | instid1(VALU_DEP_3)
	v_lshl_add_u64 v[6:7], v[6:7], 3, s[2:3]
	v_pk_fma_f32 v[0:1], v[2:3], v[0:1], v[12:13] op_sel_hi:[1,0,1]
	s_delay_alu instid0(VALU_DEP_3)
	v_pk_fma_f32 v[2:3], v[2:3], v[8:9], v[4:5] op_sel_hi:[1,0,1]
                                        ; implicit-def: $vgpr4_vgpr5
                                        ; implicit-def: $vgpr12
                                        ; implicit-def: $vgpr8
	global_store_b128 v[6:7], v[0:3], off
                                        ; implicit-def: $vgpr6
                                        ; implicit-def: $vgpr2_vgpr3
                                        ; implicit-def: $vgpr0
.LBB188_17:
	s_wait_xcnt 0x0
	s_and_not1_saveexec_b32 s0, s0
	s_cbranch_execz .LBB188_19
; %bb.18:
	v_dual_mov_b32 v19, v2 :: v_dual_lshlrev_b32 v6, 1, v6
	v_xor_b32_e32 v18, 0x80000000, v3
	s_delay_alu instid0(VALU_DEP_2) | instskip(NEXT) | instid1(VALU_DEP_2)
	v_ashrrev_i32_e32 v7, 31, v6
	v_pk_mul_f32 v[12:13], v[12:13], v[18:19] op_sel_hi:[0,1]
	v_pk_mul_f32 v[10:11], v[10:11], v[18:19] op_sel_hi:[0,1]
	s_delay_alu instid0(VALU_DEP_2) | instskip(NEXT) | instid1(VALU_DEP_2)
	v_pk_fma_f32 v[0:1], v[2:3], v[0:1], v[12:13] op_sel_hi:[1,0,1]
	v_pk_fma_f32 v[2:3], v[2:3], v[8:9], v[10:11] op_sel_hi:[1,0,1]
	v_mov_b32_e32 v9, v4
	s_wait_kmcnt 0x0
	v_lshl_add_u64 v[6:7], v[6:7], 3, s[2:3]
	v_xor_b32_e32 v8, 0x80000000, v5
	global_load_b128 v[14:17], v[6:7], off
	s_wait_loadcnt 0x0
	v_pk_fma_f32 v[0:1], v[4:5], v[14:15], v[0:1] op_sel_hi:[1,0,1]
	v_pk_fma_f32 v[2:3], v[4:5], v[16:17], v[2:3] op_sel_hi:[1,0,1]
	v_mov_b32_e32 v4, v17
	s_delay_alu instid0(VALU_DEP_3) | instskip(NEXT) | instid1(VALU_DEP_2)
	v_pk_fma_f32 v[0:1], v[8:9], v[14:15], v[0:1] op_sel:[0,1,0]
	v_pk_fma_f32 v[2:3], v[8:9], v[4:5], v[2:3] op_sel_hi:[1,0,1]
	global_store_b128 v[6:7], v[0:3], off
.LBB188_19:
	s_sendmsg sendmsg(MSG_DEALLOC_VGPRS)
	s_endpgm
	.section	.rodata,"a",@progbits
	.p2align	6, 0x0
	.amdhsa_kernel _ZN9rocsparseL19gebsrmvn_2xn_kernelILj128ELj9ELj8E21rocsparse_complex_numIfEEEvi20rocsparse_direction_NS_24const_host_device_scalarIT2_EEPKiS8_PKS5_SA_S6_PS5_21rocsparse_index_base_b
		.amdhsa_group_segment_fixed_size 0
		.amdhsa_private_segment_fixed_size 0
		.amdhsa_kernarg_size 72
		.amdhsa_user_sgpr_count 2
		.amdhsa_user_sgpr_dispatch_ptr 0
		.amdhsa_user_sgpr_queue_ptr 0
		.amdhsa_user_sgpr_kernarg_segment_ptr 1
		.amdhsa_user_sgpr_dispatch_id 0
		.amdhsa_user_sgpr_kernarg_preload_length 0
		.amdhsa_user_sgpr_kernarg_preload_offset 0
		.amdhsa_user_sgpr_private_segment_size 0
		.amdhsa_wavefront_size32 1
		.amdhsa_uses_dynamic_stack 0
		.amdhsa_enable_private_segment 0
		.amdhsa_system_sgpr_workgroup_id_x 1
		.amdhsa_system_sgpr_workgroup_id_y 0
		.amdhsa_system_sgpr_workgroup_id_z 0
		.amdhsa_system_sgpr_workgroup_info 0
		.amdhsa_system_vgpr_workitem_id 0
		.amdhsa_next_free_vgpr 74
		.amdhsa_next_free_sgpr 14
		.amdhsa_named_barrier_count 0
		.amdhsa_reserve_vcc 1
		.amdhsa_float_round_mode_32 0
		.amdhsa_float_round_mode_16_64 0
		.amdhsa_float_denorm_mode_32 3
		.amdhsa_float_denorm_mode_16_64 3
		.amdhsa_fp16_overflow 0
		.amdhsa_memory_ordered 1
		.amdhsa_forward_progress 1
		.amdhsa_inst_pref_size 24
		.amdhsa_round_robin_scheduling 0
		.amdhsa_exception_fp_ieee_invalid_op 0
		.amdhsa_exception_fp_denorm_src 0
		.amdhsa_exception_fp_ieee_div_zero 0
		.amdhsa_exception_fp_ieee_overflow 0
		.amdhsa_exception_fp_ieee_underflow 0
		.amdhsa_exception_fp_ieee_inexact 0
		.amdhsa_exception_int_div_zero 0
	.end_amdhsa_kernel
	.section	.text._ZN9rocsparseL19gebsrmvn_2xn_kernelILj128ELj9ELj8E21rocsparse_complex_numIfEEEvi20rocsparse_direction_NS_24const_host_device_scalarIT2_EEPKiS8_PKS5_SA_S6_PS5_21rocsparse_index_base_b,"axG",@progbits,_ZN9rocsparseL19gebsrmvn_2xn_kernelILj128ELj9ELj8E21rocsparse_complex_numIfEEEvi20rocsparse_direction_NS_24const_host_device_scalarIT2_EEPKiS8_PKS5_SA_S6_PS5_21rocsparse_index_base_b,comdat
.Lfunc_end188:
	.size	_ZN9rocsparseL19gebsrmvn_2xn_kernelILj128ELj9ELj8E21rocsparse_complex_numIfEEEvi20rocsparse_direction_NS_24const_host_device_scalarIT2_EEPKiS8_PKS5_SA_S6_PS5_21rocsparse_index_base_b, .Lfunc_end188-_ZN9rocsparseL19gebsrmvn_2xn_kernelILj128ELj9ELj8E21rocsparse_complex_numIfEEEvi20rocsparse_direction_NS_24const_host_device_scalarIT2_EEPKiS8_PKS5_SA_S6_PS5_21rocsparse_index_base_b
                                        ; -- End function
	.set _ZN9rocsparseL19gebsrmvn_2xn_kernelILj128ELj9ELj8E21rocsparse_complex_numIfEEEvi20rocsparse_direction_NS_24const_host_device_scalarIT2_EEPKiS8_PKS5_SA_S6_PS5_21rocsparse_index_base_b.num_vgpr, 74
	.set _ZN9rocsparseL19gebsrmvn_2xn_kernelILj128ELj9ELj8E21rocsparse_complex_numIfEEEvi20rocsparse_direction_NS_24const_host_device_scalarIT2_EEPKiS8_PKS5_SA_S6_PS5_21rocsparse_index_base_b.num_agpr, 0
	.set _ZN9rocsparseL19gebsrmvn_2xn_kernelILj128ELj9ELj8E21rocsparse_complex_numIfEEEvi20rocsparse_direction_NS_24const_host_device_scalarIT2_EEPKiS8_PKS5_SA_S6_PS5_21rocsparse_index_base_b.numbered_sgpr, 14
	.set _ZN9rocsparseL19gebsrmvn_2xn_kernelILj128ELj9ELj8E21rocsparse_complex_numIfEEEvi20rocsparse_direction_NS_24const_host_device_scalarIT2_EEPKiS8_PKS5_SA_S6_PS5_21rocsparse_index_base_b.num_named_barrier, 0
	.set _ZN9rocsparseL19gebsrmvn_2xn_kernelILj128ELj9ELj8E21rocsparse_complex_numIfEEEvi20rocsparse_direction_NS_24const_host_device_scalarIT2_EEPKiS8_PKS5_SA_S6_PS5_21rocsparse_index_base_b.private_seg_size, 0
	.set _ZN9rocsparseL19gebsrmvn_2xn_kernelILj128ELj9ELj8E21rocsparse_complex_numIfEEEvi20rocsparse_direction_NS_24const_host_device_scalarIT2_EEPKiS8_PKS5_SA_S6_PS5_21rocsparse_index_base_b.uses_vcc, 1
	.set _ZN9rocsparseL19gebsrmvn_2xn_kernelILj128ELj9ELj8E21rocsparse_complex_numIfEEEvi20rocsparse_direction_NS_24const_host_device_scalarIT2_EEPKiS8_PKS5_SA_S6_PS5_21rocsparse_index_base_b.uses_flat_scratch, 1
	.set _ZN9rocsparseL19gebsrmvn_2xn_kernelILj128ELj9ELj8E21rocsparse_complex_numIfEEEvi20rocsparse_direction_NS_24const_host_device_scalarIT2_EEPKiS8_PKS5_SA_S6_PS5_21rocsparse_index_base_b.has_dyn_sized_stack, 0
	.set _ZN9rocsparseL19gebsrmvn_2xn_kernelILj128ELj9ELj8E21rocsparse_complex_numIfEEEvi20rocsparse_direction_NS_24const_host_device_scalarIT2_EEPKiS8_PKS5_SA_S6_PS5_21rocsparse_index_base_b.has_recursion, 0
	.set _ZN9rocsparseL19gebsrmvn_2xn_kernelILj128ELj9ELj8E21rocsparse_complex_numIfEEEvi20rocsparse_direction_NS_24const_host_device_scalarIT2_EEPKiS8_PKS5_SA_S6_PS5_21rocsparse_index_base_b.has_indirect_call, 0
	.section	.AMDGPU.csdata,"",@progbits
; Kernel info:
; codeLenInByte = 3004
; TotalNumSgprs: 16
; NumVgprs: 74
; ScratchSize: 0
; MemoryBound: 0
; FloatMode: 240
; IeeeMode: 1
; LDSByteSize: 0 bytes/workgroup (compile time only)
; SGPRBlocks: 0
; VGPRBlocks: 4
; NumSGPRsForWavesPerEU: 16
; NumVGPRsForWavesPerEU: 74
; NamedBarCnt: 0
; Occupancy: 12
; WaveLimiterHint : 1
; COMPUTE_PGM_RSRC2:SCRATCH_EN: 0
; COMPUTE_PGM_RSRC2:USER_SGPR: 2
; COMPUTE_PGM_RSRC2:TRAP_HANDLER: 0
; COMPUTE_PGM_RSRC2:TGID_X_EN: 1
; COMPUTE_PGM_RSRC2:TGID_Y_EN: 0
; COMPUTE_PGM_RSRC2:TGID_Z_EN: 0
; COMPUTE_PGM_RSRC2:TIDIG_COMP_CNT: 0
	.section	.text._ZN9rocsparseL19gebsrmvn_2xn_kernelILj128ELj9ELj16E21rocsparse_complex_numIfEEEvi20rocsparse_direction_NS_24const_host_device_scalarIT2_EEPKiS8_PKS5_SA_S6_PS5_21rocsparse_index_base_b,"axG",@progbits,_ZN9rocsparseL19gebsrmvn_2xn_kernelILj128ELj9ELj16E21rocsparse_complex_numIfEEEvi20rocsparse_direction_NS_24const_host_device_scalarIT2_EEPKiS8_PKS5_SA_S6_PS5_21rocsparse_index_base_b,comdat
	.globl	_ZN9rocsparseL19gebsrmvn_2xn_kernelILj128ELj9ELj16E21rocsparse_complex_numIfEEEvi20rocsparse_direction_NS_24const_host_device_scalarIT2_EEPKiS8_PKS5_SA_S6_PS5_21rocsparse_index_base_b ; -- Begin function _ZN9rocsparseL19gebsrmvn_2xn_kernelILj128ELj9ELj16E21rocsparse_complex_numIfEEEvi20rocsparse_direction_NS_24const_host_device_scalarIT2_EEPKiS8_PKS5_SA_S6_PS5_21rocsparse_index_base_b
	.p2align	8
	.type	_ZN9rocsparseL19gebsrmvn_2xn_kernelILj128ELj9ELj16E21rocsparse_complex_numIfEEEvi20rocsparse_direction_NS_24const_host_device_scalarIT2_EEPKiS8_PKS5_SA_S6_PS5_21rocsparse_index_base_b,@function
_ZN9rocsparseL19gebsrmvn_2xn_kernelILj128ELj9ELj16E21rocsparse_complex_numIfEEEvi20rocsparse_direction_NS_24const_host_device_scalarIT2_EEPKiS8_PKS5_SA_S6_PS5_21rocsparse_index_base_b: ; @_ZN9rocsparseL19gebsrmvn_2xn_kernelILj128ELj9ELj16E21rocsparse_complex_numIfEEEvi20rocsparse_direction_NS_24const_host_device_scalarIT2_EEPKiS8_PKS5_SA_S6_PS5_21rocsparse_index_base_b
; %bb.0:
	s_clause 0x2
	s_load_b64 s[12:13], s[0:1], 0x40
	s_load_b64 s[2:3], s[0:1], 0x8
	;; [unrolled: 1-line block ×3, first 2 shown]
	v_mov_b32_e32 v1, 0
	s_add_nc_u64 s[6:7], s[0:1], 8
	s_add_nc_u64 s[8:9], s[0:1], 48
	s_wait_kmcnt 0x0
	s_bitcmp1_b32 s13, 0
	s_cselect_b32 s3, s7, s3
	s_cselect_b32 s2, s6, s2
	;; [unrolled: 1-line block ×4, first 2 shown]
	s_clause 0x1
	flat_load_b64 v[2:3], v1, s[2:3]
	flat_load_b64 v[4:5], v1, s[4:5]
	s_wait_loadcnt_dscnt 0x101
	v_cmp_eq_f32_e32 vcc_lo, 0, v2
	v_cmp_eq_f32_e64 s2, 0, v3
	s_wait_loadcnt_dscnt 0x0
	v_cmp_eq_f32_e64 s3, 1.0, v4
	v_cmp_eq_f32_e64 s4, 0, v5
	s_and_b32 s2, vcc_lo, s2
	s_and_b32 s3, s3, s4
	s_delay_alu instid0(SALU_CYCLE_1) | instskip(NEXT) | instid1(SALU_CYCLE_1)
	s_and_b32 s2, s2, s3
	s_xor_b32 s2, s2, -1
	s_delay_alu instid0(SALU_CYCLE_1)
	s_and_saveexec_b32 s3, s2
	s_cbranch_execz .LBB189_19
; %bb.1:
	s_load_b64 s[2:3], s[0:1], 0x0
	s_bfe_u32 s4, ttmp6, 0x4000c
	s_and_b32 s5, ttmp6, 15
	s_add_co_i32 s4, s4, 1
	s_getreg_b32 s6, hwreg(HW_REG_IB_STS2, 6, 4)
	s_mul_i32 s4, ttmp9, s4
	v_lshrrev_b32_e32 v1, 4, v0
	s_add_co_i32 s5, s5, s4
	s_cmp_eq_u32 s6, 0
	s_cselect_b32 s4, ttmp9, s5
	s_delay_alu instid0(VALU_DEP_1) | instid1(SALU_CYCLE_1)
	v_lshl_or_b32 v6, s4, 3, v1
	s_wait_kmcnt 0x0
	s_delay_alu instid0(VALU_DEP_1)
	v_cmp_gt_i32_e32 vcc_lo, s2, v6
	s_and_b32 exec_lo, exec_lo, vcc_lo
	s_cbranch_execz .LBB189_19
; %bb.2:
	s_load_b256 s[4:11], s[0:1], 0x10
	v_ashrrev_i32_e32 v7, 31, v6
	s_cmp_lg_u32 s3, 0
	s_wait_kmcnt 0x0
	s_delay_alu instid0(VALU_DEP_1)
	v_lshl_add_u64 v[8:9], v[6:7], 2, s[4:5]
	v_and_b32_e32 v7, 15, v0
	global_load_b64 v[8:9], v[8:9], off
	s_wait_loadcnt 0x0
	v_subrev_nc_u32_e32 v0, s12, v8
	v_subrev_nc_u32_e32 v14, s12, v9
	s_delay_alu instid0(VALU_DEP_2) | instskip(NEXT) | instid1(VALU_DEP_1)
	v_add_nc_u32_e32 v15, v0, v7
	v_cmp_lt_i32_e64 s2, v15, v14
	s_cbranch_scc0 .LBB189_8
; %bb.3:
	v_mov_b32_e32 v1, 0
	s_delay_alu instid0(VALU_DEP_1)
	v_dual_mov_b32 v0, v1 :: v_dual_mov_b32 v9, v1
	v_mov_b32_e32 v8, v1
	s_and_saveexec_b32 s3, s2
	s_cbranch_execz .LBB189_7
; %bb.4:
	v_mad_u32 v12, v15, 18, 16
	v_dual_mov_b32 v11, 0 :: v_dual_mov_b32 v16, v15
	s_mov_b32 s4, 0
	s_delay_alu instid0(VALU_DEP_1)
	v_dual_mov_b32 v8, v11 :: v_dual_mov_b32 v9, v11
	v_dual_mov_b32 v0, v11 :: v_dual_mov_b32 v1, v11
.LBB189_5:                              ; =>This Inner Loop Header: Depth=1
	global_load_b32 v13, v16, s[6:7] scale_offset
	s_wait_xcnt 0x0
	v_add_nc_u32_e32 v16, 16, v16
	s_delay_alu instid0(VALU_DEP_1) | instskip(SKIP_3) | instid1(VALU_DEP_1)
	v_cmp_ge_i32_e32 vcc_lo, v16, v14
	s_or_b32 s4, vcc_lo, s4
	s_wait_loadcnt 0x0
	v_subrev_nc_u32_e32 v13, s12, v13
	v_lshl_add_u32 v17, v13, 3, v13
	s_delay_alu instid0(VALU_DEP_1) | instskip(NEXT) | instid1(VALU_DEP_1)
	v_dual_add_nc_u32 v10, -16, v12 :: v_dual_add_nc_u32 v13, 1, v17
	v_lshl_add_u64 v[22:23], v[10:11], 3, s[8:9]
	v_add_nc_u32_e32 v10, -14, v12
	global_load_b128 v[18:21], v[22:23], off
	global_load_b64 v[54:55], v17, s[10:11] scale_offset
	v_lshl_add_u64 v[26:27], v[10:11], 3, s[8:9]
	global_load_b128 v[22:25], v[26:27], off
	global_load_b64 v[56:57], v13, s[10:11] scale_offset
	s_wait_xcnt 0x0
	v_dual_add_nc_u32 v10, -12, v12 :: v_dual_add_nc_u32 v13, 2, v17
	s_delay_alu instid0(VALU_DEP_1)
	v_lshl_add_u64 v[30:31], v[10:11], 3, s[8:9]
	v_add_nc_u32_e32 v10, -10, v12
	global_load_b128 v[26:29], v[30:31], off
	global_load_b64 v[58:59], v13, s[10:11] scale_offset
	v_lshl_add_u64 v[34:35], v[10:11], 3, s[8:9]
	s_wait_xcnt 0x0
	v_dual_add_nc_u32 v13, 3, v17 :: v_dual_add_nc_u32 v10, -8, v12
	global_load_b128 v[30:33], v[34:35], off
	global_load_b64 v[60:61], v13, s[10:11] scale_offset
	s_wait_xcnt 0x0
	v_add_nc_u32_e32 v13, 4, v17
	v_lshl_add_u64 v[38:39], v[10:11], 3, s[8:9]
	v_add_nc_u32_e32 v10, -6, v12
	global_load_b128 v[34:37], v[38:39], off
	global_load_b64 v[62:63], v13, s[10:11] scale_offset
	v_lshl_add_u64 v[42:43], v[10:11], 3, s[8:9]
	s_wait_xcnt 0x0
	v_dual_add_nc_u32 v13, 5, v17 :: v_dual_add_nc_u32 v10, -4, v12
	global_load_b128 v[38:41], v[42:43], off
	global_load_b64 v[64:65], v13, s[10:11] scale_offset
	s_wait_xcnt 0x0
	v_add_nc_u32_e32 v13, 6, v17
	v_lshl_add_u64 v[46:47], v[10:11], 3, s[8:9]
	v_add_nc_u32_e32 v10, -2, v12
	global_load_b128 v[42:45], v[46:47], off
	global_load_b64 v[66:67], v13, s[10:11] scale_offset
	v_lshl_add_u64 v[50:51], v[10:11], 3, s[8:9]
	s_wait_xcnt 0x0
	v_dual_mov_b32 v13, v11 :: v_dual_add_nc_u32 v10, 7, v17
	s_delay_alu instid0(VALU_DEP_1) | instskip(SKIP_4) | instid1(VALU_DEP_2)
	v_lshl_add_u64 v[70:71], v[12:13], 3, s[8:9]
	v_add_nc_u32_e32 v12, 0x120, v12
	s_wait_loadcnt 0xc
	v_pk_fma_f32 v[0:1], v[18:19], v[54:55], v[0:1] op_sel_hi:[1,0,1]
	v_pk_fma_f32 v[8:9], v[20:21], v[54:55], v[8:9] op_sel_hi:[1,0,1]
	v_pk_fma_f32 v[0:1], v[18:19], v[54:55], v[0:1] op_sel:[1,1,0] op_sel_hi:[0,1,1] neg_lo:[1,0,0]
	s_wait_loadcnt 0xb
	v_mov_b32_e32 v19, v24
	global_load_b128 v[46:49], v[50:51], off
	global_load_b64 v[68:69], v10, s[10:11] scale_offset
	s_wait_xcnt 0x0
	v_add_nc_u32_e32 v10, 8, v17
	global_load_b128 v[50:53], v[70:71], off
	global_load_b64 v[72:73], v10, s[10:11] scale_offset
	s_wait_xcnt 0x1
	v_xor_b32_e32 v70, 0x80000000, v21
	v_mov_b32_e32 v71, v20
	v_xor_b32_e32 v18, 0x80000000, v25
	s_wait_loadcnt 0xe
	v_pk_fma_f32 v[0:1], v[22:23], v[56:57], v[0:1] op_sel_hi:[1,0,1]
	s_delay_alu instid0(VALU_DEP_3) | instskip(NEXT) | instid1(VALU_DEP_2)
	v_pk_fma_f32 v[8:9], v[70:71], v[54:55], v[8:9] op_sel:[0,1,0]
	v_pk_fma_f32 v[0:1], v[22:23], v[56:57], v[0:1] op_sel:[1,1,0] op_sel_hi:[0,1,1] neg_lo:[1,0,0]
	s_delay_alu instid0(VALU_DEP_2) | instskip(SKIP_1) | instid1(VALU_DEP_2)
	v_pk_fma_f32 v[8:9], v[24:25], v[56:57], v[8:9] op_sel_hi:[1,0,1]
	s_wait_loadcnt 0xc
	v_pk_fma_f32 v[0:1], v[26:27], v[58:59], v[0:1] op_sel_hi:[1,0,1]
	s_delay_alu instid0(VALU_DEP_2) | instskip(SKIP_2) | instid1(VALU_DEP_4)
	v_pk_fma_f32 v[8:9], v[18:19], v[56:57], v[8:9] op_sel:[0,1,0]
	v_xor_b32_e32 v18, 0x80000000, v29
	v_mov_b32_e32 v19, v28
	v_pk_fma_f32 v[0:1], v[26:27], v[58:59], v[0:1] op_sel:[1,1,0] op_sel_hi:[0,1,1] neg_lo:[1,0,0]
	s_delay_alu instid0(VALU_DEP_4) | instskip(SKIP_1) | instid1(VALU_DEP_2)
	v_pk_fma_f32 v[8:9], v[28:29], v[58:59], v[8:9] op_sel_hi:[1,0,1]
	s_wait_loadcnt 0xa
	v_pk_fma_f32 v[0:1], v[30:31], v[60:61], v[0:1] op_sel_hi:[1,0,1]
	s_delay_alu instid0(VALU_DEP_2) | instskip(SKIP_2) | instid1(VALU_DEP_4)
	v_pk_fma_f32 v[8:9], v[18:19], v[58:59], v[8:9] op_sel:[0,1,0]
	v_xor_b32_e32 v18, 0x80000000, v33
	v_mov_b32_e32 v19, v32
	v_pk_fma_f32 v[0:1], v[30:31], v[60:61], v[0:1] op_sel:[1,1,0] op_sel_hi:[0,1,1] neg_lo:[1,0,0]
	s_delay_alu instid0(VALU_DEP_4) | instskip(SKIP_1) | instid1(VALU_DEP_2)
	;; [unrolled: 9-line block ×4, first 2 shown]
	v_pk_fma_f32 v[8:9], v[40:41], v[64:65], v[8:9] op_sel_hi:[1,0,1]
	s_wait_loadcnt 0x4
	v_pk_fma_f32 v[0:1], v[42:43], v[66:67], v[0:1] op_sel_hi:[1,0,1]
	s_delay_alu instid0(VALU_DEP_2) | instskip(SKIP_2) | instid1(VALU_DEP_4)
	v_pk_fma_f32 v[8:9], v[18:19], v[64:65], v[8:9] op_sel:[0,1,0]
	v_xor_b32_e32 v18, 0x80000000, v45
	v_mov_b32_e32 v19, v44
	v_pk_fma_f32 v[0:1], v[42:43], v[66:67], v[0:1] op_sel:[1,1,0] op_sel_hi:[0,1,1] neg_lo:[1,0,0]
	s_delay_alu instid0(VALU_DEP_4) | instskip(NEXT) | instid1(VALU_DEP_1)
	v_pk_fma_f32 v[8:9], v[44:45], v[66:67], v[8:9] op_sel_hi:[1,0,1]
	v_pk_fma_f32 v[8:9], v[18:19], v[66:67], v[8:9] op_sel:[0,1,0]
	s_wait_loadcnt 0x3
	v_xor_b32_e32 v18, 0x80000000, v49
	v_mov_b32_e32 v19, v48
	s_wait_loadcnt 0x2
	v_pk_fma_f32 v[0:1], v[46:47], v[68:69], v[0:1] op_sel_hi:[1,0,1]
	v_pk_fma_f32 v[8:9], v[48:49], v[68:69], v[8:9] op_sel_hi:[1,0,1]
	s_delay_alu instid0(VALU_DEP_2) | instskip(NEXT) | instid1(VALU_DEP_2)
	v_pk_fma_f32 v[0:1], v[46:47], v[68:69], v[0:1] op_sel:[1,1,0] op_sel_hi:[0,1,1] neg_lo:[1,0,0]
	v_pk_fma_f32 v[8:9], v[18:19], v[68:69], v[8:9] op_sel:[0,1,0]
	s_wait_loadcnt 0x1
	v_xor_b32_e32 v18, 0x80000000, v53
	v_mov_b32_e32 v19, v52
	s_wait_loadcnt 0x0
	v_pk_fma_f32 v[0:1], v[50:51], v[72:73], v[0:1] op_sel_hi:[1,0,1]
	v_pk_fma_f32 v[8:9], v[52:53], v[72:73], v[8:9] op_sel_hi:[1,0,1]
	s_delay_alu instid0(VALU_DEP_2) | instskip(NEXT) | instid1(VALU_DEP_2)
	v_pk_fma_f32 v[0:1], v[50:51], v[72:73], v[0:1] op_sel:[1,1,0] op_sel_hi:[0,1,1] neg_lo:[1,0,0]
	v_pk_fma_f32 v[8:9], v[18:19], v[72:73], v[8:9] op_sel:[0,1,0]
	s_and_not1_b32 exec_lo, exec_lo, s4
	s_cbranch_execnz .LBB189_5
; %bb.6:
	s_or_b32 exec_lo, exec_lo, s4
.LBB189_7:
	s_delay_alu instid0(SALU_CYCLE_1)
	s_or_b32 exec_lo, exec_lo, s3
	s_cbranch_execz .LBB189_9
	s_branch .LBB189_14
.LBB189_8:
                                        ; implicit-def: $vgpr1
                                        ; implicit-def: $vgpr9
.LBB189_9:
	v_mov_b32_e32 v1, 0
	s_delay_alu instid0(VALU_DEP_1)
	v_dual_mov_b32 v0, v1 :: v_dual_mov_b32 v9, v1
	v_mov_b32_e32 v8, v1
	s_and_saveexec_b32 s3, s2
	s_cbranch_execz .LBB189_13
; %bb.10:
	v_mad_u32 v12, v15, 18, 17
	v_mov_b32_e32 v11, 0
	s_mov_b32 s2, 0
	s_delay_alu instid0(VALU_DEP_1)
	v_dual_mov_b32 v8, v11 :: v_dual_mov_b32 v9, v11
	v_dual_mov_b32 v0, v11 :: v_dual_mov_b32 v1, v11
.LBB189_11:                             ; =>This Inner Loop Header: Depth=1
	global_load_b32 v13, v15, s[6:7] scale_offset
	v_subrev_nc_u32_e32 v10, 17, v12
	v_dual_add_nc_u32 v26, -8, v12 :: v_dual_add_nc_u32 v27, -7, v12
	v_dual_add_nc_u32 v34, -15, v12 :: v_dual_add_nc_u32 v35, -6, v12
	s_delay_alu instid0(VALU_DEP_3)
	v_lshl_add_u64 v[20:21], v[10:11], 3, s[8:9]
	v_dual_add_nc_u32 v58, -12, v12 :: v_dual_add_nc_u32 v59, -3, v12
	s_clause 0x2
	global_load_b64 v[22:23], v27, s[8:9] scale_offset
	global_load_b64 v[24:25], v26, s[8:9] scale_offset
	global_load_b128 v[16:19], v[20:21], off
	v_dual_add_nc_u32 v60, -11, v12 :: v_dual_add_nc_u32 v61, -2, v12
	s_wait_xcnt 0x3
	v_dual_add_nc_u32 v15, 16, v15 :: v_dual_add_nc_u32 v64, -10, v12
	v_dual_add_nc_u32 v56, -13, v12 :: v_dual_add_nc_u32 v65, -9, v12
	s_delay_alu instid0(VALU_DEP_2) | instskip(SKIP_3) | instid1(VALU_DEP_1)
	v_cmp_ge_i32_e32 vcc_lo, v15, v14
	s_or_b32 s2, vcc_lo, s2
	s_wait_loadcnt 0x3
	v_subrev_nc_u32_e32 v10, s12, v13
	v_lshl_add_u32 v10, v10, 3, v10
	v_dual_add_nc_u32 v40, -14, v12 :: v_dual_add_nc_u32 v57, -4, v12
	s_delay_alu instid0(VALU_DEP_2)
	v_add_nc_u32_e32 v36, 2, v10
	global_load_b64 v[20:21], v10, s[10:11] scale_offset
	v_dual_add_nc_u32 v13, 1, v10 :: v_dual_add_nc_u32 v41, 3, v10
	v_dual_add_nc_u32 v62, 4, v10 :: v_dual_add_nc_u32 v66, 5, v10
	global_load_b64 v[26:27], v13, s[10:11] scale_offset
	s_clause 0x1
	global_load_b64 v[28:29], v34, s[8:9] scale_offset
	global_load_b64 v[30:31], v35, s[8:9] scale_offset
	;; [unrolled: 1-line block ×3, first 2 shown]
	s_wait_xcnt 0x3
	v_add_nc_u32_e32 v13, -5, v12
	s_clause 0x1
	global_load_b64 v[34:35], v40, s[8:9] scale_offset
	global_load_b64 v[36:37], v13, s[8:9] scale_offset
	;; [unrolled: 1-line block ×3, first 2 shown]
	s_clause 0x3
	global_load_b64 v[40:41], v12, s[8:9] scale_offset
	global_load_b64 v[42:43], v56, s[8:9] scale_offset
	;; [unrolled: 1-line block ×5, first 2 shown]
	s_clause 0x2
	global_load_b64 v[50:51], v60, s[8:9] scale_offset
	global_load_b64 v[52:53], v59, s[8:9] scale_offset
	;; [unrolled: 1-line block ×3, first 2 shown]
	v_add_nc_u32_e32 v13, -1, v12
	s_clause 0x2
	global_load_b64 v[56:57], v64, s[8:9] scale_offset
	global_load_b64 v[58:59], v13, s[8:9] scale_offset
	;; [unrolled: 1-line block ×4, first 2 shown]
	s_wait_xcnt 0x2
	v_add_nc_u32_e32 v13, 6, v10
	v_add_nc_u32_e32 v12, 0x120, v12
	global_load_b64 v[64:65], v13, s[10:11] scale_offset
	s_wait_xcnt 0x0
	v_dual_add_nc_u32 v13, 7, v10 :: v_dual_add_nc_u32 v10, 8, v10
	s_wait_loadcnt 0x14
	v_pk_fma_f32 v[8:9], v[24:25], v[20:21], v[8:9] op_sel_hi:[1,0,1]
	v_pk_fma_f32 v[0:1], v[16:17], v[20:21], v[0:1] op_sel_hi:[1,0,1]
	s_delay_alu instid0(VALU_DEP_2) | instskip(NEXT) | instid1(VALU_DEP_2)
	v_pk_fma_f32 v[8:9], v[24:25], v[20:21], v[8:9] op_sel:[1,1,0] op_sel_hi:[0,1,1] neg_lo:[1,0,0]
	v_pk_fma_f32 v[0:1], v[16:17], v[20:21], v[0:1] op_sel:[1,1,0] op_sel_hi:[0,1,1] neg_lo:[1,0,0]
	v_mov_b32_e32 v17, v18
	global_load_b64 v[24:25], v13, s[10:11] scale_offset
	v_xor_b32_e32 v16, 0x80000000, v19
	s_wait_loadcnt 0x14
	v_pk_fma_f32 v[8:9], v[22:23], v[26:27], v[8:9] op_sel_hi:[1,0,1]
	v_pk_fma_f32 v[0:1], v[18:19], v[26:27], v[0:1] op_sel_hi:[1,0,1]
	global_load_b64 v[18:19], v10, s[10:11] scale_offset
	v_pk_fma_f32 v[8:9], v[22:23], v[26:27], v[8:9] op_sel:[1,1,0] op_sel_hi:[0,1,1] neg_lo:[1,0,0]
	v_pk_fma_f32 v[0:1], v[16:17], v[26:27], v[0:1] op_sel:[0,1,0]
	s_wait_loadcnt 0x12
	s_delay_alu instid0(VALU_DEP_2) | instskip(NEXT) | instid1(VALU_DEP_2)
	v_pk_fma_f32 v[8:9], v[30:31], v[32:33], v[8:9] op_sel_hi:[1,0,1]
	v_pk_fma_f32 v[0:1], v[28:29], v[32:33], v[0:1] op_sel_hi:[1,0,1]
	s_delay_alu instid0(VALU_DEP_2) | instskip(NEXT) | instid1(VALU_DEP_2)
	v_pk_fma_f32 v[8:9], v[30:31], v[32:33], v[8:9] op_sel:[1,1,0] op_sel_hi:[0,1,1] neg_lo:[1,0,0]
	v_pk_fma_f32 v[0:1], v[28:29], v[32:33], v[0:1] op_sel:[1,1,0] op_sel_hi:[0,1,1] neg_lo:[1,0,0]
	s_wait_loadcnt 0xf
	s_delay_alu instid0(VALU_DEP_2) | instskip(NEXT) | instid1(VALU_DEP_2)
	v_pk_fma_f32 v[8:9], v[36:37], v[38:39], v[8:9] op_sel_hi:[1,0,1]
	v_pk_fma_f32 v[0:1], v[34:35], v[38:39], v[0:1] op_sel_hi:[1,0,1]
	s_delay_alu instid0(VALU_DEP_2) | instskip(NEXT) | instid1(VALU_DEP_2)
	v_pk_fma_f32 v[8:9], v[36:37], v[38:39], v[8:9] op_sel:[1,1,0] op_sel_hi:[0,1,1] neg_lo:[1,0,0]
	v_pk_fma_f32 v[0:1], v[34:35], v[38:39], v[0:1] op_sel:[1,1,0] op_sel_hi:[0,1,1] neg_lo:[1,0,0]
	s_wait_loadcnt 0xa
	s_delay_alu instid0(VALU_DEP_2) | instskip(NEXT) | instid1(VALU_DEP_2)
	v_pk_fma_f32 v[8:9], v[46:47], v[48:49], v[8:9] op_sel_hi:[1,0,1]
	v_pk_fma_f32 v[0:1], v[42:43], v[48:49], v[0:1] op_sel_hi:[1,0,1]
	s_delay_alu instid0(VALU_DEP_2) | instskip(NEXT) | instid1(VALU_DEP_2)
	v_pk_fma_f32 v[8:9], v[46:47], v[48:49], v[8:9] op_sel:[1,1,0] op_sel_hi:[0,1,1] neg_lo:[1,0,0]
	v_pk_fma_f32 v[0:1], v[42:43], v[48:49], v[0:1] op_sel:[1,1,0] op_sel_hi:[0,1,1] neg_lo:[1,0,0]
	s_wait_loadcnt 0x3
	s_delay_alu instid0(VALU_DEP_2) | instskip(NEXT) | instid1(VALU_DEP_2)
	v_pk_fma_f32 v[8:9], v[52:53], v[62:63], v[8:9] op_sel_hi:[1,0,1]
	v_pk_fma_f32 v[0:1], v[44:45], v[62:63], v[0:1] op_sel_hi:[1,0,1]
	s_delay_alu instid0(VALU_DEP_2) | instskip(NEXT) | instid1(VALU_DEP_2)
	v_pk_fma_f32 v[8:9], v[52:53], v[62:63], v[8:9] op_sel:[1,1,0] op_sel_hi:[0,1,1] neg_lo:[1,0,0]
	v_pk_fma_f32 v[0:1], v[44:45], v[62:63], v[0:1] op_sel:[1,1,0] op_sel_hi:[0,1,1] neg_lo:[1,0,0]
	s_wait_loadcnt 0x2
	s_delay_alu instid0(VALU_DEP_2) | instskip(NEXT) | instid1(VALU_DEP_2)
	v_pk_fma_f32 v[8:9], v[54:55], v[64:65], v[8:9] op_sel_hi:[1,0,1]
	v_pk_fma_f32 v[0:1], v[50:51], v[64:65], v[0:1] op_sel_hi:[1,0,1]
	s_delay_alu instid0(VALU_DEP_2) | instskip(NEXT) | instid1(VALU_DEP_2)
	v_pk_fma_f32 v[8:9], v[54:55], v[64:65], v[8:9] op_sel:[1,1,0] op_sel_hi:[0,1,1] neg_lo:[1,0,0]
	v_pk_fma_f32 v[0:1], v[50:51], v[64:65], v[0:1] op_sel:[1,1,0] op_sel_hi:[0,1,1] neg_lo:[1,0,0]
	s_wait_loadcnt 0x1
	s_delay_alu instid0(VALU_DEP_1) | instskip(NEXT) | instid1(VALU_DEP_3)
	v_pk_fma_f32 v[0:1], v[56:57], v[24:25], v[0:1] op_sel_hi:[1,0,1]
	v_pk_fma_f32 v[8:9], v[58:59], v[24:25], v[8:9] op_sel_hi:[1,0,1]
	s_delay_alu instid0(VALU_DEP_2) | instskip(NEXT) | instid1(VALU_DEP_2)
	v_pk_fma_f32 v[0:1], v[56:57], v[24:25], v[0:1] op_sel:[1,1,0] op_sel_hi:[0,1,1] neg_lo:[1,0,0]
	v_pk_fma_f32 v[8:9], v[58:59], v[24:25], v[8:9] op_sel:[1,1,0] op_sel_hi:[0,1,1] neg_lo:[1,0,0]
	s_wait_loadcnt 0x0
	s_delay_alu instid0(VALU_DEP_2) | instskip(NEXT) | instid1(VALU_DEP_2)
	v_pk_fma_f32 v[0:1], v[60:61], v[18:19], v[0:1] op_sel_hi:[1,0,1]
	v_pk_fma_f32 v[8:9], v[40:41], v[18:19], v[8:9] op_sel_hi:[1,0,1]
	s_delay_alu instid0(VALU_DEP_2) | instskip(NEXT) | instid1(VALU_DEP_2)
	v_pk_fma_f32 v[0:1], v[60:61], v[18:19], v[0:1] op_sel:[1,1,0] op_sel_hi:[0,1,1] neg_lo:[1,0,0]
	v_pk_fma_f32 v[8:9], v[40:41], v[18:19], v[8:9] op_sel:[1,1,0] op_sel_hi:[0,1,1] neg_lo:[1,0,0]
	s_and_not1_b32 exec_lo, exec_lo, s2
	s_cbranch_execnz .LBB189_11
; %bb.12:
	s_or_b32 exec_lo, exec_lo, s2
.LBB189_13:
	s_delay_alu instid0(SALU_CYCLE_1)
	s_or_b32 exec_lo, exec_lo, s3
.LBB189_14:
	v_mbcnt_lo_u32_b32 v10, -1, 0
	s_delay_alu instid0(VALU_DEP_1) | instskip(SKIP_1) | instid1(VALU_DEP_1)
	v_xor_b32_e32 v15, 4, v10
	v_xor_b32_e32 v11, 8, v10
	v_cmp_gt_i32_e32 vcc_lo, 32, v11
	v_cndmask_b32_e32 v11, v10, v11, vcc_lo
	s_delay_alu instid0(VALU_DEP_1)
	v_lshlrev_b32_e32 v11, 2, v11
	ds_bpermute_b32 v13, v11, v1
	s_wait_dscnt 0x0
	v_add_f32_e32 v1, v1, v13
	ds_bpermute_b32 v12, v11, v0
	ds_bpermute_b32 v14, v11, v8
	;; [unrolled: 1-line block ×3, first 2 shown]
	s_wait_dscnt 0x2
	v_add_f32_e32 v0, v0, v12
	s_wait_dscnt 0x0
	v_dual_add_f32 v8, v8, v14 :: v_dual_add_f32 v9, v9, v11
	v_cmp_gt_i32_e32 vcc_lo, 32, v15
	v_cndmask_b32_e32 v15, v10, v15, vcc_lo
	s_delay_alu instid0(VALU_DEP_1)
	v_lshlrev_b32_e32 v15, 2, v15
	ds_bpermute_b32 v11, v15, v0
	ds_bpermute_b32 v12, v15, v1
	;; [unrolled: 1-line block ×4, first 2 shown]
	s_wait_dscnt 0x3
	v_dual_add_f32 v0, v0, v11 :: v_dual_bitop2_b32 v15, 2, v10 bitop3:0x14
	s_delay_alu instid0(VALU_DEP_1)
	v_cmp_gt_i32_e32 vcc_lo, 32, v15
	s_wait_dscnt 0x2
	v_add_f32_e32 v1, v1, v12
	s_wait_dscnt 0x0
	v_dual_add_f32 v9, v9, v14 :: v_dual_add_f32 v11, v8, v13
	v_cndmask_b32_e32 v15, v10, v15, vcc_lo
	s_delay_alu instid0(VALU_DEP_1)
	v_lshlrev_b32_e32 v15, 2, v15
	ds_bpermute_b32 v8, v15, v0
	ds_bpermute_b32 v12, v15, v1
	;; [unrolled: 1-line block ×4, first 2 shown]
	s_wait_dscnt 0x3
	v_dual_add_f32 v0, v0, v8 :: v_dual_bitop2_b32 v15, 1, v10 bitop3:0x14
	s_delay_alu instid0(VALU_DEP_1)
	v_cmp_gt_i32_e32 vcc_lo, 32, v15
	s_wait_dscnt 0x2
	v_dual_add_f32 v8, v1, v12 :: v_dual_cndmask_b32 v10, v10, v15, vcc_lo
	s_wait_dscnt 0x0
	v_dual_add_f32 v1, v11, v13 :: v_dual_add_f32 v9, v9, v14
	v_cmp_eq_u32_e32 vcc_lo, 15, v7
	s_delay_alu instid0(VALU_DEP_3)
	v_lshlrev_b32_e32 v15, 2, v10
	ds_bpermute_b32 v12, v15, v0
	ds_bpermute_b32 v13, v15, v8
	ds_bpermute_b32 v10, v15, v1
	ds_bpermute_b32 v11, v15, v9
	s_and_b32 exec_lo, exec_lo, vcc_lo
	s_cbranch_execz .LBB189_19
; %bb.15:
	s_load_b64 s[2:3], s[0:1], 0x38
	v_cmp_eq_f32_e32 vcc_lo, 0, v4
	s_wait_xcnt 0x0
	v_cmp_eq_f32_e64 s0, 0, v5
	s_wait_dscnt 0x3
	v_add_f32_e32 v0, v0, v12
	s_wait_dscnt 0x1
	v_dual_add_f32 v12, v8, v13 :: v_dual_add_f32 v8, v1, v10
	s_wait_dscnt 0x0
	v_add_f32_e32 v10, v9, v11
	s_and_b32 s0, vcc_lo, s0
	s_delay_alu instid0(SALU_CYCLE_1) | instskip(NEXT) | instid1(SALU_CYCLE_1)
	s_and_saveexec_b32 s1, s0
	s_xor_b32 s0, exec_lo, s1
	s_cbranch_execz .LBB189_17
; %bb.16:
	v_xor_b32_e32 v4, 0x80000000, v3
	v_dual_mov_b32 v5, v2 :: v_dual_lshlrev_b32 v6, 1, v6
	s_delay_alu instid0(VALU_DEP_1) | instskip(NEXT) | instid1(VALU_DEP_2)
	v_ashrrev_i32_e32 v7, 31, v6
	v_pk_mul_f32 v[12:13], v[12:13], v[4:5] op_sel_hi:[0,1]
	v_pk_mul_f32 v[4:5], v[10:11], v[4:5] op_sel_hi:[0,1]
                                        ; implicit-def: $vgpr10
	s_wait_kmcnt 0x0
	s_delay_alu instid0(VALU_DEP_3) | instskip(NEXT) | instid1(VALU_DEP_3)
	v_lshl_add_u64 v[6:7], v[6:7], 3, s[2:3]
	v_pk_fma_f32 v[0:1], v[2:3], v[0:1], v[12:13] op_sel_hi:[1,0,1]
	s_delay_alu instid0(VALU_DEP_3)
	v_pk_fma_f32 v[2:3], v[2:3], v[8:9], v[4:5] op_sel_hi:[1,0,1]
                                        ; implicit-def: $vgpr4_vgpr5
                                        ; implicit-def: $vgpr12
                                        ; implicit-def: $vgpr8
	global_store_b128 v[6:7], v[0:3], off
                                        ; implicit-def: $vgpr6
                                        ; implicit-def: $vgpr2_vgpr3
                                        ; implicit-def: $vgpr0
.LBB189_17:
	s_wait_xcnt 0x0
	s_and_not1_saveexec_b32 s0, s0
	s_cbranch_execz .LBB189_19
; %bb.18:
	v_dual_mov_b32 v19, v2 :: v_dual_lshlrev_b32 v6, 1, v6
	v_xor_b32_e32 v18, 0x80000000, v3
	s_delay_alu instid0(VALU_DEP_2) | instskip(NEXT) | instid1(VALU_DEP_2)
	v_ashrrev_i32_e32 v7, 31, v6
	v_pk_mul_f32 v[12:13], v[12:13], v[18:19] op_sel_hi:[0,1]
	v_pk_mul_f32 v[10:11], v[10:11], v[18:19] op_sel_hi:[0,1]
	s_delay_alu instid0(VALU_DEP_2) | instskip(NEXT) | instid1(VALU_DEP_2)
	v_pk_fma_f32 v[0:1], v[2:3], v[0:1], v[12:13] op_sel_hi:[1,0,1]
	v_pk_fma_f32 v[2:3], v[2:3], v[8:9], v[10:11] op_sel_hi:[1,0,1]
	v_mov_b32_e32 v9, v4
	s_wait_kmcnt 0x0
	v_lshl_add_u64 v[6:7], v[6:7], 3, s[2:3]
	v_xor_b32_e32 v8, 0x80000000, v5
	global_load_b128 v[14:17], v[6:7], off
	s_wait_loadcnt 0x0
	v_pk_fma_f32 v[0:1], v[4:5], v[14:15], v[0:1] op_sel_hi:[1,0,1]
	v_pk_fma_f32 v[2:3], v[4:5], v[16:17], v[2:3] op_sel_hi:[1,0,1]
	v_mov_b32_e32 v4, v17
	s_delay_alu instid0(VALU_DEP_3) | instskip(NEXT) | instid1(VALU_DEP_2)
	v_pk_fma_f32 v[0:1], v[8:9], v[14:15], v[0:1] op_sel:[0,1,0]
	v_pk_fma_f32 v[2:3], v[8:9], v[4:5], v[2:3] op_sel_hi:[1,0,1]
	global_store_b128 v[6:7], v[0:3], off
.LBB189_19:
	s_sendmsg sendmsg(MSG_DEALLOC_VGPRS)
	s_endpgm
	.section	.rodata,"a",@progbits
	.p2align	6, 0x0
	.amdhsa_kernel _ZN9rocsparseL19gebsrmvn_2xn_kernelILj128ELj9ELj16E21rocsparse_complex_numIfEEEvi20rocsparse_direction_NS_24const_host_device_scalarIT2_EEPKiS8_PKS5_SA_S6_PS5_21rocsparse_index_base_b
		.amdhsa_group_segment_fixed_size 0
		.amdhsa_private_segment_fixed_size 0
		.amdhsa_kernarg_size 72
		.amdhsa_user_sgpr_count 2
		.amdhsa_user_sgpr_dispatch_ptr 0
		.amdhsa_user_sgpr_queue_ptr 0
		.amdhsa_user_sgpr_kernarg_segment_ptr 1
		.amdhsa_user_sgpr_dispatch_id 0
		.amdhsa_user_sgpr_kernarg_preload_length 0
		.amdhsa_user_sgpr_kernarg_preload_offset 0
		.amdhsa_user_sgpr_private_segment_size 0
		.amdhsa_wavefront_size32 1
		.amdhsa_uses_dynamic_stack 0
		.amdhsa_enable_private_segment 0
		.amdhsa_system_sgpr_workgroup_id_x 1
		.amdhsa_system_sgpr_workgroup_id_y 0
		.amdhsa_system_sgpr_workgroup_id_z 0
		.amdhsa_system_sgpr_workgroup_info 0
		.amdhsa_system_vgpr_workitem_id 0
		.amdhsa_next_free_vgpr 74
		.amdhsa_next_free_sgpr 14
		.amdhsa_named_barrier_count 0
		.amdhsa_reserve_vcc 1
		.amdhsa_float_round_mode_32 0
		.amdhsa_float_round_mode_16_64 0
		.amdhsa_float_denorm_mode_32 3
		.amdhsa_float_denorm_mode_16_64 3
		.amdhsa_fp16_overflow 0
		.amdhsa_memory_ordered 1
		.amdhsa_forward_progress 1
		.amdhsa_inst_pref_size 25
		.amdhsa_round_robin_scheduling 0
		.amdhsa_exception_fp_ieee_invalid_op 0
		.amdhsa_exception_fp_denorm_src 0
		.amdhsa_exception_fp_ieee_div_zero 0
		.amdhsa_exception_fp_ieee_overflow 0
		.amdhsa_exception_fp_ieee_underflow 0
		.amdhsa_exception_fp_ieee_inexact 0
		.amdhsa_exception_int_div_zero 0
	.end_amdhsa_kernel
	.section	.text._ZN9rocsparseL19gebsrmvn_2xn_kernelILj128ELj9ELj16E21rocsparse_complex_numIfEEEvi20rocsparse_direction_NS_24const_host_device_scalarIT2_EEPKiS8_PKS5_SA_S6_PS5_21rocsparse_index_base_b,"axG",@progbits,_ZN9rocsparseL19gebsrmvn_2xn_kernelILj128ELj9ELj16E21rocsparse_complex_numIfEEEvi20rocsparse_direction_NS_24const_host_device_scalarIT2_EEPKiS8_PKS5_SA_S6_PS5_21rocsparse_index_base_b,comdat
.Lfunc_end189:
	.size	_ZN9rocsparseL19gebsrmvn_2xn_kernelILj128ELj9ELj16E21rocsparse_complex_numIfEEEvi20rocsparse_direction_NS_24const_host_device_scalarIT2_EEPKiS8_PKS5_SA_S6_PS5_21rocsparse_index_base_b, .Lfunc_end189-_ZN9rocsparseL19gebsrmvn_2xn_kernelILj128ELj9ELj16E21rocsparse_complex_numIfEEEvi20rocsparse_direction_NS_24const_host_device_scalarIT2_EEPKiS8_PKS5_SA_S6_PS5_21rocsparse_index_base_b
                                        ; -- End function
	.set _ZN9rocsparseL19gebsrmvn_2xn_kernelILj128ELj9ELj16E21rocsparse_complex_numIfEEEvi20rocsparse_direction_NS_24const_host_device_scalarIT2_EEPKiS8_PKS5_SA_S6_PS5_21rocsparse_index_base_b.num_vgpr, 74
	.set _ZN9rocsparseL19gebsrmvn_2xn_kernelILj128ELj9ELj16E21rocsparse_complex_numIfEEEvi20rocsparse_direction_NS_24const_host_device_scalarIT2_EEPKiS8_PKS5_SA_S6_PS5_21rocsparse_index_base_b.num_agpr, 0
	.set _ZN9rocsparseL19gebsrmvn_2xn_kernelILj128ELj9ELj16E21rocsparse_complex_numIfEEEvi20rocsparse_direction_NS_24const_host_device_scalarIT2_EEPKiS8_PKS5_SA_S6_PS5_21rocsparse_index_base_b.numbered_sgpr, 14
	.set _ZN9rocsparseL19gebsrmvn_2xn_kernelILj128ELj9ELj16E21rocsparse_complex_numIfEEEvi20rocsparse_direction_NS_24const_host_device_scalarIT2_EEPKiS8_PKS5_SA_S6_PS5_21rocsparse_index_base_b.num_named_barrier, 0
	.set _ZN9rocsparseL19gebsrmvn_2xn_kernelILj128ELj9ELj16E21rocsparse_complex_numIfEEEvi20rocsparse_direction_NS_24const_host_device_scalarIT2_EEPKiS8_PKS5_SA_S6_PS5_21rocsparse_index_base_b.private_seg_size, 0
	.set _ZN9rocsparseL19gebsrmvn_2xn_kernelILj128ELj9ELj16E21rocsparse_complex_numIfEEEvi20rocsparse_direction_NS_24const_host_device_scalarIT2_EEPKiS8_PKS5_SA_S6_PS5_21rocsparse_index_base_b.uses_vcc, 1
	.set _ZN9rocsparseL19gebsrmvn_2xn_kernelILj128ELj9ELj16E21rocsparse_complex_numIfEEEvi20rocsparse_direction_NS_24const_host_device_scalarIT2_EEPKiS8_PKS5_SA_S6_PS5_21rocsparse_index_base_b.uses_flat_scratch, 1
	.set _ZN9rocsparseL19gebsrmvn_2xn_kernelILj128ELj9ELj16E21rocsparse_complex_numIfEEEvi20rocsparse_direction_NS_24const_host_device_scalarIT2_EEPKiS8_PKS5_SA_S6_PS5_21rocsparse_index_base_b.has_dyn_sized_stack, 0
	.set _ZN9rocsparseL19gebsrmvn_2xn_kernelILj128ELj9ELj16E21rocsparse_complex_numIfEEEvi20rocsparse_direction_NS_24const_host_device_scalarIT2_EEPKiS8_PKS5_SA_S6_PS5_21rocsparse_index_base_b.has_recursion, 0
	.set _ZN9rocsparseL19gebsrmvn_2xn_kernelILj128ELj9ELj16E21rocsparse_complex_numIfEEEvi20rocsparse_direction_NS_24const_host_device_scalarIT2_EEPKiS8_PKS5_SA_S6_PS5_21rocsparse_index_base_b.has_indirect_call, 0
	.section	.AMDGPU.csdata,"",@progbits
; Kernel info:
; codeLenInByte = 3104
; TotalNumSgprs: 16
; NumVgprs: 74
; ScratchSize: 0
; MemoryBound: 0
; FloatMode: 240
; IeeeMode: 1
; LDSByteSize: 0 bytes/workgroup (compile time only)
; SGPRBlocks: 0
; VGPRBlocks: 4
; NumSGPRsForWavesPerEU: 16
; NumVGPRsForWavesPerEU: 74
; NamedBarCnt: 0
; Occupancy: 12
; WaveLimiterHint : 1
; COMPUTE_PGM_RSRC2:SCRATCH_EN: 0
; COMPUTE_PGM_RSRC2:USER_SGPR: 2
; COMPUTE_PGM_RSRC2:TRAP_HANDLER: 0
; COMPUTE_PGM_RSRC2:TGID_X_EN: 1
; COMPUTE_PGM_RSRC2:TGID_Y_EN: 0
; COMPUTE_PGM_RSRC2:TGID_Z_EN: 0
; COMPUTE_PGM_RSRC2:TIDIG_COMP_CNT: 0
	.section	.text._ZN9rocsparseL19gebsrmvn_2xn_kernelILj128ELj9ELj32E21rocsparse_complex_numIfEEEvi20rocsparse_direction_NS_24const_host_device_scalarIT2_EEPKiS8_PKS5_SA_S6_PS5_21rocsparse_index_base_b,"axG",@progbits,_ZN9rocsparseL19gebsrmvn_2xn_kernelILj128ELj9ELj32E21rocsparse_complex_numIfEEEvi20rocsparse_direction_NS_24const_host_device_scalarIT2_EEPKiS8_PKS5_SA_S6_PS5_21rocsparse_index_base_b,comdat
	.globl	_ZN9rocsparseL19gebsrmvn_2xn_kernelILj128ELj9ELj32E21rocsparse_complex_numIfEEEvi20rocsparse_direction_NS_24const_host_device_scalarIT2_EEPKiS8_PKS5_SA_S6_PS5_21rocsparse_index_base_b ; -- Begin function _ZN9rocsparseL19gebsrmvn_2xn_kernelILj128ELj9ELj32E21rocsparse_complex_numIfEEEvi20rocsparse_direction_NS_24const_host_device_scalarIT2_EEPKiS8_PKS5_SA_S6_PS5_21rocsparse_index_base_b
	.p2align	8
	.type	_ZN9rocsparseL19gebsrmvn_2xn_kernelILj128ELj9ELj32E21rocsparse_complex_numIfEEEvi20rocsparse_direction_NS_24const_host_device_scalarIT2_EEPKiS8_PKS5_SA_S6_PS5_21rocsparse_index_base_b,@function
_ZN9rocsparseL19gebsrmvn_2xn_kernelILj128ELj9ELj32E21rocsparse_complex_numIfEEEvi20rocsparse_direction_NS_24const_host_device_scalarIT2_EEPKiS8_PKS5_SA_S6_PS5_21rocsparse_index_base_b: ; @_ZN9rocsparseL19gebsrmvn_2xn_kernelILj128ELj9ELj32E21rocsparse_complex_numIfEEEvi20rocsparse_direction_NS_24const_host_device_scalarIT2_EEPKiS8_PKS5_SA_S6_PS5_21rocsparse_index_base_b
; %bb.0:
	s_clause 0x2
	s_load_b64 s[12:13], s[0:1], 0x40
	s_load_b64 s[2:3], s[0:1], 0x8
	;; [unrolled: 1-line block ×3, first 2 shown]
	v_mov_b32_e32 v1, 0
	s_add_nc_u64 s[6:7], s[0:1], 8
	s_add_nc_u64 s[8:9], s[0:1], 48
	s_wait_kmcnt 0x0
	s_bitcmp1_b32 s13, 0
	s_cselect_b32 s3, s7, s3
	s_cselect_b32 s2, s6, s2
	;; [unrolled: 1-line block ×4, first 2 shown]
	s_clause 0x1
	flat_load_b64 v[2:3], v1, s[2:3]
	flat_load_b64 v[4:5], v1, s[4:5]
	s_wait_loadcnt_dscnt 0x101
	v_cmp_eq_f32_e32 vcc_lo, 0, v2
	v_cmp_eq_f32_e64 s2, 0, v3
	s_wait_loadcnt_dscnt 0x0
	v_cmp_eq_f32_e64 s3, 1.0, v4
	v_cmp_eq_f32_e64 s4, 0, v5
	s_and_b32 s2, vcc_lo, s2
	s_and_b32 s3, s3, s4
	s_delay_alu instid0(SALU_CYCLE_1) | instskip(NEXT) | instid1(SALU_CYCLE_1)
	s_and_b32 s2, s2, s3
	s_xor_b32 s2, s2, -1
	s_delay_alu instid0(SALU_CYCLE_1)
	s_and_saveexec_b32 s3, s2
	s_cbranch_execz .LBB190_19
; %bb.1:
	s_load_b64 s[2:3], s[0:1], 0x0
	s_bfe_u32 s4, ttmp6, 0x4000c
	s_and_b32 s5, ttmp6, 15
	s_add_co_i32 s4, s4, 1
	s_getreg_b32 s6, hwreg(HW_REG_IB_STS2, 6, 4)
	s_mul_i32 s4, ttmp9, s4
	v_lshrrev_b32_e32 v1, 5, v0
	s_add_co_i32 s5, s5, s4
	s_cmp_eq_u32 s6, 0
	s_cselect_b32 s4, ttmp9, s5
	s_delay_alu instid0(VALU_DEP_1) | instid1(SALU_CYCLE_1)
	v_lshl_or_b32 v6, s4, 2, v1
	s_wait_kmcnt 0x0
	s_delay_alu instid0(VALU_DEP_1)
	v_cmp_gt_i32_e32 vcc_lo, s2, v6
	s_and_b32 exec_lo, exec_lo, vcc_lo
	s_cbranch_execz .LBB190_19
; %bb.2:
	s_load_b256 s[4:11], s[0:1], 0x10
	v_ashrrev_i32_e32 v7, 31, v6
	s_cmp_lg_u32 s3, 0
	s_wait_kmcnt 0x0
	s_delay_alu instid0(VALU_DEP_1)
	v_lshl_add_u64 v[8:9], v[6:7], 2, s[4:5]
	v_and_b32_e32 v7, 31, v0
	global_load_b64 v[8:9], v[8:9], off
	s_wait_loadcnt 0x0
	v_subrev_nc_u32_e32 v0, s12, v8
	v_subrev_nc_u32_e32 v14, s12, v9
	s_delay_alu instid0(VALU_DEP_2) | instskip(NEXT) | instid1(VALU_DEP_1)
	v_add_nc_u32_e32 v15, v0, v7
	v_cmp_lt_i32_e64 s2, v15, v14
	s_cbranch_scc0 .LBB190_8
; %bb.3:
	v_mov_b32_e32 v1, 0
	s_delay_alu instid0(VALU_DEP_1)
	v_dual_mov_b32 v0, v1 :: v_dual_mov_b32 v9, v1
	v_mov_b32_e32 v8, v1
	s_and_saveexec_b32 s3, s2
	s_cbranch_execz .LBB190_7
; %bb.4:
	v_mad_u32 v12, v15, 18, 16
	v_dual_mov_b32 v11, 0 :: v_dual_mov_b32 v16, v15
	s_mov_b32 s4, 0
	s_delay_alu instid0(VALU_DEP_1)
	v_dual_mov_b32 v8, v11 :: v_dual_mov_b32 v9, v11
	v_dual_mov_b32 v0, v11 :: v_dual_mov_b32 v1, v11
.LBB190_5:                              ; =>This Inner Loop Header: Depth=1
	global_load_b32 v13, v16, s[6:7] scale_offset
	s_wait_xcnt 0x0
	v_add_nc_u32_e32 v16, 32, v16
	s_delay_alu instid0(VALU_DEP_1) | instskip(SKIP_3) | instid1(VALU_DEP_1)
	v_cmp_ge_i32_e32 vcc_lo, v16, v14
	s_or_b32 s4, vcc_lo, s4
	s_wait_loadcnt 0x0
	v_subrev_nc_u32_e32 v13, s12, v13
	v_lshl_add_u32 v17, v13, 3, v13
	s_delay_alu instid0(VALU_DEP_1) | instskip(NEXT) | instid1(VALU_DEP_1)
	v_dual_add_nc_u32 v10, -16, v12 :: v_dual_add_nc_u32 v13, 1, v17
	v_lshl_add_u64 v[22:23], v[10:11], 3, s[8:9]
	v_add_nc_u32_e32 v10, -14, v12
	global_load_b128 v[18:21], v[22:23], off
	global_load_b64 v[54:55], v17, s[10:11] scale_offset
	v_lshl_add_u64 v[26:27], v[10:11], 3, s[8:9]
	global_load_b128 v[22:25], v[26:27], off
	global_load_b64 v[56:57], v13, s[10:11] scale_offset
	s_wait_xcnt 0x0
	v_dual_add_nc_u32 v10, -12, v12 :: v_dual_add_nc_u32 v13, 2, v17
	s_delay_alu instid0(VALU_DEP_1)
	v_lshl_add_u64 v[30:31], v[10:11], 3, s[8:9]
	v_add_nc_u32_e32 v10, -10, v12
	global_load_b128 v[26:29], v[30:31], off
	global_load_b64 v[58:59], v13, s[10:11] scale_offset
	v_lshl_add_u64 v[34:35], v[10:11], 3, s[8:9]
	s_wait_xcnt 0x0
	v_dual_add_nc_u32 v13, 3, v17 :: v_dual_add_nc_u32 v10, -8, v12
	global_load_b128 v[30:33], v[34:35], off
	global_load_b64 v[60:61], v13, s[10:11] scale_offset
	s_wait_xcnt 0x0
	v_add_nc_u32_e32 v13, 4, v17
	v_lshl_add_u64 v[38:39], v[10:11], 3, s[8:9]
	v_add_nc_u32_e32 v10, -6, v12
	global_load_b128 v[34:37], v[38:39], off
	global_load_b64 v[62:63], v13, s[10:11] scale_offset
	v_lshl_add_u64 v[42:43], v[10:11], 3, s[8:9]
	s_wait_xcnt 0x0
	v_dual_add_nc_u32 v13, 5, v17 :: v_dual_add_nc_u32 v10, -4, v12
	global_load_b128 v[38:41], v[42:43], off
	global_load_b64 v[64:65], v13, s[10:11] scale_offset
	s_wait_xcnt 0x0
	v_add_nc_u32_e32 v13, 6, v17
	v_lshl_add_u64 v[46:47], v[10:11], 3, s[8:9]
	v_add_nc_u32_e32 v10, -2, v12
	global_load_b128 v[42:45], v[46:47], off
	global_load_b64 v[66:67], v13, s[10:11] scale_offset
	v_lshl_add_u64 v[50:51], v[10:11], 3, s[8:9]
	s_wait_xcnt 0x0
	v_dual_mov_b32 v13, v11 :: v_dual_add_nc_u32 v10, 7, v17
	s_delay_alu instid0(VALU_DEP_1) | instskip(SKIP_4) | instid1(VALU_DEP_2)
	v_lshl_add_u64 v[70:71], v[12:13], 3, s[8:9]
	v_add_nc_u32_e32 v12, 0x240, v12
	s_wait_loadcnt 0xc
	v_pk_fma_f32 v[0:1], v[18:19], v[54:55], v[0:1] op_sel_hi:[1,0,1]
	v_pk_fma_f32 v[8:9], v[20:21], v[54:55], v[8:9] op_sel_hi:[1,0,1]
	v_pk_fma_f32 v[0:1], v[18:19], v[54:55], v[0:1] op_sel:[1,1,0] op_sel_hi:[0,1,1] neg_lo:[1,0,0]
	s_wait_loadcnt 0xb
	v_mov_b32_e32 v19, v24
	global_load_b128 v[46:49], v[50:51], off
	global_load_b64 v[68:69], v10, s[10:11] scale_offset
	s_wait_xcnt 0x0
	v_add_nc_u32_e32 v10, 8, v17
	global_load_b128 v[50:53], v[70:71], off
	global_load_b64 v[72:73], v10, s[10:11] scale_offset
	s_wait_xcnt 0x1
	v_xor_b32_e32 v70, 0x80000000, v21
	v_mov_b32_e32 v71, v20
	v_xor_b32_e32 v18, 0x80000000, v25
	s_wait_loadcnt 0xe
	v_pk_fma_f32 v[0:1], v[22:23], v[56:57], v[0:1] op_sel_hi:[1,0,1]
	s_delay_alu instid0(VALU_DEP_3) | instskip(NEXT) | instid1(VALU_DEP_2)
	v_pk_fma_f32 v[8:9], v[70:71], v[54:55], v[8:9] op_sel:[0,1,0]
	v_pk_fma_f32 v[0:1], v[22:23], v[56:57], v[0:1] op_sel:[1,1,0] op_sel_hi:[0,1,1] neg_lo:[1,0,0]
	s_delay_alu instid0(VALU_DEP_2) | instskip(SKIP_1) | instid1(VALU_DEP_2)
	v_pk_fma_f32 v[8:9], v[24:25], v[56:57], v[8:9] op_sel_hi:[1,0,1]
	s_wait_loadcnt 0xc
	v_pk_fma_f32 v[0:1], v[26:27], v[58:59], v[0:1] op_sel_hi:[1,0,1]
	s_delay_alu instid0(VALU_DEP_2) | instskip(SKIP_2) | instid1(VALU_DEP_4)
	v_pk_fma_f32 v[8:9], v[18:19], v[56:57], v[8:9] op_sel:[0,1,0]
	v_xor_b32_e32 v18, 0x80000000, v29
	v_mov_b32_e32 v19, v28
	v_pk_fma_f32 v[0:1], v[26:27], v[58:59], v[0:1] op_sel:[1,1,0] op_sel_hi:[0,1,1] neg_lo:[1,0,0]
	s_delay_alu instid0(VALU_DEP_4) | instskip(SKIP_1) | instid1(VALU_DEP_2)
	v_pk_fma_f32 v[8:9], v[28:29], v[58:59], v[8:9] op_sel_hi:[1,0,1]
	s_wait_loadcnt 0xa
	v_pk_fma_f32 v[0:1], v[30:31], v[60:61], v[0:1] op_sel_hi:[1,0,1]
	s_delay_alu instid0(VALU_DEP_2) | instskip(SKIP_2) | instid1(VALU_DEP_4)
	v_pk_fma_f32 v[8:9], v[18:19], v[58:59], v[8:9] op_sel:[0,1,0]
	v_xor_b32_e32 v18, 0x80000000, v33
	v_mov_b32_e32 v19, v32
	v_pk_fma_f32 v[0:1], v[30:31], v[60:61], v[0:1] op_sel:[1,1,0] op_sel_hi:[0,1,1] neg_lo:[1,0,0]
	s_delay_alu instid0(VALU_DEP_4) | instskip(SKIP_1) | instid1(VALU_DEP_2)
	;; [unrolled: 9-line block ×4, first 2 shown]
	v_pk_fma_f32 v[8:9], v[40:41], v[64:65], v[8:9] op_sel_hi:[1,0,1]
	s_wait_loadcnt 0x4
	v_pk_fma_f32 v[0:1], v[42:43], v[66:67], v[0:1] op_sel_hi:[1,0,1]
	s_delay_alu instid0(VALU_DEP_2) | instskip(SKIP_2) | instid1(VALU_DEP_4)
	v_pk_fma_f32 v[8:9], v[18:19], v[64:65], v[8:9] op_sel:[0,1,0]
	v_xor_b32_e32 v18, 0x80000000, v45
	v_mov_b32_e32 v19, v44
	v_pk_fma_f32 v[0:1], v[42:43], v[66:67], v[0:1] op_sel:[1,1,0] op_sel_hi:[0,1,1] neg_lo:[1,0,0]
	s_delay_alu instid0(VALU_DEP_4) | instskip(NEXT) | instid1(VALU_DEP_1)
	v_pk_fma_f32 v[8:9], v[44:45], v[66:67], v[8:9] op_sel_hi:[1,0,1]
	v_pk_fma_f32 v[8:9], v[18:19], v[66:67], v[8:9] op_sel:[0,1,0]
	s_wait_loadcnt 0x3
	v_xor_b32_e32 v18, 0x80000000, v49
	v_mov_b32_e32 v19, v48
	s_wait_loadcnt 0x2
	v_pk_fma_f32 v[0:1], v[46:47], v[68:69], v[0:1] op_sel_hi:[1,0,1]
	v_pk_fma_f32 v[8:9], v[48:49], v[68:69], v[8:9] op_sel_hi:[1,0,1]
	s_delay_alu instid0(VALU_DEP_2) | instskip(NEXT) | instid1(VALU_DEP_2)
	v_pk_fma_f32 v[0:1], v[46:47], v[68:69], v[0:1] op_sel:[1,1,0] op_sel_hi:[0,1,1] neg_lo:[1,0,0]
	v_pk_fma_f32 v[8:9], v[18:19], v[68:69], v[8:9] op_sel:[0,1,0]
	s_wait_loadcnt 0x1
	v_xor_b32_e32 v18, 0x80000000, v53
	v_mov_b32_e32 v19, v52
	s_wait_loadcnt 0x0
	v_pk_fma_f32 v[0:1], v[50:51], v[72:73], v[0:1] op_sel_hi:[1,0,1]
	v_pk_fma_f32 v[8:9], v[52:53], v[72:73], v[8:9] op_sel_hi:[1,0,1]
	s_delay_alu instid0(VALU_DEP_2) | instskip(NEXT) | instid1(VALU_DEP_2)
	v_pk_fma_f32 v[0:1], v[50:51], v[72:73], v[0:1] op_sel:[1,1,0] op_sel_hi:[0,1,1] neg_lo:[1,0,0]
	v_pk_fma_f32 v[8:9], v[18:19], v[72:73], v[8:9] op_sel:[0,1,0]
	s_and_not1_b32 exec_lo, exec_lo, s4
	s_cbranch_execnz .LBB190_5
; %bb.6:
	s_or_b32 exec_lo, exec_lo, s4
.LBB190_7:
	s_delay_alu instid0(SALU_CYCLE_1)
	s_or_b32 exec_lo, exec_lo, s3
	s_cbranch_execz .LBB190_9
	s_branch .LBB190_14
.LBB190_8:
                                        ; implicit-def: $vgpr1
                                        ; implicit-def: $vgpr9
.LBB190_9:
	v_mov_b32_e32 v1, 0
	s_delay_alu instid0(VALU_DEP_1)
	v_dual_mov_b32 v0, v1 :: v_dual_mov_b32 v9, v1
	v_mov_b32_e32 v8, v1
	s_and_saveexec_b32 s3, s2
	s_cbranch_execz .LBB190_13
; %bb.10:
	v_mad_u32 v12, v15, 18, 17
	v_mov_b32_e32 v11, 0
	s_mov_b32 s2, 0
	s_delay_alu instid0(VALU_DEP_1)
	v_dual_mov_b32 v8, v11 :: v_dual_mov_b32 v9, v11
	v_dual_mov_b32 v0, v11 :: v_dual_mov_b32 v1, v11
.LBB190_11:                             ; =>This Inner Loop Header: Depth=1
	global_load_b32 v13, v15, s[6:7] scale_offset
	v_subrev_nc_u32_e32 v10, 17, v12
	v_dual_add_nc_u32 v26, -8, v12 :: v_dual_add_nc_u32 v27, -7, v12
	v_dual_add_nc_u32 v34, -15, v12 :: v_dual_add_nc_u32 v35, -6, v12
	s_delay_alu instid0(VALU_DEP_3)
	v_lshl_add_u64 v[20:21], v[10:11], 3, s[8:9]
	v_dual_add_nc_u32 v58, -12, v12 :: v_dual_add_nc_u32 v59, -3, v12
	s_clause 0x2
	global_load_b64 v[22:23], v27, s[8:9] scale_offset
	global_load_b64 v[24:25], v26, s[8:9] scale_offset
	global_load_b128 v[16:19], v[20:21], off
	v_dual_add_nc_u32 v60, -11, v12 :: v_dual_add_nc_u32 v61, -2, v12
	s_wait_xcnt 0x3
	v_dual_add_nc_u32 v15, 32, v15 :: v_dual_add_nc_u32 v64, -10, v12
	v_dual_add_nc_u32 v56, -13, v12 :: v_dual_add_nc_u32 v65, -9, v12
	s_delay_alu instid0(VALU_DEP_2) | instskip(SKIP_3) | instid1(VALU_DEP_1)
	v_cmp_ge_i32_e32 vcc_lo, v15, v14
	s_or_b32 s2, vcc_lo, s2
	s_wait_loadcnt 0x3
	v_subrev_nc_u32_e32 v10, s12, v13
	v_lshl_add_u32 v10, v10, 3, v10
	v_dual_add_nc_u32 v40, -14, v12 :: v_dual_add_nc_u32 v57, -4, v12
	s_delay_alu instid0(VALU_DEP_2)
	v_add_nc_u32_e32 v36, 2, v10
	global_load_b64 v[20:21], v10, s[10:11] scale_offset
	v_dual_add_nc_u32 v13, 1, v10 :: v_dual_add_nc_u32 v41, 3, v10
	v_dual_add_nc_u32 v62, 4, v10 :: v_dual_add_nc_u32 v66, 5, v10
	global_load_b64 v[26:27], v13, s[10:11] scale_offset
	s_clause 0x1
	global_load_b64 v[28:29], v34, s[8:9] scale_offset
	global_load_b64 v[30:31], v35, s[8:9] scale_offset
	;; [unrolled: 1-line block ×3, first 2 shown]
	s_wait_xcnt 0x3
	v_add_nc_u32_e32 v13, -5, v12
	s_clause 0x1
	global_load_b64 v[34:35], v40, s[8:9] scale_offset
	global_load_b64 v[36:37], v13, s[8:9] scale_offset
	;; [unrolled: 1-line block ×3, first 2 shown]
	s_clause 0x3
	global_load_b64 v[40:41], v12, s[8:9] scale_offset
	global_load_b64 v[42:43], v56, s[8:9] scale_offset
	;; [unrolled: 1-line block ×5, first 2 shown]
	s_clause 0x2
	global_load_b64 v[50:51], v60, s[8:9] scale_offset
	global_load_b64 v[52:53], v59, s[8:9] scale_offset
	;; [unrolled: 1-line block ×3, first 2 shown]
	v_add_nc_u32_e32 v13, -1, v12
	s_clause 0x2
	global_load_b64 v[56:57], v64, s[8:9] scale_offset
	global_load_b64 v[58:59], v13, s[8:9] scale_offset
	;; [unrolled: 1-line block ×4, first 2 shown]
	s_wait_xcnt 0x2
	v_add_nc_u32_e32 v13, 6, v10
	v_add_nc_u32_e32 v12, 0x240, v12
	global_load_b64 v[64:65], v13, s[10:11] scale_offset
	s_wait_xcnt 0x0
	v_dual_add_nc_u32 v13, 7, v10 :: v_dual_add_nc_u32 v10, 8, v10
	s_wait_loadcnt 0x14
	v_pk_fma_f32 v[8:9], v[24:25], v[20:21], v[8:9] op_sel_hi:[1,0,1]
	v_pk_fma_f32 v[0:1], v[16:17], v[20:21], v[0:1] op_sel_hi:[1,0,1]
	s_delay_alu instid0(VALU_DEP_2) | instskip(NEXT) | instid1(VALU_DEP_2)
	v_pk_fma_f32 v[8:9], v[24:25], v[20:21], v[8:9] op_sel:[1,1,0] op_sel_hi:[0,1,1] neg_lo:[1,0,0]
	v_pk_fma_f32 v[0:1], v[16:17], v[20:21], v[0:1] op_sel:[1,1,0] op_sel_hi:[0,1,1] neg_lo:[1,0,0]
	v_mov_b32_e32 v17, v18
	global_load_b64 v[24:25], v13, s[10:11] scale_offset
	v_xor_b32_e32 v16, 0x80000000, v19
	s_wait_loadcnt 0x14
	v_pk_fma_f32 v[8:9], v[22:23], v[26:27], v[8:9] op_sel_hi:[1,0,1]
	v_pk_fma_f32 v[0:1], v[18:19], v[26:27], v[0:1] op_sel_hi:[1,0,1]
	global_load_b64 v[18:19], v10, s[10:11] scale_offset
	v_pk_fma_f32 v[8:9], v[22:23], v[26:27], v[8:9] op_sel:[1,1,0] op_sel_hi:[0,1,1] neg_lo:[1,0,0]
	v_pk_fma_f32 v[0:1], v[16:17], v[26:27], v[0:1] op_sel:[0,1,0]
	s_wait_loadcnt 0x12
	s_delay_alu instid0(VALU_DEP_2) | instskip(NEXT) | instid1(VALU_DEP_2)
	v_pk_fma_f32 v[8:9], v[30:31], v[32:33], v[8:9] op_sel_hi:[1,0,1]
	v_pk_fma_f32 v[0:1], v[28:29], v[32:33], v[0:1] op_sel_hi:[1,0,1]
	s_delay_alu instid0(VALU_DEP_2) | instskip(NEXT) | instid1(VALU_DEP_2)
	v_pk_fma_f32 v[8:9], v[30:31], v[32:33], v[8:9] op_sel:[1,1,0] op_sel_hi:[0,1,1] neg_lo:[1,0,0]
	v_pk_fma_f32 v[0:1], v[28:29], v[32:33], v[0:1] op_sel:[1,1,0] op_sel_hi:[0,1,1] neg_lo:[1,0,0]
	s_wait_loadcnt 0xf
	s_delay_alu instid0(VALU_DEP_2) | instskip(NEXT) | instid1(VALU_DEP_2)
	v_pk_fma_f32 v[8:9], v[36:37], v[38:39], v[8:9] op_sel_hi:[1,0,1]
	v_pk_fma_f32 v[0:1], v[34:35], v[38:39], v[0:1] op_sel_hi:[1,0,1]
	s_delay_alu instid0(VALU_DEP_2) | instskip(NEXT) | instid1(VALU_DEP_2)
	v_pk_fma_f32 v[8:9], v[36:37], v[38:39], v[8:9] op_sel:[1,1,0] op_sel_hi:[0,1,1] neg_lo:[1,0,0]
	v_pk_fma_f32 v[0:1], v[34:35], v[38:39], v[0:1] op_sel:[1,1,0] op_sel_hi:[0,1,1] neg_lo:[1,0,0]
	s_wait_loadcnt 0xa
	s_delay_alu instid0(VALU_DEP_2) | instskip(NEXT) | instid1(VALU_DEP_2)
	v_pk_fma_f32 v[8:9], v[46:47], v[48:49], v[8:9] op_sel_hi:[1,0,1]
	v_pk_fma_f32 v[0:1], v[42:43], v[48:49], v[0:1] op_sel_hi:[1,0,1]
	s_delay_alu instid0(VALU_DEP_2) | instskip(NEXT) | instid1(VALU_DEP_2)
	v_pk_fma_f32 v[8:9], v[46:47], v[48:49], v[8:9] op_sel:[1,1,0] op_sel_hi:[0,1,1] neg_lo:[1,0,0]
	v_pk_fma_f32 v[0:1], v[42:43], v[48:49], v[0:1] op_sel:[1,1,0] op_sel_hi:[0,1,1] neg_lo:[1,0,0]
	s_wait_loadcnt 0x3
	s_delay_alu instid0(VALU_DEP_2) | instskip(NEXT) | instid1(VALU_DEP_2)
	v_pk_fma_f32 v[8:9], v[52:53], v[62:63], v[8:9] op_sel_hi:[1,0,1]
	v_pk_fma_f32 v[0:1], v[44:45], v[62:63], v[0:1] op_sel_hi:[1,0,1]
	s_delay_alu instid0(VALU_DEP_2) | instskip(NEXT) | instid1(VALU_DEP_2)
	v_pk_fma_f32 v[8:9], v[52:53], v[62:63], v[8:9] op_sel:[1,1,0] op_sel_hi:[0,1,1] neg_lo:[1,0,0]
	v_pk_fma_f32 v[0:1], v[44:45], v[62:63], v[0:1] op_sel:[1,1,0] op_sel_hi:[0,1,1] neg_lo:[1,0,0]
	s_wait_loadcnt 0x2
	s_delay_alu instid0(VALU_DEP_2) | instskip(NEXT) | instid1(VALU_DEP_2)
	v_pk_fma_f32 v[8:9], v[54:55], v[64:65], v[8:9] op_sel_hi:[1,0,1]
	v_pk_fma_f32 v[0:1], v[50:51], v[64:65], v[0:1] op_sel_hi:[1,0,1]
	s_delay_alu instid0(VALU_DEP_2) | instskip(NEXT) | instid1(VALU_DEP_2)
	v_pk_fma_f32 v[8:9], v[54:55], v[64:65], v[8:9] op_sel:[1,1,0] op_sel_hi:[0,1,1] neg_lo:[1,0,0]
	v_pk_fma_f32 v[0:1], v[50:51], v[64:65], v[0:1] op_sel:[1,1,0] op_sel_hi:[0,1,1] neg_lo:[1,0,0]
	s_wait_loadcnt 0x1
	s_delay_alu instid0(VALU_DEP_1) | instskip(NEXT) | instid1(VALU_DEP_3)
	v_pk_fma_f32 v[0:1], v[56:57], v[24:25], v[0:1] op_sel_hi:[1,0,1]
	v_pk_fma_f32 v[8:9], v[58:59], v[24:25], v[8:9] op_sel_hi:[1,0,1]
	s_delay_alu instid0(VALU_DEP_2) | instskip(NEXT) | instid1(VALU_DEP_2)
	v_pk_fma_f32 v[0:1], v[56:57], v[24:25], v[0:1] op_sel:[1,1,0] op_sel_hi:[0,1,1] neg_lo:[1,0,0]
	v_pk_fma_f32 v[8:9], v[58:59], v[24:25], v[8:9] op_sel:[1,1,0] op_sel_hi:[0,1,1] neg_lo:[1,0,0]
	s_wait_loadcnt 0x0
	s_delay_alu instid0(VALU_DEP_2) | instskip(NEXT) | instid1(VALU_DEP_2)
	v_pk_fma_f32 v[0:1], v[60:61], v[18:19], v[0:1] op_sel_hi:[1,0,1]
	v_pk_fma_f32 v[8:9], v[40:41], v[18:19], v[8:9] op_sel_hi:[1,0,1]
	s_delay_alu instid0(VALU_DEP_2) | instskip(NEXT) | instid1(VALU_DEP_2)
	v_pk_fma_f32 v[0:1], v[60:61], v[18:19], v[0:1] op_sel:[1,1,0] op_sel_hi:[0,1,1] neg_lo:[1,0,0]
	v_pk_fma_f32 v[8:9], v[40:41], v[18:19], v[8:9] op_sel:[1,1,0] op_sel_hi:[0,1,1] neg_lo:[1,0,0]
	s_and_not1_b32 exec_lo, exec_lo, s2
	s_cbranch_execnz .LBB190_11
; %bb.12:
	s_or_b32 exec_lo, exec_lo, s2
.LBB190_13:
	s_delay_alu instid0(SALU_CYCLE_1)
	s_or_b32 exec_lo, exec_lo, s3
.LBB190_14:
	v_mbcnt_lo_u32_b32 v10, -1, 0
	s_delay_alu instid0(VALU_DEP_1) | instskip(SKIP_1) | instid1(VALU_DEP_1)
	v_xor_b32_e32 v15, 8, v10
	v_xor_b32_e32 v11, 16, v10
	v_cmp_gt_i32_e32 vcc_lo, 32, v11
	v_cndmask_b32_e32 v11, v10, v11, vcc_lo
	s_delay_alu instid0(VALU_DEP_1)
	v_lshlrev_b32_e32 v11, 2, v11
	ds_bpermute_b32 v13, v11, v1
	s_wait_dscnt 0x0
	v_add_f32_e32 v1, v1, v13
	ds_bpermute_b32 v12, v11, v0
	ds_bpermute_b32 v14, v11, v8
	;; [unrolled: 1-line block ×3, first 2 shown]
	s_wait_dscnt 0x2
	v_add_f32_e32 v0, v0, v12
	s_wait_dscnt 0x0
	v_dual_add_f32 v8, v8, v14 :: v_dual_add_f32 v9, v9, v11
	v_cmp_gt_i32_e32 vcc_lo, 32, v15
	v_cndmask_b32_e32 v15, v10, v15, vcc_lo
	s_delay_alu instid0(VALU_DEP_1)
	v_lshlrev_b32_e32 v15, 2, v15
	ds_bpermute_b32 v11, v15, v0
	ds_bpermute_b32 v12, v15, v1
	;; [unrolled: 1-line block ×4, first 2 shown]
	s_wait_dscnt 0x3
	v_dual_add_f32 v0, v0, v11 :: v_dual_bitop2_b32 v15, 4, v10 bitop3:0x14
	s_delay_alu instid0(VALU_DEP_1)
	v_cmp_gt_i32_e32 vcc_lo, 32, v15
	s_wait_dscnt 0x2
	v_add_f32_e32 v1, v1, v12
	s_wait_dscnt 0x0
	v_dual_add_f32 v9, v9, v14 :: v_dual_add_f32 v8, v8, v13
	v_cndmask_b32_e32 v15, v10, v15, vcc_lo
	s_delay_alu instid0(VALU_DEP_1)
	v_lshlrev_b32_e32 v15, 2, v15
	ds_bpermute_b32 v11, v15, v0
	ds_bpermute_b32 v12, v15, v1
	ds_bpermute_b32 v13, v15, v8
	ds_bpermute_b32 v14, v15, v9
	s_wait_dscnt 0x3
	v_dual_add_f32 v0, v0, v11 :: v_dual_bitop2_b32 v15, 2, v10 bitop3:0x14
	s_delay_alu instid0(VALU_DEP_1) | instskip(SKIP_4) | instid1(VALU_DEP_2)
	v_cmp_gt_i32_e32 vcc_lo, 32, v15
	s_wait_dscnt 0x2
	v_dual_add_f32 v1, v1, v12 :: v_dual_cndmask_b32 v15, v10, v15, vcc_lo
	s_wait_dscnt 0x0
	v_dual_add_f32 v11, v8, v13 :: v_dual_add_f32 v9, v9, v14
	v_lshlrev_b32_e32 v15, 2, v15
	ds_bpermute_b32 v8, v15, v0
	ds_bpermute_b32 v12, v15, v1
	;; [unrolled: 1-line block ×4, first 2 shown]
	s_wait_dscnt 0x3
	v_dual_add_f32 v0, v0, v8 :: v_dual_bitop2_b32 v15, 1, v10 bitop3:0x14
	s_delay_alu instid0(VALU_DEP_1)
	v_cmp_gt_i32_e32 vcc_lo, 32, v15
	s_wait_dscnt 0x1
	v_dual_add_f32 v8, v1, v12 :: v_dual_add_f32 v1, v11, v13
	s_wait_dscnt 0x0
	v_dual_add_f32 v9, v9, v14 :: v_dual_cndmask_b32 v10, v10, v15
	v_cmp_eq_u32_e32 vcc_lo, 31, v7
	s_delay_alu instid0(VALU_DEP_2)
	v_lshlrev_b32_e32 v15, 2, v10
	ds_bpermute_b32 v12, v15, v0
	ds_bpermute_b32 v13, v15, v8
	;; [unrolled: 1-line block ×4, first 2 shown]
	s_and_b32 exec_lo, exec_lo, vcc_lo
	s_cbranch_execz .LBB190_19
; %bb.15:
	s_load_b64 s[2:3], s[0:1], 0x38
	v_cmp_eq_f32_e32 vcc_lo, 0, v4
	s_wait_xcnt 0x0
	v_cmp_eq_f32_e64 s0, 0, v5
	s_wait_dscnt 0x3
	v_add_f32_e32 v0, v0, v12
	s_wait_dscnt 0x1
	v_dual_add_f32 v12, v8, v13 :: v_dual_add_f32 v8, v1, v10
	s_wait_dscnt 0x0
	v_add_f32_e32 v10, v9, v11
	s_and_b32 s0, vcc_lo, s0
	s_delay_alu instid0(SALU_CYCLE_1) | instskip(NEXT) | instid1(SALU_CYCLE_1)
	s_and_saveexec_b32 s1, s0
	s_xor_b32 s0, exec_lo, s1
	s_cbranch_execz .LBB190_17
; %bb.16:
	v_xor_b32_e32 v4, 0x80000000, v3
	v_dual_mov_b32 v5, v2 :: v_dual_lshlrev_b32 v6, 1, v6
	s_delay_alu instid0(VALU_DEP_1) | instskip(NEXT) | instid1(VALU_DEP_2)
	v_ashrrev_i32_e32 v7, 31, v6
	v_pk_mul_f32 v[12:13], v[12:13], v[4:5] op_sel_hi:[0,1]
	v_pk_mul_f32 v[4:5], v[10:11], v[4:5] op_sel_hi:[0,1]
                                        ; implicit-def: $vgpr10
	s_wait_kmcnt 0x0
	s_delay_alu instid0(VALU_DEP_3) | instskip(NEXT) | instid1(VALU_DEP_3)
	v_lshl_add_u64 v[6:7], v[6:7], 3, s[2:3]
	v_pk_fma_f32 v[0:1], v[2:3], v[0:1], v[12:13] op_sel_hi:[1,0,1]
	s_delay_alu instid0(VALU_DEP_3)
	v_pk_fma_f32 v[2:3], v[2:3], v[8:9], v[4:5] op_sel_hi:[1,0,1]
                                        ; implicit-def: $vgpr4_vgpr5
                                        ; implicit-def: $vgpr12
                                        ; implicit-def: $vgpr8
	global_store_b128 v[6:7], v[0:3], off
                                        ; implicit-def: $vgpr6
                                        ; implicit-def: $vgpr2_vgpr3
                                        ; implicit-def: $vgpr0
.LBB190_17:
	s_wait_xcnt 0x0
	s_and_not1_saveexec_b32 s0, s0
	s_cbranch_execz .LBB190_19
; %bb.18:
	v_dual_mov_b32 v19, v2 :: v_dual_lshlrev_b32 v6, 1, v6
	v_xor_b32_e32 v18, 0x80000000, v3
	s_delay_alu instid0(VALU_DEP_2) | instskip(NEXT) | instid1(VALU_DEP_2)
	v_ashrrev_i32_e32 v7, 31, v6
	v_pk_mul_f32 v[12:13], v[12:13], v[18:19] op_sel_hi:[0,1]
	v_pk_mul_f32 v[10:11], v[10:11], v[18:19] op_sel_hi:[0,1]
	s_delay_alu instid0(VALU_DEP_2) | instskip(NEXT) | instid1(VALU_DEP_2)
	v_pk_fma_f32 v[0:1], v[2:3], v[0:1], v[12:13] op_sel_hi:[1,0,1]
	v_pk_fma_f32 v[2:3], v[2:3], v[8:9], v[10:11] op_sel_hi:[1,0,1]
	v_mov_b32_e32 v9, v4
	s_wait_kmcnt 0x0
	v_lshl_add_u64 v[6:7], v[6:7], 3, s[2:3]
	v_xor_b32_e32 v8, 0x80000000, v5
	global_load_b128 v[14:17], v[6:7], off
	s_wait_loadcnt 0x0
	v_pk_fma_f32 v[0:1], v[4:5], v[14:15], v[0:1] op_sel_hi:[1,0,1]
	v_pk_fma_f32 v[2:3], v[4:5], v[16:17], v[2:3] op_sel_hi:[1,0,1]
	v_mov_b32_e32 v4, v17
	s_delay_alu instid0(VALU_DEP_3) | instskip(NEXT) | instid1(VALU_DEP_2)
	v_pk_fma_f32 v[0:1], v[8:9], v[14:15], v[0:1] op_sel:[0,1,0]
	v_pk_fma_f32 v[2:3], v[8:9], v[4:5], v[2:3] op_sel_hi:[1,0,1]
	global_store_b128 v[6:7], v[0:3], off
.LBB190_19:
	s_sendmsg sendmsg(MSG_DEALLOC_VGPRS)
	s_endpgm
	.section	.rodata,"a",@progbits
	.p2align	6, 0x0
	.amdhsa_kernel _ZN9rocsparseL19gebsrmvn_2xn_kernelILj128ELj9ELj32E21rocsparse_complex_numIfEEEvi20rocsparse_direction_NS_24const_host_device_scalarIT2_EEPKiS8_PKS5_SA_S6_PS5_21rocsparse_index_base_b
		.amdhsa_group_segment_fixed_size 0
		.amdhsa_private_segment_fixed_size 0
		.amdhsa_kernarg_size 72
		.amdhsa_user_sgpr_count 2
		.amdhsa_user_sgpr_dispatch_ptr 0
		.amdhsa_user_sgpr_queue_ptr 0
		.amdhsa_user_sgpr_kernarg_segment_ptr 1
		.amdhsa_user_sgpr_dispatch_id 0
		.amdhsa_user_sgpr_kernarg_preload_length 0
		.amdhsa_user_sgpr_kernarg_preload_offset 0
		.amdhsa_user_sgpr_private_segment_size 0
		.amdhsa_wavefront_size32 1
		.amdhsa_uses_dynamic_stack 0
		.amdhsa_enable_private_segment 0
		.amdhsa_system_sgpr_workgroup_id_x 1
		.amdhsa_system_sgpr_workgroup_id_y 0
		.amdhsa_system_sgpr_workgroup_id_z 0
		.amdhsa_system_sgpr_workgroup_info 0
		.amdhsa_system_vgpr_workitem_id 0
		.amdhsa_next_free_vgpr 74
		.amdhsa_next_free_sgpr 14
		.amdhsa_named_barrier_count 0
		.amdhsa_reserve_vcc 1
		.amdhsa_float_round_mode_32 0
		.amdhsa_float_round_mode_16_64 0
		.amdhsa_float_denorm_mode_32 3
		.amdhsa_float_denorm_mode_16_64 3
		.amdhsa_fp16_overflow 0
		.amdhsa_memory_ordered 1
		.amdhsa_forward_progress 1
		.amdhsa_inst_pref_size 25
		.amdhsa_round_robin_scheduling 0
		.amdhsa_exception_fp_ieee_invalid_op 0
		.amdhsa_exception_fp_denorm_src 0
		.amdhsa_exception_fp_ieee_div_zero 0
		.amdhsa_exception_fp_ieee_overflow 0
		.amdhsa_exception_fp_ieee_underflow 0
		.amdhsa_exception_fp_ieee_inexact 0
		.amdhsa_exception_int_div_zero 0
	.end_amdhsa_kernel
	.section	.text._ZN9rocsparseL19gebsrmvn_2xn_kernelILj128ELj9ELj32E21rocsparse_complex_numIfEEEvi20rocsparse_direction_NS_24const_host_device_scalarIT2_EEPKiS8_PKS5_SA_S6_PS5_21rocsparse_index_base_b,"axG",@progbits,_ZN9rocsparseL19gebsrmvn_2xn_kernelILj128ELj9ELj32E21rocsparse_complex_numIfEEEvi20rocsparse_direction_NS_24const_host_device_scalarIT2_EEPKiS8_PKS5_SA_S6_PS5_21rocsparse_index_base_b,comdat
.Lfunc_end190:
	.size	_ZN9rocsparseL19gebsrmvn_2xn_kernelILj128ELj9ELj32E21rocsparse_complex_numIfEEEvi20rocsparse_direction_NS_24const_host_device_scalarIT2_EEPKiS8_PKS5_SA_S6_PS5_21rocsparse_index_base_b, .Lfunc_end190-_ZN9rocsparseL19gebsrmvn_2xn_kernelILj128ELj9ELj32E21rocsparse_complex_numIfEEEvi20rocsparse_direction_NS_24const_host_device_scalarIT2_EEPKiS8_PKS5_SA_S6_PS5_21rocsparse_index_base_b
                                        ; -- End function
	.set _ZN9rocsparseL19gebsrmvn_2xn_kernelILj128ELj9ELj32E21rocsparse_complex_numIfEEEvi20rocsparse_direction_NS_24const_host_device_scalarIT2_EEPKiS8_PKS5_SA_S6_PS5_21rocsparse_index_base_b.num_vgpr, 74
	.set _ZN9rocsparseL19gebsrmvn_2xn_kernelILj128ELj9ELj32E21rocsparse_complex_numIfEEEvi20rocsparse_direction_NS_24const_host_device_scalarIT2_EEPKiS8_PKS5_SA_S6_PS5_21rocsparse_index_base_b.num_agpr, 0
	.set _ZN9rocsparseL19gebsrmvn_2xn_kernelILj128ELj9ELj32E21rocsparse_complex_numIfEEEvi20rocsparse_direction_NS_24const_host_device_scalarIT2_EEPKiS8_PKS5_SA_S6_PS5_21rocsparse_index_base_b.numbered_sgpr, 14
	.set _ZN9rocsparseL19gebsrmvn_2xn_kernelILj128ELj9ELj32E21rocsparse_complex_numIfEEEvi20rocsparse_direction_NS_24const_host_device_scalarIT2_EEPKiS8_PKS5_SA_S6_PS5_21rocsparse_index_base_b.num_named_barrier, 0
	.set _ZN9rocsparseL19gebsrmvn_2xn_kernelILj128ELj9ELj32E21rocsparse_complex_numIfEEEvi20rocsparse_direction_NS_24const_host_device_scalarIT2_EEPKiS8_PKS5_SA_S6_PS5_21rocsparse_index_base_b.private_seg_size, 0
	.set _ZN9rocsparseL19gebsrmvn_2xn_kernelILj128ELj9ELj32E21rocsparse_complex_numIfEEEvi20rocsparse_direction_NS_24const_host_device_scalarIT2_EEPKiS8_PKS5_SA_S6_PS5_21rocsparse_index_base_b.uses_vcc, 1
	.set _ZN9rocsparseL19gebsrmvn_2xn_kernelILj128ELj9ELj32E21rocsparse_complex_numIfEEEvi20rocsparse_direction_NS_24const_host_device_scalarIT2_EEPKiS8_PKS5_SA_S6_PS5_21rocsparse_index_base_b.uses_flat_scratch, 1
	.set _ZN9rocsparseL19gebsrmvn_2xn_kernelILj128ELj9ELj32E21rocsparse_complex_numIfEEEvi20rocsparse_direction_NS_24const_host_device_scalarIT2_EEPKiS8_PKS5_SA_S6_PS5_21rocsparse_index_base_b.has_dyn_sized_stack, 0
	.set _ZN9rocsparseL19gebsrmvn_2xn_kernelILj128ELj9ELj32E21rocsparse_complex_numIfEEEvi20rocsparse_direction_NS_24const_host_device_scalarIT2_EEPKiS8_PKS5_SA_S6_PS5_21rocsparse_index_base_b.has_recursion, 0
	.set _ZN9rocsparseL19gebsrmvn_2xn_kernelILj128ELj9ELj32E21rocsparse_complex_numIfEEEvi20rocsparse_direction_NS_24const_host_device_scalarIT2_EEPKiS8_PKS5_SA_S6_PS5_21rocsparse_index_base_b.has_indirect_call, 0
	.section	.AMDGPU.csdata,"",@progbits
; Kernel info:
; codeLenInByte = 3184
; TotalNumSgprs: 16
; NumVgprs: 74
; ScratchSize: 0
; MemoryBound: 0
; FloatMode: 240
; IeeeMode: 1
; LDSByteSize: 0 bytes/workgroup (compile time only)
; SGPRBlocks: 0
; VGPRBlocks: 4
; NumSGPRsForWavesPerEU: 16
; NumVGPRsForWavesPerEU: 74
; NamedBarCnt: 0
; Occupancy: 12
; WaveLimiterHint : 1
; COMPUTE_PGM_RSRC2:SCRATCH_EN: 0
; COMPUTE_PGM_RSRC2:USER_SGPR: 2
; COMPUTE_PGM_RSRC2:TRAP_HANDLER: 0
; COMPUTE_PGM_RSRC2:TGID_X_EN: 1
; COMPUTE_PGM_RSRC2:TGID_Y_EN: 0
; COMPUTE_PGM_RSRC2:TGID_Z_EN: 0
; COMPUTE_PGM_RSRC2:TIDIG_COMP_CNT: 0
	.section	.text._ZN9rocsparseL19gebsrmvn_2xn_kernelILj128ELj9ELj64E21rocsparse_complex_numIfEEEvi20rocsparse_direction_NS_24const_host_device_scalarIT2_EEPKiS8_PKS5_SA_S6_PS5_21rocsparse_index_base_b,"axG",@progbits,_ZN9rocsparseL19gebsrmvn_2xn_kernelILj128ELj9ELj64E21rocsparse_complex_numIfEEEvi20rocsparse_direction_NS_24const_host_device_scalarIT2_EEPKiS8_PKS5_SA_S6_PS5_21rocsparse_index_base_b,comdat
	.globl	_ZN9rocsparseL19gebsrmvn_2xn_kernelILj128ELj9ELj64E21rocsparse_complex_numIfEEEvi20rocsparse_direction_NS_24const_host_device_scalarIT2_EEPKiS8_PKS5_SA_S6_PS5_21rocsparse_index_base_b ; -- Begin function _ZN9rocsparseL19gebsrmvn_2xn_kernelILj128ELj9ELj64E21rocsparse_complex_numIfEEEvi20rocsparse_direction_NS_24const_host_device_scalarIT2_EEPKiS8_PKS5_SA_S6_PS5_21rocsparse_index_base_b
	.p2align	8
	.type	_ZN9rocsparseL19gebsrmvn_2xn_kernelILj128ELj9ELj64E21rocsparse_complex_numIfEEEvi20rocsparse_direction_NS_24const_host_device_scalarIT2_EEPKiS8_PKS5_SA_S6_PS5_21rocsparse_index_base_b,@function
_ZN9rocsparseL19gebsrmvn_2xn_kernelILj128ELj9ELj64E21rocsparse_complex_numIfEEEvi20rocsparse_direction_NS_24const_host_device_scalarIT2_EEPKiS8_PKS5_SA_S6_PS5_21rocsparse_index_base_b: ; @_ZN9rocsparseL19gebsrmvn_2xn_kernelILj128ELj9ELj64E21rocsparse_complex_numIfEEEvi20rocsparse_direction_NS_24const_host_device_scalarIT2_EEPKiS8_PKS5_SA_S6_PS5_21rocsparse_index_base_b
; %bb.0:
	s_clause 0x2
	s_load_b64 s[12:13], s[0:1], 0x40
	s_load_b64 s[2:3], s[0:1], 0x8
	s_load_b64 s[4:5], s[0:1], 0x30
	v_mov_b32_e32 v1, 0
	s_add_nc_u64 s[6:7], s[0:1], 8
	s_add_nc_u64 s[8:9], s[0:1], 48
	s_wait_kmcnt 0x0
	s_bitcmp1_b32 s13, 0
	s_cselect_b32 s3, s7, s3
	s_cselect_b32 s2, s6, s2
	;; [unrolled: 1-line block ×4, first 2 shown]
	s_clause 0x1
	flat_load_b64 v[2:3], v1, s[2:3]
	flat_load_b64 v[4:5], v1, s[4:5]
	s_wait_loadcnt_dscnt 0x101
	v_cmp_eq_f32_e32 vcc_lo, 0, v2
	v_cmp_eq_f32_e64 s2, 0, v3
	s_wait_loadcnt_dscnt 0x0
	v_cmp_eq_f32_e64 s3, 1.0, v4
	v_cmp_eq_f32_e64 s4, 0, v5
	s_and_b32 s2, vcc_lo, s2
	s_and_b32 s3, s3, s4
	s_delay_alu instid0(SALU_CYCLE_1) | instskip(NEXT) | instid1(SALU_CYCLE_1)
	s_and_b32 s2, s2, s3
	s_xor_b32 s2, s2, -1
	s_delay_alu instid0(SALU_CYCLE_1)
	s_and_saveexec_b32 s3, s2
	s_cbranch_execz .LBB191_19
; %bb.1:
	s_load_b64 s[2:3], s[0:1], 0x0
	s_bfe_u32 s4, ttmp6, 0x4000c
	s_and_b32 s5, ttmp6, 15
	s_add_co_i32 s4, s4, 1
	s_getreg_b32 s6, hwreg(HW_REG_IB_STS2, 6, 4)
	s_mul_i32 s4, ttmp9, s4
	v_lshrrev_b32_e32 v1, 6, v0
	s_add_co_i32 s5, s5, s4
	s_cmp_eq_u32 s6, 0
	s_cselect_b32 s4, ttmp9, s5
	s_delay_alu instid0(VALU_DEP_1) | instid1(SALU_CYCLE_1)
	v_lshl_or_b32 v6, s4, 1, v1
	s_wait_kmcnt 0x0
	s_delay_alu instid0(VALU_DEP_1)
	v_cmp_gt_i32_e32 vcc_lo, s2, v6
	s_and_b32 exec_lo, exec_lo, vcc_lo
	s_cbranch_execz .LBB191_19
; %bb.2:
	s_load_b256 s[4:11], s[0:1], 0x10
	v_ashrrev_i32_e32 v7, 31, v6
	s_cmp_lg_u32 s3, 0
	s_wait_kmcnt 0x0
	s_delay_alu instid0(VALU_DEP_1)
	v_lshl_add_u64 v[8:9], v[6:7], 2, s[4:5]
	v_and_b32_e32 v7, 63, v0
	global_load_b64 v[8:9], v[8:9], off
	s_wait_loadcnt 0x0
	v_subrev_nc_u32_e32 v0, s12, v8
	v_subrev_nc_u32_e32 v14, s12, v9
	s_delay_alu instid0(VALU_DEP_2) | instskip(NEXT) | instid1(VALU_DEP_1)
	v_add_nc_u32_e32 v15, v0, v7
	v_cmp_lt_i32_e64 s2, v15, v14
	s_cbranch_scc0 .LBB191_8
; %bb.3:
	v_mov_b32_e32 v1, 0
	s_delay_alu instid0(VALU_DEP_1)
	v_dual_mov_b32 v0, v1 :: v_dual_mov_b32 v9, v1
	v_mov_b32_e32 v8, v1
	s_and_saveexec_b32 s3, s2
	s_cbranch_execz .LBB191_7
; %bb.4:
	v_mad_u32 v12, v15, 18, 16
	v_dual_mov_b32 v11, 0 :: v_dual_mov_b32 v16, v15
	s_mov_b32 s4, 0
	s_delay_alu instid0(VALU_DEP_1)
	v_dual_mov_b32 v8, v11 :: v_dual_mov_b32 v9, v11
	v_dual_mov_b32 v0, v11 :: v_dual_mov_b32 v1, v11
.LBB191_5:                              ; =>This Inner Loop Header: Depth=1
	global_load_b32 v13, v16, s[6:7] scale_offset
	s_wait_xcnt 0x0
	v_add_nc_u32_e32 v16, 64, v16
	s_delay_alu instid0(VALU_DEP_1) | instskip(SKIP_3) | instid1(VALU_DEP_1)
	v_cmp_ge_i32_e32 vcc_lo, v16, v14
	s_or_b32 s4, vcc_lo, s4
	s_wait_loadcnt 0x0
	v_subrev_nc_u32_e32 v13, s12, v13
	v_lshl_add_u32 v17, v13, 3, v13
	s_delay_alu instid0(VALU_DEP_1) | instskip(NEXT) | instid1(VALU_DEP_1)
	v_dual_add_nc_u32 v10, -16, v12 :: v_dual_add_nc_u32 v13, 1, v17
	v_lshl_add_u64 v[22:23], v[10:11], 3, s[8:9]
	v_add_nc_u32_e32 v10, -14, v12
	global_load_b128 v[18:21], v[22:23], off
	global_load_b64 v[54:55], v17, s[10:11] scale_offset
	v_lshl_add_u64 v[26:27], v[10:11], 3, s[8:9]
	global_load_b128 v[22:25], v[26:27], off
	global_load_b64 v[56:57], v13, s[10:11] scale_offset
	s_wait_xcnt 0x0
	v_dual_add_nc_u32 v10, -12, v12 :: v_dual_add_nc_u32 v13, 2, v17
	s_delay_alu instid0(VALU_DEP_1)
	v_lshl_add_u64 v[30:31], v[10:11], 3, s[8:9]
	v_add_nc_u32_e32 v10, -10, v12
	global_load_b128 v[26:29], v[30:31], off
	global_load_b64 v[58:59], v13, s[10:11] scale_offset
	v_lshl_add_u64 v[34:35], v[10:11], 3, s[8:9]
	s_wait_xcnt 0x0
	v_dual_add_nc_u32 v13, 3, v17 :: v_dual_add_nc_u32 v10, -8, v12
	global_load_b128 v[30:33], v[34:35], off
	global_load_b64 v[60:61], v13, s[10:11] scale_offset
	s_wait_xcnt 0x0
	v_add_nc_u32_e32 v13, 4, v17
	v_lshl_add_u64 v[38:39], v[10:11], 3, s[8:9]
	v_add_nc_u32_e32 v10, -6, v12
	global_load_b128 v[34:37], v[38:39], off
	global_load_b64 v[62:63], v13, s[10:11] scale_offset
	v_lshl_add_u64 v[42:43], v[10:11], 3, s[8:9]
	s_wait_xcnt 0x0
	v_dual_add_nc_u32 v13, 5, v17 :: v_dual_add_nc_u32 v10, -4, v12
	global_load_b128 v[38:41], v[42:43], off
	global_load_b64 v[64:65], v13, s[10:11] scale_offset
	s_wait_xcnt 0x0
	v_add_nc_u32_e32 v13, 6, v17
	v_lshl_add_u64 v[46:47], v[10:11], 3, s[8:9]
	v_add_nc_u32_e32 v10, -2, v12
	global_load_b128 v[42:45], v[46:47], off
	global_load_b64 v[66:67], v13, s[10:11] scale_offset
	v_lshl_add_u64 v[50:51], v[10:11], 3, s[8:9]
	s_wait_xcnt 0x0
	v_dual_mov_b32 v13, v11 :: v_dual_add_nc_u32 v10, 7, v17
	s_delay_alu instid0(VALU_DEP_1) | instskip(SKIP_4) | instid1(VALU_DEP_2)
	v_lshl_add_u64 v[70:71], v[12:13], 3, s[8:9]
	v_add_nc_u32_e32 v12, 0x480, v12
	s_wait_loadcnt 0xc
	v_pk_fma_f32 v[0:1], v[18:19], v[54:55], v[0:1] op_sel_hi:[1,0,1]
	v_pk_fma_f32 v[8:9], v[20:21], v[54:55], v[8:9] op_sel_hi:[1,0,1]
	v_pk_fma_f32 v[0:1], v[18:19], v[54:55], v[0:1] op_sel:[1,1,0] op_sel_hi:[0,1,1] neg_lo:[1,0,0]
	s_wait_loadcnt 0xb
	v_mov_b32_e32 v19, v24
	global_load_b128 v[46:49], v[50:51], off
	global_load_b64 v[68:69], v10, s[10:11] scale_offset
	s_wait_xcnt 0x0
	v_add_nc_u32_e32 v10, 8, v17
	global_load_b128 v[50:53], v[70:71], off
	global_load_b64 v[72:73], v10, s[10:11] scale_offset
	s_wait_xcnt 0x1
	v_xor_b32_e32 v70, 0x80000000, v21
	v_mov_b32_e32 v71, v20
	v_xor_b32_e32 v18, 0x80000000, v25
	s_wait_loadcnt 0xe
	v_pk_fma_f32 v[0:1], v[22:23], v[56:57], v[0:1] op_sel_hi:[1,0,1]
	s_delay_alu instid0(VALU_DEP_3) | instskip(NEXT) | instid1(VALU_DEP_2)
	v_pk_fma_f32 v[8:9], v[70:71], v[54:55], v[8:9] op_sel:[0,1,0]
	v_pk_fma_f32 v[0:1], v[22:23], v[56:57], v[0:1] op_sel:[1,1,0] op_sel_hi:[0,1,1] neg_lo:[1,0,0]
	s_delay_alu instid0(VALU_DEP_2) | instskip(SKIP_1) | instid1(VALU_DEP_2)
	v_pk_fma_f32 v[8:9], v[24:25], v[56:57], v[8:9] op_sel_hi:[1,0,1]
	s_wait_loadcnt 0xc
	v_pk_fma_f32 v[0:1], v[26:27], v[58:59], v[0:1] op_sel_hi:[1,0,1]
	s_delay_alu instid0(VALU_DEP_2) | instskip(SKIP_2) | instid1(VALU_DEP_4)
	v_pk_fma_f32 v[8:9], v[18:19], v[56:57], v[8:9] op_sel:[0,1,0]
	v_xor_b32_e32 v18, 0x80000000, v29
	v_mov_b32_e32 v19, v28
	v_pk_fma_f32 v[0:1], v[26:27], v[58:59], v[0:1] op_sel:[1,1,0] op_sel_hi:[0,1,1] neg_lo:[1,0,0]
	s_delay_alu instid0(VALU_DEP_4) | instskip(SKIP_1) | instid1(VALU_DEP_2)
	v_pk_fma_f32 v[8:9], v[28:29], v[58:59], v[8:9] op_sel_hi:[1,0,1]
	s_wait_loadcnt 0xa
	v_pk_fma_f32 v[0:1], v[30:31], v[60:61], v[0:1] op_sel_hi:[1,0,1]
	s_delay_alu instid0(VALU_DEP_2) | instskip(SKIP_2) | instid1(VALU_DEP_4)
	v_pk_fma_f32 v[8:9], v[18:19], v[58:59], v[8:9] op_sel:[0,1,0]
	v_xor_b32_e32 v18, 0x80000000, v33
	v_mov_b32_e32 v19, v32
	v_pk_fma_f32 v[0:1], v[30:31], v[60:61], v[0:1] op_sel:[1,1,0] op_sel_hi:[0,1,1] neg_lo:[1,0,0]
	s_delay_alu instid0(VALU_DEP_4) | instskip(SKIP_1) | instid1(VALU_DEP_2)
	;; [unrolled: 9-line block ×4, first 2 shown]
	v_pk_fma_f32 v[8:9], v[40:41], v[64:65], v[8:9] op_sel_hi:[1,0,1]
	s_wait_loadcnt 0x4
	v_pk_fma_f32 v[0:1], v[42:43], v[66:67], v[0:1] op_sel_hi:[1,0,1]
	s_delay_alu instid0(VALU_DEP_2) | instskip(SKIP_2) | instid1(VALU_DEP_4)
	v_pk_fma_f32 v[8:9], v[18:19], v[64:65], v[8:9] op_sel:[0,1,0]
	v_xor_b32_e32 v18, 0x80000000, v45
	v_mov_b32_e32 v19, v44
	v_pk_fma_f32 v[0:1], v[42:43], v[66:67], v[0:1] op_sel:[1,1,0] op_sel_hi:[0,1,1] neg_lo:[1,0,0]
	s_delay_alu instid0(VALU_DEP_4) | instskip(NEXT) | instid1(VALU_DEP_1)
	v_pk_fma_f32 v[8:9], v[44:45], v[66:67], v[8:9] op_sel_hi:[1,0,1]
	v_pk_fma_f32 v[8:9], v[18:19], v[66:67], v[8:9] op_sel:[0,1,0]
	s_wait_loadcnt 0x3
	v_xor_b32_e32 v18, 0x80000000, v49
	v_mov_b32_e32 v19, v48
	s_wait_loadcnt 0x2
	v_pk_fma_f32 v[0:1], v[46:47], v[68:69], v[0:1] op_sel_hi:[1,0,1]
	v_pk_fma_f32 v[8:9], v[48:49], v[68:69], v[8:9] op_sel_hi:[1,0,1]
	s_delay_alu instid0(VALU_DEP_2) | instskip(NEXT) | instid1(VALU_DEP_2)
	v_pk_fma_f32 v[0:1], v[46:47], v[68:69], v[0:1] op_sel:[1,1,0] op_sel_hi:[0,1,1] neg_lo:[1,0,0]
	v_pk_fma_f32 v[8:9], v[18:19], v[68:69], v[8:9] op_sel:[0,1,0]
	s_wait_loadcnt 0x1
	v_xor_b32_e32 v18, 0x80000000, v53
	v_mov_b32_e32 v19, v52
	s_wait_loadcnt 0x0
	v_pk_fma_f32 v[0:1], v[50:51], v[72:73], v[0:1] op_sel_hi:[1,0,1]
	v_pk_fma_f32 v[8:9], v[52:53], v[72:73], v[8:9] op_sel_hi:[1,0,1]
	s_delay_alu instid0(VALU_DEP_2) | instskip(NEXT) | instid1(VALU_DEP_2)
	v_pk_fma_f32 v[0:1], v[50:51], v[72:73], v[0:1] op_sel:[1,1,0] op_sel_hi:[0,1,1] neg_lo:[1,0,0]
	v_pk_fma_f32 v[8:9], v[18:19], v[72:73], v[8:9] op_sel:[0,1,0]
	s_and_not1_b32 exec_lo, exec_lo, s4
	s_cbranch_execnz .LBB191_5
; %bb.6:
	s_or_b32 exec_lo, exec_lo, s4
.LBB191_7:
	s_delay_alu instid0(SALU_CYCLE_1)
	s_or_b32 exec_lo, exec_lo, s3
	s_cbranch_execz .LBB191_9
	s_branch .LBB191_14
.LBB191_8:
                                        ; implicit-def: $vgpr1
                                        ; implicit-def: $vgpr9
.LBB191_9:
	v_mov_b32_e32 v1, 0
	s_delay_alu instid0(VALU_DEP_1)
	v_dual_mov_b32 v0, v1 :: v_dual_mov_b32 v9, v1
	v_mov_b32_e32 v8, v1
	s_and_saveexec_b32 s3, s2
	s_cbranch_execz .LBB191_13
; %bb.10:
	v_mad_u32 v12, v15, 18, 17
	v_mov_b32_e32 v11, 0
	s_mov_b32 s2, 0
	s_delay_alu instid0(VALU_DEP_1)
	v_dual_mov_b32 v8, v11 :: v_dual_mov_b32 v9, v11
	v_dual_mov_b32 v0, v11 :: v_dual_mov_b32 v1, v11
.LBB191_11:                             ; =>This Inner Loop Header: Depth=1
	global_load_b32 v13, v15, s[6:7] scale_offset
	v_subrev_nc_u32_e32 v10, 17, v12
	v_dual_add_nc_u32 v26, -8, v12 :: v_dual_add_nc_u32 v27, -7, v12
	v_dual_add_nc_u32 v34, -15, v12 :: v_dual_add_nc_u32 v35, -6, v12
	s_delay_alu instid0(VALU_DEP_3)
	v_lshl_add_u64 v[20:21], v[10:11], 3, s[8:9]
	v_dual_add_nc_u32 v58, -12, v12 :: v_dual_add_nc_u32 v59, -3, v12
	s_clause 0x2
	global_load_b64 v[22:23], v27, s[8:9] scale_offset
	global_load_b64 v[24:25], v26, s[8:9] scale_offset
	global_load_b128 v[16:19], v[20:21], off
	v_dual_add_nc_u32 v60, -11, v12 :: v_dual_add_nc_u32 v61, -2, v12
	s_wait_xcnt 0x3
	v_dual_add_nc_u32 v15, 64, v15 :: v_dual_add_nc_u32 v64, -10, v12
	v_dual_add_nc_u32 v56, -13, v12 :: v_dual_add_nc_u32 v65, -9, v12
	s_delay_alu instid0(VALU_DEP_2) | instskip(SKIP_3) | instid1(VALU_DEP_1)
	v_cmp_ge_i32_e32 vcc_lo, v15, v14
	s_or_b32 s2, vcc_lo, s2
	s_wait_loadcnt 0x3
	v_subrev_nc_u32_e32 v10, s12, v13
	v_lshl_add_u32 v10, v10, 3, v10
	v_dual_add_nc_u32 v40, -14, v12 :: v_dual_add_nc_u32 v57, -4, v12
	s_delay_alu instid0(VALU_DEP_2)
	v_add_nc_u32_e32 v36, 2, v10
	global_load_b64 v[20:21], v10, s[10:11] scale_offset
	v_dual_add_nc_u32 v13, 1, v10 :: v_dual_add_nc_u32 v41, 3, v10
	v_dual_add_nc_u32 v62, 4, v10 :: v_dual_add_nc_u32 v66, 5, v10
	global_load_b64 v[26:27], v13, s[10:11] scale_offset
	s_clause 0x1
	global_load_b64 v[28:29], v34, s[8:9] scale_offset
	global_load_b64 v[30:31], v35, s[8:9] scale_offset
	;; [unrolled: 1-line block ×3, first 2 shown]
	s_wait_xcnt 0x3
	v_add_nc_u32_e32 v13, -5, v12
	s_clause 0x1
	global_load_b64 v[34:35], v40, s[8:9] scale_offset
	global_load_b64 v[36:37], v13, s[8:9] scale_offset
	;; [unrolled: 1-line block ×3, first 2 shown]
	s_clause 0x3
	global_load_b64 v[40:41], v12, s[8:9] scale_offset
	global_load_b64 v[42:43], v56, s[8:9] scale_offset
	;; [unrolled: 1-line block ×5, first 2 shown]
	s_clause 0x2
	global_load_b64 v[50:51], v60, s[8:9] scale_offset
	global_load_b64 v[52:53], v59, s[8:9] scale_offset
	;; [unrolled: 1-line block ×3, first 2 shown]
	v_add_nc_u32_e32 v13, -1, v12
	s_clause 0x2
	global_load_b64 v[56:57], v64, s[8:9] scale_offset
	global_load_b64 v[58:59], v13, s[8:9] scale_offset
	;; [unrolled: 1-line block ×4, first 2 shown]
	s_wait_xcnt 0x2
	v_add_nc_u32_e32 v13, 6, v10
	v_add_nc_u32_e32 v12, 0x480, v12
	global_load_b64 v[64:65], v13, s[10:11] scale_offset
	s_wait_xcnt 0x0
	v_dual_add_nc_u32 v13, 7, v10 :: v_dual_add_nc_u32 v10, 8, v10
	s_wait_loadcnt 0x14
	v_pk_fma_f32 v[8:9], v[24:25], v[20:21], v[8:9] op_sel_hi:[1,0,1]
	v_pk_fma_f32 v[0:1], v[16:17], v[20:21], v[0:1] op_sel_hi:[1,0,1]
	s_delay_alu instid0(VALU_DEP_2) | instskip(NEXT) | instid1(VALU_DEP_2)
	v_pk_fma_f32 v[8:9], v[24:25], v[20:21], v[8:9] op_sel:[1,1,0] op_sel_hi:[0,1,1] neg_lo:[1,0,0]
	v_pk_fma_f32 v[0:1], v[16:17], v[20:21], v[0:1] op_sel:[1,1,0] op_sel_hi:[0,1,1] neg_lo:[1,0,0]
	v_mov_b32_e32 v17, v18
	global_load_b64 v[24:25], v13, s[10:11] scale_offset
	v_xor_b32_e32 v16, 0x80000000, v19
	s_wait_loadcnt 0x14
	v_pk_fma_f32 v[8:9], v[22:23], v[26:27], v[8:9] op_sel_hi:[1,0,1]
	v_pk_fma_f32 v[0:1], v[18:19], v[26:27], v[0:1] op_sel_hi:[1,0,1]
	global_load_b64 v[18:19], v10, s[10:11] scale_offset
	v_pk_fma_f32 v[8:9], v[22:23], v[26:27], v[8:9] op_sel:[1,1,0] op_sel_hi:[0,1,1] neg_lo:[1,0,0]
	v_pk_fma_f32 v[0:1], v[16:17], v[26:27], v[0:1] op_sel:[0,1,0]
	s_wait_loadcnt 0x12
	s_delay_alu instid0(VALU_DEP_2) | instskip(NEXT) | instid1(VALU_DEP_2)
	v_pk_fma_f32 v[8:9], v[30:31], v[32:33], v[8:9] op_sel_hi:[1,0,1]
	v_pk_fma_f32 v[0:1], v[28:29], v[32:33], v[0:1] op_sel_hi:[1,0,1]
	s_delay_alu instid0(VALU_DEP_2) | instskip(NEXT) | instid1(VALU_DEP_2)
	v_pk_fma_f32 v[8:9], v[30:31], v[32:33], v[8:9] op_sel:[1,1,0] op_sel_hi:[0,1,1] neg_lo:[1,0,0]
	v_pk_fma_f32 v[0:1], v[28:29], v[32:33], v[0:1] op_sel:[1,1,0] op_sel_hi:[0,1,1] neg_lo:[1,0,0]
	s_wait_loadcnt 0xf
	s_delay_alu instid0(VALU_DEP_2) | instskip(NEXT) | instid1(VALU_DEP_2)
	v_pk_fma_f32 v[8:9], v[36:37], v[38:39], v[8:9] op_sel_hi:[1,0,1]
	v_pk_fma_f32 v[0:1], v[34:35], v[38:39], v[0:1] op_sel_hi:[1,0,1]
	s_delay_alu instid0(VALU_DEP_2) | instskip(NEXT) | instid1(VALU_DEP_2)
	v_pk_fma_f32 v[8:9], v[36:37], v[38:39], v[8:9] op_sel:[1,1,0] op_sel_hi:[0,1,1] neg_lo:[1,0,0]
	v_pk_fma_f32 v[0:1], v[34:35], v[38:39], v[0:1] op_sel:[1,1,0] op_sel_hi:[0,1,1] neg_lo:[1,0,0]
	;; [unrolled: 7-line block ×5, first 2 shown]
	s_wait_loadcnt 0x1
	s_delay_alu instid0(VALU_DEP_1) | instskip(NEXT) | instid1(VALU_DEP_3)
	v_pk_fma_f32 v[0:1], v[56:57], v[24:25], v[0:1] op_sel_hi:[1,0,1]
	v_pk_fma_f32 v[8:9], v[58:59], v[24:25], v[8:9] op_sel_hi:[1,0,1]
	s_delay_alu instid0(VALU_DEP_2) | instskip(NEXT) | instid1(VALU_DEP_2)
	v_pk_fma_f32 v[0:1], v[56:57], v[24:25], v[0:1] op_sel:[1,1,0] op_sel_hi:[0,1,1] neg_lo:[1,0,0]
	v_pk_fma_f32 v[8:9], v[58:59], v[24:25], v[8:9] op_sel:[1,1,0] op_sel_hi:[0,1,1] neg_lo:[1,0,0]
	s_wait_loadcnt 0x0
	s_delay_alu instid0(VALU_DEP_2) | instskip(NEXT) | instid1(VALU_DEP_2)
	v_pk_fma_f32 v[0:1], v[60:61], v[18:19], v[0:1] op_sel_hi:[1,0,1]
	v_pk_fma_f32 v[8:9], v[40:41], v[18:19], v[8:9] op_sel_hi:[1,0,1]
	s_delay_alu instid0(VALU_DEP_2) | instskip(NEXT) | instid1(VALU_DEP_2)
	v_pk_fma_f32 v[0:1], v[60:61], v[18:19], v[0:1] op_sel:[1,1,0] op_sel_hi:[0,1,1] neg_lo:[1,0,0]
	v_pk_fma_f32 v[8:9], v[40:41], v[18:19], v[8:9] op_sel:[1,1,0] op_sel_hi:[0,1,1] neg_lo:[1,0,0]
	s_and_not1_b32 exec_lo, exec_lo, s2
	s_cbranch_execnz .LBB191_11
; %bb.12:
	s_or_b32 exec_lo, exec_lo, s2
.LBB191_13:
	s_delay_alu instid0(SALU_CYCLE_1)
	s_or_b32 exec_lo, exec_lo, s3
.LBB191_14:
	v_mbcnt_lo_u32_b32 v10, -1, 0
	s_delay_alu instid0(VALU_DEP_1) | instskip(SKIP_1) | instid1(VALU_DEP_1)
	v_xor_b32_e32 v15, 16, v10
	v_or_b32_e32 v11, 32, v10
	v_cmp_gt_i32_e32 vcc_lo, 32, v11
	v_cndmask_b32_e32 v11, v10, v11, vcc_lo
	s_delay_alu instid0(VALU_DEP_1)
	v_lshlrev_b32_e32 v11, 2, v11
	ds_bpermute_b32 v13, v11, v1
	s_wait_dscnt 0x0
	v_add_f32_e32 v1, v1, v13
	ds_bpermute_b32 v12, v11, v0
	ds_bpermute_b32 v14, v11, v8
	;; [unrolled: 1-line block ×3, first 2 shown]
	s_wait_dscnt 0x2
	v_add_f32_e32 v0, v0, v12
	s_wait_dscnt 0x0
	v_dual_add_f32 v8, v8, v14 :: v_dual_add_f32 v9, v9, v11
	v_cmp_gt_i32_e32 vcc_lo, 32, v15
	v_cndmask_b32_e32 v15, v10, v15, vcc_lo
	s_delay_alu instid0(VALU_DEP_1)
	v_lshlrev_b32_e32 v15, 2, v15
	ds_bpermute_b32 v11, v15, v0
	ds_bpermute_b32 v12, v15, v1
	;; [unrolled: 1-line block ×4, first 2 shown]
	s_wait_dscnt 0x3
	v_dual_add_f32 v0, v0, v11 :: v_dual_bitop2_b32 v15, 8, v10 bitop3:0x14
	s_delay_alu instid0(VALU_DEP_1)
	v_cmp_gt_i32_e32 vcc_lo, 32, v15
	s_wait_dscnt 0x2
	v_add_f32_e32 v1, v1, v12
	s_wait_dscnt 0x0
	v_dual_add_f32 v9, v9, v14 :: v_dual_add_f32 v8, v8, v13
	v_cndmask_b32_e32 v15, v10, v15, vcc_lo
	s_delay_alu instid0(VALU_DEP_1)
	v_lshlrev_b32_e32 v15, 2, v15
	ds_bpermute_b32 v11, v15, v0
	ds_bpermute_b32 v12, v15, v1
	;; [unrolled: 1-line block ×4, first 2 shown]
	s_wait_dscnt 0x3
	v_dual_add_f32 v0, v0, v11 :: v_dual_bitop2_b32 v15, 4, v10 bitop3:0x14
	s_delay_alu instid0(VALU_DEP_1) | instskip(SKIP_4) | instid1(VALU_DEP_2)
	v_cmp_gt_i32_e32 vcc_lo, 32, v15
	s_wait_dscnt 0x2
	v_dual_add_f32 v1, v1, v12 :: v_dual_cndmask_b32 v15, v10, v15, vcc_lo
	s_wait_dscnt 0x0
	v_dual_add_f32 v8, v8, v13 :: v_dual_add_f32 v9, v9, v14
	v_lshlrev_b32_e32 v15, 2, v15
	ds_bpermute_b32 v11, v15, v0
	ds_bpermute_b32 v12, v15, v1
	;; [unrolled: 1-line block ×4, first 2 shown]
	s_wait_dscnt 0x3
	v_dual_add_f32 v0, v0, v11 :: v_dual_bitop2_b32 v15, 2, v10 bitop3:0x14
	s_delay_alu instid0(VALU_DEP_1) | instskip(SKIP_4) | instid1(VALU_DEP_1)
	v_cmp_gt_i32_e32 vcc_lo, 32, v15
	s_wait_dscnt 0x1
	v_dual_add_f32 v1, v1, v12 :: v_dual_add_f32 v11, v8, v13
	s_wait_dscnt 0x0
	v_dual_add_f32 v9, v9, v14 :: v_dual_cndmask_b32 v15, v10, v15, vcc_lo
	v_lshlrev_b32_e32 v15, 2, v15
	ds_bpermute_b32 v8, v15, v0
	ds_bpermute_b32 v12, v15, v1
	ds_bpermute_b32 v13, v15, v11
	ds_bpermute_b32 v14, v15, v9
	s_wait_dscnt 0x3
	v_dual_add_f32 v0, v0, v8 :: v_dual_bitop2_b32 v15, 1, v10 bitop3:0x14
	s_delay_alu instid0(VALU_DEP_1)
	v_cmp_gt_i32_e32 vcc_lo, 32, v15
	s_wait_dscnt 0x2
	v_dual_add_f32 v8, v1, v12 :: v_dual_cndmask_b32 v10, v10, v15, vcc_lo
	s_wait_dscnt 0x0
	v_dual_add_f32 v1, v11, v13 :: v_dual_add_f32 v9, v9, v14
	v_cmp_eq_u32_e32 vcc_lo, 63, v7
	s_delay_alu instid0(VALU_DEP_3)
	v_lshlrev_b32_e32 v15, 2, v10
	ds_bpermute_b32 v12, v15, v0
	ds_bpermute_b32 v13, v15, v8
	;; [unrolled: 1-line block ×4, first 2 shown]
	s_and_b32 exec_lo, exec_lo, vcc_lo
	s_cbranch_execz .LBB191_19
; %bb.15:
	s_load_b64 s[2:3], s[0:1], 0x38
	v_cmp_eq_f32_e32 vcc_lo, 0, v4
	s_wait_xcnt 0x0
	v_cmp_eq_f32_e64 s0, 0, v5
	s_wait_dscnt 0x3
	v_add_f32_e32 v0, v0, v12
	s_wait_dscnt 0x1
	v_dual_add_f32 v12, v8, v13 :: v_dual_add_f32 v8, v1, v10
	s_wait_dscnt 0x0
	v_add_f32_e32 v10, v9, v11
	s_and_b32 s0, vcc_lo, s0
	s_delay_alu instid0(SALU_CYCLE_1) | instskip(NEXT) | instid1(SALU_CYCLE_1)
	s_and_saveexec_b32 s1, s0
	s_xor_b32 s0, exec_lo, s1
	s_cbranch_execz .LBB191_17
; %bb.16:
	v_xor_b32_e32 v4, 0x80000000, v3
	v_dual_mov_b32 v5, v2 :: v_dual_lshlrev_b32 v6, 1, v6
	s_delay_alu instid0(VALU_DEP_1) | instskip(NEXT) | instid1(VALU_DEP_2)
	v_ashrrev_i32_e32 v7, 31, v6
	v_pk_mul_f32 v[12:13], v[12:13], v[4:5] op_sel_hi:[0,1]
	v_pk_mul_f32 v[4:5], v[10:11], v[4:5] op_sel_hi:[0,1]
                                        ; implicit-def: $vgpr10
	s_wait_kmcnt 0x0
	s_delay_alu instid0(VALU_DEP_3) | instskip(NEXT) | instid1(VALU_DEP_3)
	v_lshl_add_u64 v[6:7], v[6:7], 3, s[2:3]
	v_pk_fma_f32 v[0:1], v[2:3], v[0:1], v[12:13] op_sel_hi:[1,0,1]
	s_delay_alu instid0(VALU_DEP_3)
	v_pk_fma_f32 v[2:3], v[2:3], v[8:9], v[4:5] op_sel_hi:[1,0,1]
                                        ; implicit-def: $vgpr4_vgpr5
                                        ; implicit-def: $vgpr12
                                        ; implicit-def: $vgpr8
	global_store_b128 v[6:7], v[0:3], off
                                        ; implicit-def: $vgpr6
                                        ; implicit-def: $vgpr2_vgpr3
                                        ; implicit-def: $vgpr0
.LBB191_17:
	s_wait_xcnt 0x0
	s_and_not1_saveexec_b32 s0, s0
	s_cbranch_execz .LBB191_19
; %bb.18:
	v_dual_mov_b32 v19, v2 :: v_dual_lshlrev_b32 v6, 1, v6
	v_xor_b32_e32 v18, 0x80000000, v3
	s_delay_alu instid0(VALU_DEP_2) | instskip(NEXT) | instid1(VALU_DEP_2)
	v_ashrrev_i32_e32 v7, 31, v6
	v_pk_mul_f32 v[12:13], v[12:13], v[18:19] op_sel_hi:[0,1]
	v_pk_mul_f32 v[10:11], v[10:11], v[18:19] op_sel_hi:[0,1]
	s_delay_alu instid0(VALU_DEP_2) | instskip(NEXT) | instid1(VALU_DEP_2)
	v_pk_fma_f32 v[0:1], v[2:3], v[0:1], v[12:13] op_sel_hi:[1,0,1]
	v_pk_fma_f32 v[2:3], v[2:3], v[8:9], v[10:11] op_sel_hi:[1,0,1]
	v_mov_b32_e32 v9, v4
	s_wait_kmcnt 0x0
	v_lshl_add_u64 v[6:7], v[6:7], 3, s[2:3]
	v_xor_b32_e32 v8, 0x80000000, v5
	global_load_b128 v[14:17], v[6:7], off
	s_wait_loadcnt 0x0
	v_pk_fma_f32 v[0:1], v[4:5], v[14:15], v[0:1] op_sel_hi:[1,0,1]
	v_pk_fma_f32 v[2:3], v[4:5], v[16:17], v[2:3] op_sel_hi:[1,0,1]
	v_mov_b32_e32 v4, v17
	s_delay_alu instid0(VALU_DEP_3) | instskip(NEXT) | instid1(VALU_DEP_2)
	v_pk_fma_f32 v[0:1], v[8:9], v[14:15], v[0:1] op_sel:[0,1,0]
	v_pk_fma_f32 v[2:3], v[8:9], v[4:5], v[2:3] op_sel_hi:[1,0,1]
	global_store_b128 v[6:7], v[0:3], off
.LBB191_19:
	s_sendmsg sendmsg(MSG_DEALLOC_VGPRS)
	s_endpgm
	.section	.rodata,"a",@progbits
	.p2align	6, 0x0
	.amdhsa_kernel _ZN9rocsparseL19gebsrmvn_2xn_kernelILj128ELj9ELj64E21rocsparse_complex_numIfEEEvi20rocsparse_direction_NS_24const_host_device_scalarIT2_EEPKiS8_PKS5_SA_S6_PS5_21rocsparse_index_base_b
		.amdhsa_group_segment_fixed_size 0
		.amdhsa_private_segment_fixed_size 0
		.amdhsa_kernarg_size 72
		.amdhsa_user_sgpr_count 2
		.amdhsa_user_sgpr_dispatch_ptr 0
		.amdhsa_user_sgpr_queue_ptr 0
		.amdhsa_user_sgpr_kernarg_segment_ptr 1
		.amdhsa_user_sgpr_dispatch_id 0
		.amdhsa_user_sgpr_kernarg_preload_length 0
		.amdhsa_user_sgpr_kernarg_preload_offset 0
		.amdhsa_user_sgpr_private_segment_size 0
		.amdhsa_wavefront_size32 1
		.amdhsa_uses_dynamic_stack 0
		.amdhsa_enable_private_segment 0
		.amdhsa_system_sgpr_workgroup_id_x 1
		.amdhsa_system_sgpr_workgroup_id_y 0
		.amdhsa_system_sgpr_workgroup_id_z 0
		.amdhsa_system_sgpr_workgroup_info 0
		.amdhsa_system_vgpr_workitem_id 0
		.amdhsa_next_free_vgpr 74
		.amdhsa_next_free_sgpr 14
		.amdhsa_named_barrier_count 0
		.amdhsa_reserve_vcc 1
		.amdhsa_float_round_mode_32 0
		.amdhsa_float_round_mode_16_64 0
		.amdhsa_float_denorm_mode_32 3
		.amdhsa_float_denorm_mode_16_64 3
		.amdhsa_fp16_overflow 0
		.amdhsa_memory_ordered 1
		.amdhsa_forward_progress 1
		.amdhsa_inst_pref_size 26
		.amdhsa_round_robin_scheduling 0
		.amdhsa_exception_fp_ieee_invalid_op 0
		.amdhsa_exception_fp_denorm_src 0
		.amdhsa_exception_fp_ieee_div_zero 0
		.amdhsa_exception_fp_ieee_overflow 0
		.amdhsa_exception_fp_ieee_underflow 0
		.amdhsa_exception_fp_ieee_inexact 0
		.amdhsa_exception_int_div_zero 0
	.end_amdhsa_kernel
	.section	.text._ZN9rocsparseL19gebsrmvn_2xn_kernelILj128ELj9ELj64E21rocsparse_complex_numIfEEEvi20rocsparse_direction_NS_24const_host_device_scalarIT2_EEPKiS8_PKS5_SA_S6_PS5_21rocsparse_index_base_b,"axG",@progbits,_ZN9rocsparseL19gebsrmvn_2xn_kernelILj128ELj9ELj64E21rocsparse_complex_numIfEEEvi20rocsparse_direction_NS_24const_host_device_scalarIT2_EEPKiS8_PKS5_SA_S6_PS5_21rocsparse_index_base_b,comdat
.Lfunc_end191:
	.size	_ZN9rocsparseL19gebsrmvn_2xn_kernelILj128ELj9ELj64E21rocsparse_complex_numIfEEEvi20rocsparse_direction_NS_24const_host_device_scalarIT2_EEPKiS8_PKS5_SA_S6_PS5_21rocsparse_index_base_b, .Lfunc_end191-_ZN9rocsparseL19gebsrmvn_2xn_kernelILj128ELj9ELj64E21rocsparse_complex_numIfEEEvi20rocsparse_direction_NS_24const_host_device_scalarIT2_EEPKiS8_PKS5_SA_S6_PS5_21rocsparse_index_base_b
                                        ; -- End function
	.set _ZN9rocsparseL19gebsrmvn_2xn_kernelILj128ELj9ELj64E21rocsparse_complex_numIfEEEvi20rocsparse_direction_NS_24const_host_device_scalarIT2_EEPKiS8_PKS5_SA_S6_PS5_21rocsparse_index_base_b.num_vgpr, 74
	.set _ZN9rocsparseL19gebsrmvn_2xn_kernelILj128ELj9ELj64E21rocsparse_complex_numIfEEEvi20rocsparse_direction_NS_24const_host_device_scalarIT2_EEPKiS8_PKS5_SA_S6_PS5_21rocsparse_index_base_b.num_agpr, 0
	.set _ZN9rocsparseL19gebsrmvn_2xn_kernelILj128ELj9ELj64E21rocsparse_complex_numIfEEEvi20rocsparse_direction_NS_24const_host_device_scalarIT2_EEPKiS8_PKS5_SA_S6_PS5_21rocsparse_index_base_b.numbered_sgpr, 14
	.set _ZN9rocsparseL19gebsrmvn_2xn_kernelILj128ELj9ELj64E21rocsparse_complex_numIfEEEvi20rocsparse_direction_NS_24const_host_device_scalarIT2_EEPKiS8_PKS5_SA_S6_PS5_21rocsparse_index_base_b.num_named_barrier, 0
	.set _ZN9rocsparseL19gebsrmvn_2xn_kernelILj128ELj9ELj64E21rocsparse_complex_numIfEEEvi20rocsparse_direction_NS_24const_host_device_scalarIT2_EEPKiS8_PKS5_SA_S6_PS5_21rocsparse_index_base_b.private_seg_size, 0
	.set _ZN9rocsparseL19gebsrmvn_2xn_kernelILj128ELj9ELj64E21rocsparse_complex_numIfEEEvi20rocsparse_direction_NS_24const_host_device_scalarIT2_EEPKiS8_PKS5_SA_S6_PS5_21rocsparse_index_base_b.uses_vcc, 1
	.set _ZN9rocsparseL19gebsrmvn_2xn_kernelILj128ELj9ELj64E21rocsparse_complex_numIfEEEvi20rocsparse_direction_NS_24const_host_device_scalarIT2_EEPKiS8_PKS5_SA_S6_PS5_21rocsparse_index_base_b.uses_flat_scratch, 1
	.set _ZN9rocsparseL19gebsrmvn_2xn_kernelILj128ELj9ELj64E21rocsparse_complex_numIfEEEvi20rocsparse_direction_NS_24const_host_device_scalarIT2_EEPKiS8_PKS5_SA_S6_PS5_21rocsparse_index_base_b.has_dyn_sized_stack, 0
	.set _ZN9rocsparseL19gebsrmvn_2xn_kernelILj128ELj9ELj64E21rocsparse_complex_numIfEEEvi20rocsparse_direction_NS_24const_host_device_scalarIT2_EEPKiS8_PKS5_SA_S6_PS5_21rocsparse_index_base_b.has_recursion, 0
	.set _ZN9rocsparseL19gebsrmvn_2xn_kernelILj128ELj9ELj64E21rocsparse_complex_numIfEEEvi20rocsparse_direction_NS_24const_host_device_scalarIT2_EEPKiS8_PKS5_SA_S6_PS5_21rocsparse_index_base_b.has_indirect_call, 0
	.section	.AMDGPU.csdata,"",@progbits
; Kernel info:
; codeLenInByte = 3280
; TotalNumSgprs: 16
; NumVgprs: 74
; ScratchSize: 0
; MemoryBound: 0
; FloatMode: 240
; IeeeMode: 1
; LDSByteSize: 0 bytes/workgroup (compile time only)
; SGPRBlocks: 0
; VGPRBlocks: 4
; NumSGPRsForWavesPerEU: 16
; NumVGPRsForWavesPerEU: 74
; NamedBarCnt: 0
; Occupancy: 12
; WaveLimiterHint : 1
; COMPUTE_PGM_RSRC2:SCRATCH_EN: 0
; COMPUTE_PGM_RSRC2:USER_SGPR: 2
; COMPUTE_PGM_RSRC2:TRAP_HANDLER: 0
; COMPUTE_PGM_RSRC2:TGID_X_EN: 1
; COMPUTE_PGM_RSRC2:TGID_Y_EN: 0
; COMPUTE_PGM_RSRC2:TGID_Z_EN: 0
; COMPUTE_PGM_RSRC2:TIDIG_COMP_CNT: 0
	.section	.text._ZN9rocsparseL19gebsrmvn_2xn_kernelILj128ELj10ELj4E21rocsparse_complex_numIfEEEvi20rocsparse_direction_NS_24const_host_device_scalarIT2_EEPKiS8_PKS5_SA_S6_PS5_21rocsparse_index_base_b,"axG",@progbits,_ZN9rocsparseL19gebsrmvn_2xn_kernelILj128ELj10ELj4E21rocsparse_complex_numIfEEEvi20rocsparse_direction_NS_24const_host_device_scalarIT2_EEPKiS8_PKS5_SA_S6_PS5_21rocsparse_index_base_b,comdat
	.globl	_ZN9rocsparseL19gebsrmvn_2xn_kernelILj128ELj10ELj4E21rocsparse_complex_numIfEEEvi20rocsparse_direction_NS_24const_host_device_scalarIT2_EEPKiS8_PKS5_SA_S6_PS5_21rocsparse_index_base_b ; -- Begin function _ZN9rocsparseL19gebsrmvn_2xn_kernelILj128ELj10ELj4E21rocsparse_complex_numIfEEEvi20rocsparse_direction_NS_24const_host_device_scalarIT2_EEPKiS8_PKS5_SA_S6_PS5_21rocsparse_index_base_b
	.p2align	8
	.type	_ZN9rocsparseL19gebsrmvn_2xn_kernelILj128ELj10ELj4E21rocsparse_complex_numIfEEEvi20rocsparse_direction_NS_24const_host_device_scalarIT2_EEPKiS8_PKS5_SA_S6_PS5_21rocsparse_index_base_b,@function
_ZN9rocsparseL19gebsrmvn_2xn_kernelILj128ELj10ELj4E21rocsparse_complex_numIfEEEvi20rocsparse_direction_NS_24const_host_device_scalarIT2_EEPKiS8_PKS5_SA_S6_PS5_21rocsparse_index_base_b: ; @_ZN9rocsparseL19gebsrmvn_2xn_kernelILj128ELj10ELj4E21rocsparse_complex_numIfEEEvi20rocsparse_direction_NS_24const_host_device_scalarIT2_EEPKiS8_PKS5_SA_S6_PS5_21rocsparse_index_base_b
; %bb.0:
	s_clause 0x2
	s_load_b64 s[12:13], s[0:1], 0x40
	s_load_b64 s[2:3], s[0:1], 0x8
	;; [unrolled: 1-line block ×3, first 2 shown]
	v_mov_b32_e32 v1, 0
	s_add_nc_u64 s[6:7], s[0:1], 8
	s_add_nc_u64 s[8:9], s[0:1], 48
	s_wait_kmcnt 0x0
	s_bitcmp1_b32 s13, 0
	s_cselect_b32 s3, s7, s3
	s_cselect_b32 s2, s6, s2
	;; [unrolled: 1-line block ×4, first 2 shown]
	s_clause 0x1
	flat_load_b64 v[2:3], v1, s[2:3]
	flat_load_b64 v[4:5], v1, s[4:5]
	s_wait_loadcnt_dscnt 0x101
	v_cmp_eq_f32_e32 vcc_lo, 0, v2
	v_cmp_eq_f32_e64 s2, 0, v3
	s_wait_loadcnt_dscnt 0x0
	v_cmp_eq_f32_e64 s3, 1.0, v4
	v_cmp_eq_f32_e64 s4, 0, v5
	s_and_b32 s2, vcc_lo, s2
	s_and_b32 s3, s3, s4
	s_delay_alu instid0(SALU_CYCLE_1) | instskip(NEXT) | instid1(SALU_CYCLE_1)
	s_and_b32 s2, s2, s3
	s_xor_b32 s2, s2, -1
	s_delay_alu instid0(SALU_CYCLE_1)
	s_and_saveexec_b32 s3, s2
	s_cbranch_execz .LBB192_19
; %bb.1:
	s_load_b64 s[2:3], s[0:1], 0x0
	s_bfe_u32 s4, ttmp6, 0x4000c
	s_and_b32 s5, ttmp6, 15
	s_add_co_i32 s4, s4, 1
	s_getreg_b32 s6, hwreg(HW_REG_IB_STS2, 6, 4)
	s_mul_i32 s4, ttmp9, s4
	v_lshrrev_b32_e32 v1, 2, v0
	s_add_co_i32 s5, s5, s4
	s_cmp_eq_u32 s6, 0
	s_cselect_b32 s4, ttmp9, s5
	s_delay_alu instid0(VALU_DEP_1) | instid1(SALU_CYCLE_1)
	v_lshl_or_b32 v6, s4, 5, v1
	s_wait_kmcnt 0x0
	s_delay_alu instid0(VALU_DEP_1)
	v_cmp_gt_i32_e32 vcc_lo, s2, v6
	s_and_b32 exec_lo, exec_lo, vcc_lo
	s_cbranch_execz .LBB192_19
; %bb.2:
	s_load_b256 s[4:11], s[0:1], 0x10
	v_ashrrev_i32_e32 v7, 31, v6
	s_cmp_lg_u32 s3, 0
	s_wait_kmcnt 0x0
	s_delay_alu instid0(VALU_DEP_1)
	v_lshl_add_u64 v[8:9], v[6:7], 2, s[4:5]
	v_and_b32_e32 v7, 3, v0
	global_load_b64 v[8:9], v[8:9], off
	s_wait_loadcnt 0x0
	v_subrev_nc_u32_e32 v0, s12, v8
	v_subrev_nc_u32_e32 v14, s12, v9
	s_delay_alu instid0(VALU_DEP_2) | instskip(NEXT) | instid1(VALU_DEP_1)
	v_add_nc_u32_e32 v15, v0, v7
	v_cmp_lt_i32_e64 s2, v15, v14
	s_cbranch_scc0 .LBB192_8
; %bb.3:
	v_mov_b32_e32 v9, 0
	s_delay_alu instid0(VALU_DEP_1)
	v_dual_mov_b32 v8, v9 :: v_dual_mov_b32 v1, v9
	v_mov_b32_e32 v0, v9
	s_and_saveexec_b32 s3, s2
	s_cbranch_execz .LBB192_7
; %bb.4:
	v_mad_u32 v12, v15, 20, 18
	v_dual_mov_b32 v11, 0 :: v_dual_mov_b32 v16, v15
	s_mov_b32 s4, 0
	s_delay_alu instid0(VALU_DEP_1)
	v_dual_mov_b32 v0, v11 :: v_dual_mov_b32 v1, v11
	v_dual_mov_b32 v8, v11 :: v_dual_mov_b32 v9, v11
.LBB192_5:                              ; =>This Inner Loop Header: Depth=1
	global_load_b32 v10, v16, s[6:7] scale_offset
	v_dual_mov_b32 v67, v11 :: v_dual_mov_b32 v13, v11
	s_wait_xcnt 0x0
	v_add_nc_u32_e32 v16, 4, v16
	s_delay_alu instid0(VALU_DEP_1) | instskip(SKIP_3) | instid1(VALU_DEP_1)
	v_cmp_ge_i32_e32 vcc_lo, v16, v14
	s_or_b32 s4, vcc_lo, s4
	s_wait_loadcnt 0x0
	v_subrev_nc_u32_e32 v10, s12, v10
	v_mul_lo_u32 v66, v10, 10
	v_subrev_nc_u32_e32 v10, 18, v12
	s_delay_alu instid0(VALU_DEP_1) | instskip(SKIP_1) | instid1(VALU_DEP_4)
	v_lshl_add_u64 v[26:27], v[10:11], 3, s[8:9]
	v_add_nc_u32_e32 v10, -14, v12
	v_lshl_add_u64 v[28:29], v[66:67], 3, s[10:11]
	global_load_b128 v[18:21], v[26:27], off
	global_load_b128 v[22:25], v[28:29], off
	global_load_b128 v[26:29], v[26:27], off offset:16
	v_lshl_add_u64 v[30:31], v[10:11], 3, s[8:9]
	v_add_nc_u32_e32 v10, 2, v66
	global_load_b128 v[30:33], v[30:31], off
	v_lshl_add_u64 v[34:35], v[10:11], 3, s[10:11]
	v_add_nc_u32_e32 v10, -12, v12
	global_load_b128 v[34:37], v[34:35], off
	s_wait_loadcnt 0x4
	v_mov_b32_e32 v79, v20
	v_lshl_add_u64 v[38:39], v[10:11], 3, s[8:9]
	v_add_nc_u32_e32 v10, -10, v12
	s_wait_loadcnt 0x3
	v_pk_fma_f32 v[8:9], v[18:19], v[22:23], v[8:9] op_sel_hi:[1,0,1]
	v_xor_b32_e32 v78, 0x80000000, v21
	v_pk_fma_f32 v[0:1], v[20:21], v[22:23], v[0:1] op_sel_hi:[1,0,1]
	global_load_b128 v[38:41], v[38:39], off
	v_pk_fma_f32 v[8:9], v[18:19], v[22:23], v[8:9] op_sel:[1,1,0] op_sel_hi:[0,1,1] neg_lo:[1,0,0]
	s_wait_loadcnt 0x3
	v_mov_b32_e32 v19, v28
	v_lshl_add_u64 v[50:51], v[10:11], 3, s[8:9]
	v_add_nc_u32_e32 v10, 4, v66
	v_pk_fma_f32 v[0:1], v[78:79], v[22:23], v[0:1] op_sel:[0,1,0]
	v_xor_b32_e32 v18, 0x80000000, v29
	v_pk_fma_f32 v[8:9], v[26:27], v[24:25], v[8:9] op_sel_hi:[1,0,1]
	s_delay_alu instid0(VALU_DEP_4)
	v_lshl_add_u64 v[52:53], v[10:11], 3, s[10:11]
	v_add_nc_u32_e32 v10, -8, v12
	global_load_b128 v[42:45], v[50:51], off
	global_load_b128 v[46:49], v[52:53], off
	v_pk_fma_f32 v[0:1], v[28:29], v[24:25], v[0:1] op_sel_hi:[1,0,1]
	s_wait_xcnt 0x1
	v_lshl_add_u64 v[50:51], v[10:11], 3, s[8:9]
	v_add_nc_u32_e32 v10, -6, v12
	global_load_b128 v[50:53], v[50:51], off
	v_lshl_add_u64 v[62:63], v[10:11], 3, s[8:9]
	v_add_nc_u32_e32 v10, 6, v66
	s_delay_alu instid0(VALU_DEP_1) | instskip(SKIP_4) | instid1(VALU_DEP_1)
	v_lshl_add_u64 v[64:65], v[10:11], 3, s[10:11]
	global_load_b128 v[54:57], v[62:63], off
	global_load_b128 v[58:61], v[64:65], off
	v_add_nc_u32_e32 v10, -4, v12
	s_wait_xcnt 0x1
	v_lshl_add_u64 v[62:63], v[10:11], 3, s[8:9]
	global_load_b128 v[62:65], v[62:63], off
	v_add_nc_u32_e32 v10, -2, v12
	s_delay_alu instid0(VALU_DEP_1) | instskip(SKIP_1) | instid1(VALU_DEP_1)
	v_lshl_add_u64 v[74:75], v[10:11], 3, s[8:9]
	v_add_nc_u32_e32 v10, 8, v66
	v_lshl_add_u64 v[76:77], v[10:11], 3, s[10:11]
	global_load_b128 v[66:69], v[74:75], off
	global_load_b128 v[70:73], v[76:77], off
	s_wait_xcnt 0x1
	v_lshl_add_u64 v[74:75], v[12:13], 3, s[8:9]
	v_mov_b32_e32 v10, v25
	v_add_nc_u32_e32 v12, 0x50, v12
	global_load_b128 v[74:77], v[74:75], off
	v_pk_fma_f32 v[8:9], v[26:27], v[10:11], v[8:9] op_sel:[1,0,0] op_sel_hi:[0,0,1] neg_lo:[1,0,0]
	v_pk_fma_f32 v[0:1], v[18:19], v[10:11], v[0:1] op_sel_hi:[1,0,1]
	s_wait_loadcnt 0xb
	v_xor_b32_e32 v18, 0x80000000, v33
	s_wait_loadcnt 0xa
	v_dual_mov_b32 v19, v32 :: v_dual_mov_b32 v10, v37
	v_pk_fma_f32 v[8:9], v[30:31], v[34:35], v[8:9] op_sel_hi:[1,0,1]
	v_pk_fma_f32 v[0:1], v[32:33], v[34:35], v[0:1] op_sel_hi:[1,0,1]
	s_delay_alu instid0(VALU_DEP_2) | instskip(NEXT) | instid1(VALU_DEP_2)
	v_pk_fma_f32 v[8:9], v[30:31], v[34:35], v[8:9] op_sel:[1,1,0] op_sel_hi:[0,1,1] neg_lo:[1,0,0]
	v_pk_fma_f32 v[0:1], v[18:19], v[34:35], v[0:1] op_sel:[0,1,0]
	s_wait_loadcnt 0x9
	v_xor_b32_e32 v18, 0x80000000, v41
	v_mov_b32_e32 v19, v40
	v_pk_fma_f32 v[8:9], v[38:39], v[36:37], v[8:9] op_sel_hi:[1,0,1]
	v_pk_fma_f32 v[0:1], v[40:41], v[36:37], v[0:1] op_sel_hi:[1,0,1]
	s_delay_alu instid0(VALU_DEP_2) | instskip(NEXT) | instid1(VALU_DEP_2)
	v_pk_fma_f32 v[8:9], v[38:39], v[10:11], v[8:9] op_sel:[1,0,0] op_sel_hi:[0,0,1] neg_lo:[1,0,0]
	v_pk_fma_f32 v[0:1], v[18:19], v[10:11], v[0:1] op_sel_hi:[1,0,1]
	s_wait_loadcnt 0x8
	v_xor_b32_e32 v18, 0x80000000, v45
	v_mov_b32_e32 v19, v44
	s_wait_loadcnt 0x7
	v_pk_fma_f32 v[8:9], v[42:43], v[46:47], v[8:9] op_sel_hi:[1,0,1]
	v_pk_fma_f32 v[0:1], v[44:45], v[46:47], v[0:1] op_sel_hi:[1,0,1]
	v_mov_b32_e32 v10, v49
	s_delay_alu instid0(VALU_DEP_3) | instskip(NEXT) | instid1(VALU_DEP_3)
	v_pk_fma_f32 v[8:9], v[42:43], v[46:47], v[8:9] op_sel:[1,1,0] op_sel_hi:[0,1,1] neg_lo:[1,0,0]
	v_pk_fma_f32 v[0:1], v[18:19], v[46:47], v[0:1] op_sel:[0,1,0]
	s_wait_loadcnt 0x6
	v_xor_b32_e32 v18, 0x80000000, v53
	v_mov_b32_e32 v19, v52
	v_pk_fma_f32 v[8:9], v[50:51], v[48:49], v[8:9] op_sel_hi:[1,0,1]
	v_pk_fma_f32 v[0:1], v[52:53], v[48:49], v[0:1] op_sel_hi:[1,0,1]
	s_delay_alu instid0(VALU_DEP_2) | instskip(NEXT) | instid1(VALU_DEP_2)
	v_pk_fma_f32 v[8:9], v[50:51], v[10:11], v[8:9] op_sel:[1,0,0] op_sel_hi:[0,0,1] neg_lo:[1,0,0]
	v_pk_fma_f32 v[0:1], v[18:19], v[10:11], v[0:1] op_sel_hi:[1,0,1]
	s_wait_loadcnt 0x5
	v_xor_b32_e32 v18, 0x80000000, v57
	s_wait_loadcnt 0x4
	v_dual_mov_b32 v19, v56 :: v_dual_mov_b32 v10, v61
	v_pk_fma_f32 v[8:9], v[54:55], v[58:59], v[8:9] op_sel_hi:[1,0,1]
	v_pk_fma_f32 v[0:1], v[56:57], v[58:59], v[0:1] op_sel_hi:[1,0,1]
	s_delay_alu instid0(VALU_DEP_2) | instskip(NEXT) | instid1(VALU_DEP_2)
	v_pk_fma_f32 v[8:9], v[54:55], v[58:59], v[8:9] op_sel:[1,1,0] op_sel_hi:[0,1,1] neg_lo:[1,0,0]
	v_pk_fma_f32 v[0:1], v[18:19], v[58:59], v[0:1] op_sel:[0,1,0]
	s_wait_loadcnt 0x3
	v_xor_b32_e32 v18, 0x80000000, v65
	v_mov_b32_e32 v19, v64
	v_pk_fma_f32 v[8:9], v[62:63], v[60:61], v[8:9] op_sel_hi:[1,0,1]
	v_pk_fma_f32 v[0:1], v[64:65], v[60:61], v[0:1] op_sel_hi:[1,0,1]
	s_delay_alu instid0(VALU_DEP_2) | instskip(NEXT) | instid1(VALU_DEP_2)
	v_pk_fma_f32 v[8:9], v[62:63], v[10:11], v[8:9] op_sel:[1,0,0] op_sel_hi:[0,0,1] neg_lo:[1,0,0]
	v_pk_fma_f32 v[0:1], v[18:19], v[10:11], v[0:1] op_sel_hi:[1,0,1]
	s_wait_loadcnt 0x2
	v_xor_b32_e32 v18, 0x80000000, v69
	v_mov_b32_e32 v19, v68
	s_wait_loadcnt 0x1
	v_pk_fma_f32 v[8:9], v[66:67], v[70:71], v[8:9] op_sel_hi:[1,0,1]
	v_pk_fma_f32 v[0:1], v[68:69], v[70:71], v[0:1] op_sel_hi:[1,0,1]
	v_mov_b32_e32 v10, v73
	s_delay_alu instid0(VALU_DEP_3) | instskip(NEXT) | instid1(VALU_DEP_3)
	v_pk_fma_f32 v[8:9], v[66:67], v[70:71], v[8:9] op_sel:[1,1,0] op_sel_hi:[0,1,1] neg_lo:[1,0,0]
	v_pk_fma_f32 v[0:1], v[18:19], v[70:71], v[0:1] op_sel:[0,1,0]
	s_wait_loadcnt 0x0
	v_xor_b32_e32 v18, 0x80000000, v77
	v_mov_b32_e32 v19, v76
	v_pk_fma_f32 v[8:9], v[74:75], v[72:73], v[8:9] op_sel_hi:[1,0,1]
	v_pk_fma_f32 v[0:1], v[76:77], v[72:73], v[0:1] op_sel_hi:[1,0,1]
	s_delay_alu instid0(VALU_DEP_2) | instskip(NEXT) | instid1(VALU_DEP_2)
	v_pk_fma_f32 v[8:9], v[74:75], v[10:11], v[8:9] op_sel:[1,0,0] op_sel_hi:[0,0,1] neg_lo:[1,0,0]
	v_pk_fma_f32 v[0:1], v[18:19], v[10:11], v[0:1] op_sel_hi:[1,0,1]
	s_and_not1_b32 exec_lo, exec_lo, s4
	s_cbranch_execnz .LBB192_5
; %bb.6:
	s_or_b32 exec_lo, exec_lo, s4
.LBB192_7:
	s_delay_alu instid0(SALU_CYCLE_1)
	s_or_b32 exec_lo, exec_lo, s3
	s_cbranch_execz .LBB192_9
	s_branch .LBB192_14
.LBB192_8:
                                        ; implicit-def: $vgpr9
                                        ; implicit-def: $vgpr1
.LBB192_9:
	v_mov_b32_e32 v9, 0
	s_delay_alu instid0(VALU_DEP_1)
	v_dual_mov_b32 v8, v9 :: v_dual_mov_b32 v1, v9
	v_mov_b32_e32 v0, v9
	s_and_saveexec_b32 s3, s2
	s_cbranch_execz .LBB192_13
; %bb.10:
	v_mad_u32 v12, v15, 20, 19
	v_mov_b32_e32 v11, 0
	s_mov_b32 s2, 0
	s_delay_alu instid0(VALU_DEP_1)
	v_dual_mov_b32 v0, v11 :: v_dual_mov_b32 v1, v11
	v_dual_mov_b32 v8, v11 :: v_dual_mov_b32 v9, v11
.LBB192_11:                             ; =>This Inner Loop Header: Depth=1
	global_load_b32 v13, v15, s[6:7] scale_offset
	v_subrev_nc_u32_e32 v10, 19, v12
	v_dual_mov_b32 v37, v11 :: v_dual_add_nc_u32 v20, -9, v12
	v_dual_add_nc_u32 v26, -8, v12 :: v_dual_add_nc_u32 v44, -7, v12
	s_delay_alu instid0(VALU_DEP_3)
	v_lshl_add_u64 v[32:33], v[10:11], 3, s[8:9]
	v_dual_add_nc_u32 v52, -6, v12 :: v_dual_add_nc_u32 v53, -15, v12
	s_clause 0x1
	global_load_b64 v[38:39], v20, s[8:9] scale_offset
	global_load_b128 v[16:19], v[32:33], off
	v_dual_add_nc_u32 v68, -3, v12 :: v_dual_add_nc_u32 v69, -2, v12
	v_dual_add_nc_u32 v58, -5, v12 :: v_dual_add_nc_u32 v59, -13, v12
	s_wait_xcnt 0x2
	v_add_nc_u32_e32 v15, 4, v15
	s_delay_alu instid0(VALU_DEP_1) | instskip(SKIP_4) | instid1(VALU_DEP_2)
	v_cmp_ge_i32_e32 vcc_lo, v15, v14
	s_or_b32 s2, vcc_lo, s2
	s_wait_loadcnt 0x2
	v_subrev_nc_u32_e32 v10, s12, v13
	v_add_nc_u32_e32 v13, -14, v12
	v_mul_lo_u32 v36, v10, 10
	s_wait_loadcnt 0x0
	v_mov_b32_e32 v61, v18
	v_xor_b32_e32 v60, 0x80000000, v19
	s_delay_alu instid0(VALU_DEP_3) | instskip(SKIP_4) | instid1(VALU_DEP_2)
	v_lshl_add_u64 v[24:25], v[36:37], 3, s[10:11]
	global_load_b128 v[20:23], v[24:25], off
	global_load_b64 v[40:41], v26, s[8:9] scale_offset
	v_add_nc_u32_e32 v10, 2, v36
	v_dual_add_nc_u32 v37, -4, v12 :: v_dual_add_nc_u32 v70, -1, v12
	v_lshl_add_u64 v[34:35], v[10:11], 3, s[10:11]
	s_clause 0x1
	global_load_b64 v[42:43], v44, s[8:9] scale_offset
	global_load_b128 v[24:27], v[32:33], off offset:16
	global_load_b128 v[28:31], v[34:35], off
	s_wait_xcnt 0x1
	v_dual_add_nc_u32 v10, -12, v12 :: v_dual_add_nc_u32 v32, -11, v12
	s_clause 0x3
	global_load_b64 v[44:45], v53, s[8:9] scale_offset
	global_load_b64 v[46:47], v52, s[8:9] scale_offset
	global_load_b64 v[48:49], v10, s[8:9] scale_offset
	global_load_b64 v[50:51], v32, s[8:9] scale_offset
	s_wait_xcnt 0x1
	v_add_nc_u32_e32 v10, 4, v36
	s_clause 0x3
	global_load_b64 v[52:53], v58, s[8:9] scale_offset
	global_load_b64 v[54:55], v13, s[8:9] scale_offset
	;; [unrolled: 1-line block ×4, first 2 shown]
	v_add_nc_u32_e32 v13, -10, v12
	v_lshl_add_u64 v[32:33], v[10:11], 3, s[10:11]
	v_add_nc_u32_e32 v10, 6, v36
	global_load_b128 v[32:35], v[32:33], off
	v_lshl_add_u64 v[62:63], v[10:11], 3, s[10:11]
	v_add_nc_u32_e32 v10, 8, v36
	s_wait_xcnt 0x1
	s_delay_alu instid0(VALU_DEP_1) | instskip(SKIP_4) | instid1(VALU_DEP_3)
	v_lshl_add_u64 v[36:37], v[10:11], 3, s[10:11]
	s_wait_loadcnt 0xd
	v_pk_fma_f32 v[8:9], v[16:17], v[20:21], v[8:9] op_sel_hi:[1,0,1]
	v_pk_fma_f32 v[0:1], v[38:39], v[20:21], v[0:1] op_sel_hi:[1,0,1]
	v_mov_b32_e32 v10, v23
	v_pk_fma_f32 v[8:9], v[16:17], v[20:21], v[8:9] op_sel:[1,1,0] op_sel_hi:[0,1,1] neg_lo:[1,0,0]
	s_delay_alu instid0(VALU_DEP_3) | instskip(NEXT) | instid1(VALU_DEP_2)
	v_pk_fma_f32 v[0:1], v[38:39], v[20:21], v[0:1] op_sel:[1,1,0] op_sel_hi:[0,1,1] neg_lo:[1,0,0]
	v_pk_fma_f32 v[8:9], v[18:19], v[22:23], v[8:9] op_sel_hi:[1,0,1]
	s_clause 0x1
	global_load_b64 v[64:65], v69, s[8:9] scale_offset
	global_load_b64 v[66:67], v68, s[8:9] scale_offset
	global_load_b128 v[16:19], v[62:63], off
	global_load_b64 v[38:39], v70, s[8:9] scale_offset
	s_wait_loadcnt 0x10
	v_pk_fma_f32 v[0:1], v[40:41], v[22:23], v[0:1] op_sel_hi:[1,0,1]
	global_load_b128 v[20:23], v[36:37], off
	v_pk_fma_f32 v[8:9], v[60:61], v[10:11], v[8:9] op_sel_hi:[1,0,1]
	global_load_b64 v[36:37], v12, s[8:9] scale_offset
	v_pk_fma_f32 v[0:1], v[40:41], v[10:11], v[0:1] op_sel:[1,0,0] op_sel_hi:[0,0,1] neg_lo:[1,0,0]
	s_wait_loadcnt 0xf
	v_mov_b32_e32 v10, v31
	global_load_b64 v[40:41], v13, s[8:9] scale_offset
	v_pk_fma_f32 v[8:9], v[24:25], v[28:29], v[8:9] op_sel_hi:[1,0,1]
	s_wait_xcnt 0x1
	v_add_nc_u32_e32 v12, 0x50, v12
	v_pk_fma_f32 v[0:1], v[42:43], v[28:29], v[0:1] op_sel_hi:[1,0,1]
	s_delay_alu instid0(VALU_DEP_3) | instskip(SKIP_1) | instid1(VALU_DEP_3)
	v_pk_fma_f32 v[8:9], v[24:25], v[28:29], v[8:9] op_sel:[1,1,0] op_sel_hi:[0,1,1] neg_lo:[1,0,0]
	v_xor_b32_e32 v24, 0x80000000, v27
	v_pk_fma_f32 v[0:1], v[42:43], v[28:29], v[0:1] op_sel:[1,1,0] op_sel_hi:[0,1,1] neg_lo:[1,0,0]
	v_mov_b32_e32 v25, v26
	s_delay_alu instid0(VALU_DEP_4) | instskip(SKIP_1) | instid1(VALU_DEP_3)
	v_pk_fma_f32 v[8:9], v[26:27], v[30:31], v[8:9] op_sel_hi:[1,0,1]
	s_wait_loadcnt 0xe
	v_pk_fma_f32 v[0:1], v[46:47], v[30:31], v[0:1] op_sel_hi:[1,0,1]
	s_delay_alu instid0(VALU_DEP_2) | instskip(NEXT) | instid1(VALU_DEP_2)
	v_pk_fma_f32 v[8:9], v[24:25], v[10:11], v[8:9] op_sel_hi:[1,0,1]
	v_pk_fma_f32 v[0:1], v[46:47], v[10:11], v[0:1] op_sel:[1,0,0] op_sel_hi:[0,0,1] neg_lo:[1,0,0]
	s_wait_loadcnt 0x7
	v_mov_b32_e32 v10, v35
	s_delay_alu instid0(VALU_DEP_3) | instskip(NEXT) | instid1(VALU_DEP_3)
	v_pk_fma_f32 v[8:9], v[44:45], v[32:33], v[8:9] op_sel_hi:[1,0,1]
	v_pk_fma_f32 v[0:1], v[52:53], v[32:33], v[0:1] op_sel_hi:[1,0,1]
	s_delay_alu instid0(VALU_DEP_2) | instskip(NEXT) | instid1(VALU_DEP_2)
	v_pk_fma_f32 v[8:9], v[44:45], v[32:33], v[8:9] op_sel:[1,1,0] op_sel_hi:[0,1,1] neg_lo:[1,0,0]
	v_pk_fma_f32 v[0:1], v[52:53], v[32:33], v[0:1] op_sel:[1,1,0] op_sel_hi:[0,1,1] neg_lo:[1,0,0]
	s_delay_alu instid0(VALU_DEP_2) | instskip(NEXT) | instid1(VALU_DEP_2)
	v_pk_fma_f32 v[8:9], v[54:55], v[34:35], v[8:9] op_sel_hi:[1,0,1]
	v_pk_fma_f32 v[0:1], v[58:59], v[34:35], v[0:1] op_sel_hi:[1,0,1]
	s_delay_alu instid0(VALU_DEP_2) | instskip(NEXT) | instid1(VALU_DEP_2)
	v_pk_fma_f32 v[8:9], v[54:55], v[10:11], v[8:9] op_sel:[1,0,0] op_sel_hi:[0,0,1] neg_lo:[1,0,0]
	v_pk_fma_f32 v[0:1], v[58:59], v[10:11], v[0:1] op_sel:[1,0,0] op_sel_hi:[0,0,1] neg_lo:[1,0,0]
	s_wait_loadcnt 0x4
	s_delay_alu instid0(VALU_DEP_2) | instskip(NEXT) | instid1(VALU_DEP_2)
	v_pk_fma_f32 v[8:9], v[56:57], v[16:17], v[8:9] op_sel_hi:[1,0,1]
	v_pk_fma_f32 v[0:1], v[66:67], v[16:17], v[0:1] op_sel_hi:[1,0,1]
	v_mov_b32_e32 v10, v19
	s_delay_alu instid0(VALU_DEP_3) | instskip(NEXT) | instid1(VALU_DEP_3)
	v_pk_fma_f32 v[8:9], v[56:57], v[16:17], v[8:9] op_sel:[1,1,0] op_sel_hi:[0,1,1] neg_lo:[1,0,0]
	v_pk_fma_f32 v[0:1], v[66:67], v[16:17], v[0:1] op_sel:[1,1,0] op_sel_hi:[0,1,1] neg_lo:[1,0,0]
	s_delay_alu instid0(VALU_DEP_2) | instskip(NEXT) | instid1(VALU_DEP_2)
	v_pk_fma_f32 v[8:9], v[48:49], v[18:19], v[8:9] op_sel_hi:[1,0,1]
	v_pk_fma_f32 v[0:1], v[64:65], v[18:19], v[0:1] op_sel_hi:[1,0,1]
	s_delay_alu instid0(VALU_DEP_2) | instskip(NEXT) | instid1(VALU_DEP_2)
	v_pk_fma_f32 v[8:9], v[48:49], v[10:11], v[8:9] op_sel:[1,0,0] op_sel_hi:[0,0,1] neg_lo:[1,0,0]
	v_pk_fma_f32 v[0:1], v[64:65], v[10:11], v[0:1] op_sel:[1,0,0] op_sel_hi:[0,0,1] neg_lo:[1,0,0]
	s_wait_loadcnt 0x2
	v_mov_b32_e32 v10, v23
	s_delay_alu instid0(VALU_DEP_3) | instskip(NEXT) | instid1(VALU_DEP_3)
	v_pk_fma_f32 v[8:9], v[50:51], v[20:21], v[8:9] op_sel_hi:[1,0,1]
	v_pk_fma_f32 v[0:1], v[38:39], v[20:21], v[0:1] op_sel_hi:[1,0,1]
	s_delay_alu instid0(VALU_DEP_2) | instskip(NEXT) | instid1(VALU_DEP_2)
	v_pk_fma_f32 v[8:9], v[50:51], v[20:21], v[8:9] op_sel:[1,1,0] op_sel_hi:[0,1,1] neg_lo:[1,0,0]
	v_pk_fma_f32 v[0:1], v[38:39], v[20:21], v[0:1] op_sel:[1,1,0] op_sel_hi:[0,1,1] neg_lo:[1,0,0]
	s_wait_loadcnt 0x0
	s_delay_alu instid0(VALU_DEP_2) | instskip(NEXT) | instid1(VALU_DEP_2)
	v_pk_fma_f32 v[8:9], v[40:41], v[22:23], v[8:9] op_sel_hi:[1,0,1]
	v_pk_fma_f32 v[0:1], v[36:37], v[22:23], v[0:1] op_sel_hi:[1,0,1]
	s_delay_alu instid0(VALU_DEP_2) | instskip(NEXT) | instid1(VALU_DEP_2)
	v_pk_fma_f32 v[8:9], v[40:41], v[10:11], v[8:9] op_sel:[1,0,0] op_sel_hi:[0,0,1] neg_lo:[1,0,0]
	v_pk_fma_f32 v[0:1], v[36:37], v[10:11], v[0:1] op_sel:[1,0,0] op_sel_hi:[0,0,1] neg_lo:[1,0,0]
	s_and_not1_b32 exec_lo, exec_lo, s2
	s_cbranch_execnz .LBB192_11
; %bb.12:
	s_or_b32 exec_lo, exec_lo, s2
.LBB192_13:
	s_delay_alu instid0(SALU_CYCLE_1)
	s_or_b32 exec_lo, exec_lo, s3
.LBB192_14:
	v_mbcnt_lo_u32_b32 v10, -1, 0
	s_delay_alu instid0(VALU_DEP_1) | instskip(SKIP_1) | instid1(VALU_DEP_1)
	v_xor_b32_e32 v15, 1, v10
	v_xor_b32_e32 v11, 2, v10
	v_cmp_gt_i32_e32 vcc_lo, 32, v11
	v_cndmask_b32_e32 v11, v10, v11, vcc_lo
	s_delay_alu instid0(VALU_DEP_4) | instskip(SKIP_2) | instid1(VALU_DEP_2)
	v_cmp_gt_i32_e32 vcc_lo, 32, v15
	v_cndmask_b32_e32 v10, v10, v15, vcc_lo
	v_cmp_eq_u32_e32 vcc_lo, 3, v7
	v_dual_lshlrev_b32 v15, 2, v10 :: v_dual_lshlrev_b32 v11, 2, v11
	ds_bpermute_b32 v12, v11, v8
	s_wait_dscnt 0x0
	v_add_f32_e32 v10, v8, v12
	ds_bpermute_b32 v13, v11, v9
	ds_bpermute_b32 v14, v11, v0
	;; [unrolled: 1-line block ×3, first 2 shown]
	s_wait_dscnt 0x1
	v_dual_add_f32 v9, v9, v13 :: v_dual_add_f32 v8, v0, v14
	s_wait_dscnt 0x0
	v_add_f32_e32 v1, v1, v11
	ds_bpermute_b32 v0, v15, v10
	ds_bpermute_b32 v12, v15, v9
	;; [unrolled: 1-line block ×4, first 2 shown]
	s_and_b32 exec_lo, exec_lo, vcc_lo
	s_cbranch_execz .LBB192_19
; %bb.15:
	s_load_b64 s[2:3], s[0:1], 0x38
	v_cmp_eq_f32_e32 vcc_lo, 0, v4
	s_wait_xcnt 0x0
	v_cmp_eq_f32_e64 s0, 0, v5
	s_wait_dscnt 0x1
	v_dual_add_f32 v0, v10, v0 :: v_dual_add_f32 v8, v8, v11
	v_add_f32_e32 v12, v9, v12
	s_wait_dscnt 0x0
	v_add_f32_e32 v10, v1, v13
	s_and_b32 s0, vcc_lo, s0
	s_delay_alu instid0(SALU_CYCLE_1) | instskip(NEXT) | instid1(SALU_CYCLE_1)
	s_and_saveexec_b32 s1, s0
	s_xor_b32 s0, exec_lo, s1
	s_cbranch_execz .LBB192_17
; %bb.16:
	v_xor_b32_e32 v4, 0x80000000, v3
	v_dual_mov_b32 v5, v2 :: v_dual_lshlrev_b32 v6, 1, v6
	s_delay_alu instid0(VALU_DEP_1) | instskip(NEXT) | instid1(VALU_DEP_2)
	v_ashrrev_i32_e32 v7, 31, v6
	v_pk_mul_f32 v[12:13], v[12:13], v[4:5] op_sel_hi:[0,1]
	v_pk_mul_f32 v[4:5], v[10:11], v[4:5] op_sel_hi:[0,1]
                                        ; implicit-def: $vgpr10
	s_wait_kmcnt 0x0
	s_delay_alu instid0(VALU_DEP_3) | instskip(NEXT) | instid1(VALU_DEP_3)
	v_lshl_add_u64 v[6:7], v[6:7], 3, s[2:3]
	v_pk_fma_f32 v[0:1], v[2:3], v[0:1], v[12:13] op_sel_hi:[1,0,1]
	s_delay_alu instid0(VALU_DEP_3)
	v_pk_fma_f32 v[2:3], v[2:3], v[8:9], v[4:5] op_sel_hi:[1,0,1]
                                        ; implicit-def: $vgpr4_vgpr5
                                        ; implicit-def: $vgpr12
                                        ; implicit-def: $vgpr8
	global_store_b128 v[6:7], v[0:3], off
                                        ; implicit-def: $vgpr6
                                        ; implicit-def: $vgpr2_vgpr3
                                        ; implicit-def: $vgpr0
.LBB192_17:
	s_wait_xcnt 0x0
	s_and_not1_saveexec_b32 s0, s0
	s_cbranch_execz .LBB192_19
; %bb.18:
	v_dual_mov_b32 v19, v2 :: v_dual_lshlrev_b32 v6, 1, v6
	v_xor_b32_e32 v18, 0x80000000, v3
	s_delay_alu instid0(VALU_DEP_2) | instskip(NEXT) | instid1(VALU_DEP_2)
	v_ashrrev_i32_e32 v7, 31, v6
	v_pk_mul_f32 v[12:13], v[12:13], v[18:19] op_sel_hi:[0,1]
	v_pk_mul_f32 v[10:11], v[10:11], v[18:19] op_sel_hi:[0,1]
	s_delay_alu instid0(VALU_DEP_2) | instskip(NEXT) | instid1(VALU_DEP_2)
	v_pk_fma_f32 v[0:1], v[2:3], v[0:1], v[12:13] op_sel_hi:[1,0,1]
	v_pk_fma_f32 v[2:3], v[2:3], v[8:9], v[10:11] op_sel_hi:[1,0,1]
	v_mov_b32_e32 v9, v4
	s_wait_kmcnt 0x0
	v_lshl_add_u64 v[6:7], v[6:7], 3, s[2:3]
	v_xor_b32_e32 v8, 0x80000000, v5
	global_load_b128 v[14:17], v[6:7], off
	s_wait_loadcnt 0x0
	v_pk_fma_f32 v[0:1], v[4:5], v[14:15], v[0:1] op_sel_hi:[1,0,1]
	v_pk_fma_f32 v[2:3], v[4:5], v[16:17], v[2:3] op_sel_hi:[1,0,1]
	v_mov_b32_e32 v4, v17
	s_delay_alu instid0(VALU_DEP_3) | instskip(NEXT) | instid1(VALU_DEP_2)
	v_pk_fma_f32 v[0:1], v[8:9], v[14:15], v[0:1] op_sel:[0,1,0]
	v_pk_fma_f32 v[2:3], v[8:9], v[4:5], v[2:3] op_sel_hi:[1,0,1]
	global_store_b128 v[6:7], v[0:3], off
.LBB192_19:
	s_sendmsg sendmsg(MSG_DEALLOC_VGPRS)
	s_endpgm
	.section	.rodata,"a",@progbits
	.p2align	6, 0x0
	.amdhsa_kernel _ZN9rocsparseL19gebsrmvn_2xn_kernelILj128ELj10ELj4E21rocsparse_complex_numIfEEEvi20rocsparse_direction_NS_24const_host_device_scalarIT2_EEPKiS8_PKS5_SA_S6_PS5_21rocsparse_index_base_b
		.amdhsa_group_segment_fixed_size 0
		.amdhsa_private_segment_fixed_size 0
		.amdhsa_kernarg_size 72
		.amdhsa_user_sgpr_count 2
		.amdhsa_user_sgpr_dispatch_ptr 0
		.amdhsa_user_sgpr_queue_ptr 0
		.amdhsa_user_sgpr_kernarg_segment_ptr 1
		.amdhsa_user_sgpr_dispatch_id 0
		.amdhsa_user_sgpr_kernarg_preload_length 0
		.amdhsa_user_sgpr_kernarg_preload_offset 0
		.amdhsa_user_sgpr_private_segment_size 0
		.amdhsa_wavefront_size32 1
		.amdhsa_uses_dynamic_stack 0
		.amdhsa_enable_private_segment 0
		.amdhsa_system_sgpr_workgroup_id_x 1
		.amdhsa_system_sgpr_workgroup_id_y 0
		.amdhsa_system_sgpr_workgroup_id_z 0
		.amdhsa_system_sgpr_workgroup_info 0
		.amdhsa_system_vgpr_workitem_id 0
		.amdhsa_next_free_vgpr 80
		.amdhsa_next_free_sgpr 14
		.amdhsa_named_barrier_count 0
		.amdhsa_reserve_vcc 1
		.amdhsa_float_round_mode_32 0
		.amdhsa_float_round_mode_16_64 0
		.amdhsa_float_denorm_mode_32 3
		.amdhsa_float_denorm_mode_16_64 3
		.amdhsa_fp16_overflow 0
		.amdhsa_memory_ordered 1
		.amdhsa_forward_progress 1
		.amdhsa_inst_pref_size 24
		.amdhsa_round_robin_scheduling 0
		.amdhsa_exception_fp_ieee_invalid_op 0
		.amdhsa_exception_fp_denorm_src 0
		.amdhsa_exception_fp_ieee_div_zero 0
		.amdhsa_exception_fp_ieee_overflow 0
		.amdhsa_exception_fp_ieee_underflow 0
		.amdhsa_exception_fp_ieee_inexact 0
		.amdhsa_exception_int_div_zero 0
	.end_amdhsa_kernel
	.section	.text._ZN9rocsparseL19gebsrmvn_2xn_kernelILj128ELj10ELj4E21rocsparse_complex_numIfEEEvi20rocsparse_direction_NS_24const_host_device_scalarIT2_EEPKiS8_PKS5_SA_S6_PS5_21rocsparse_index_base_b,"axG",@progbits,_ZN9rocsparseL19gebsrmvn_2xn_kernelILj128ELj10ELj4E21rocsparse_complex_numIfEEEvi20rocsparse_direction_NS_24const_host_device_scalarIT2_EEPKiS8_PKS5_SA_S6_PS5_21rocsparse_index_base_b,comdat
.Lfunc_end192:
	.size	_ZN9rocsparseL19gebsrmvn_2xn_kernelILj128ELj10ELj4E21rocsparse_complex_numIfEEEvi20rocsparse_direction_NS_24const_host_device_scalarIT2_EEPKiS8_PKS5_SA_S6_PS5_21rocsparse_index_base_b, .Lfunc_end192-_ZN9rocsparseL19gebsrmvn_2xn_kernelILj128ELj10ELj4E21rocsparse_complex_numIfEEEvi20rocsparse_direction_NS_24const_host_device_scalarIT2_EEPKiS8_PKS5_SA_S6_PS5_21rocsparse_index_base_b
                                        ; -- End function
	.set _ZN9rocsparseL19gebsrmvn_2xn_kernelILj128ELj10ELj4E21rocsparse_complex_numIfEEEvi20rocsparse_direction_NS_24const_host_device_scalarIT2_EEPKiS8_PKS5_SA_S6_PS5_21rocsparse_index_base_b.num_vgpr, 80
	.set _ZN9rocsparseL19gebsrmvn_2xn_kernelILj128ELj10ELj4E21rocsparse_complex_numIfEEEvi20rocsparse_direction_NS_24const_host_device_scalarIT2_EEPKiS8_PKS5_SA_S6_PS5_21rocsparse_index_base_b.num_agpr, 0
	.set _ZN9rocsparseL19gebsrmvn_2xn_kernelILj128ELj10ELj4E21rocsparse_complex_numIfEEEvi20rocsparse_direction_NS_24const_host_device_scalarIT2_EEPKiS8_PKS5_SA_S6_PS5_21rocsparse_index_base_b.numbered_sgpr, 14
	.set _ZN9rocsparseL19gebsrmvn_2xn_kernelILj128ELj10ELj4E21rocsparse_complex_numIfEEEvi20rocsparse_direction_NS_24const_host_device_scalarIT2_EEPKiS8_PKS5_SA_S6_PS5_21rocsparse_index_base_b.num_named_barrier, 0
	.set _ZN9rocsparseL19gebsrmvn_2xn_kernelILj128ELj10ELj4E21rocsparse_complex_numIfEEEvi20rocsparse_direction_NS_24const_host_device_scalarIT2_EEPKiS8_PKS5_SA_S6_PS5_21rocsparse_index_base_b.private_seg_size, 0
	.set _ZN9rocsparseL19gebsrmvn_2xn_kernelILj128ELj10ELj4E21rocsparse_complex_numIfEEEvi20rocsparse_direction_NS_24const_host_device_scalarIT2_EEPKiS8_PKS5_SA_S6_PS5_21rocsparse_index_base_b.uses_vcc, 1
	.set _ZN9rocsparseL19gebsrmvn_2xn_kernelILj128ELj10ELj4E21rocsparse_complex_numIfEEEvi20rocsparse_direction_NS_24const_host_device_scalarIT2_EEPKiS8_PKS5_SA_S6_PS5_21rocsparse_index_base_b.uses_flat_scratch, 1
	.set _ZN9rocsparseL19gebsrmvn_2xn_kernelILj128ELj10ELj4E21rocsparse_complex_numIfEEEvi20rocsparse_direction_NS_24const_host_device_scalarIT2_EEPKiS8_PKS5_SA_S6_PS5_21rocsparse_index_base_b.has_dyn_sized_stack, 0
	.set _ZN9rocsparseL19gebsrmvn_2xn_kernelILj128ELj10ELj4E21rocsparse_complex_numIfEEEvi20rocsparse_direction_NS_24const_host_device_scalarIT2_EEPKiS8_PKS5_SA_S6_PS5_21rocsparse_index_base_b.has_recursion, 0
	.set _ZN9rocsparseL19gebsrmvn_2xn_kernelILj128ELj10ELj4E21rocsparse_complex_numIfEEEvi20rocsparse_direction_NS_24const_host_device_scalarIT2_EEPKiS8_PKS5_SA_S6_PS5_21rocsparse_index_base_b.has_indirect_call, 0
	.section	.AMDGPU.csdata,"",@progbits
; Kernel info:
; codeLenInByte = 2976
; TotalNumSgprs: 16
; NumVgprs: 80
; ScratchSize: 0
; MemoryBound: 0
; FloatMode: 240
; IeeeMode: 1
; LDSByteSize: 0 bytes/workgroup (compile time only)
; SGPRBlocks: 0
; VGPRBlocks: 4
; NumSGPRsForWavesPerEU: 16
; NumVGPRsForWavesPerEU: 80
; NamedBarCnt: 0
; Occupancy: 12
; WaveLimiterHint : 1
; COMPUTE_PGM_RSRC2:SCRATCH_EN: 0
; COMPUTE_PGM_RSRC2:USER_SGPR: 2
; COMPUTE_PGM_RSRC2:TRAP_HANDLER: 0
; COMPUTE_PGM_RSRC2:TGID_X_EN: 1
; COMPUTE_PGM_RSRC2:TGID_Y_EN: 0
; COMPUTE_PGM_RSRC2:TGID_Z_EN: 0
; COMPUTE_PGM_RSRC2:TIDIG_COMP_CNT: 0
	.section	.text._ZN9rocsparseL19gebsrmvn_2xn_kernelILj128ELj10ELj8E21rocsparse_complex_numIfEEEvi20rocsparse_direction_NS_24const_host_device_scalarIT2_EEPKiS8_PKS5_SA_S6_PS5_21rocsparse_index_base_b,"axG",@progbits,_ZN9rocsparseL19gebsrmvn_2xn_kernelILj128ELj10ELj8E21rocsparse_complex_numIfEEEvi20rocsparse_direction_NS_24const_host_device_scalarIT2_EEPKiS8_PKS5_SA_S6_PS5_21rocsparse_index_base_b,comdat
	.globl	_ZN9rocsparseL19gebsrmvn_2xn_kernelILj128ELj10ELj8E21rocsparse_complex_numIfEEEvi20rocsparse_direction_NS_24const_host_device_scalarIT2_EEPKiS8_PKS5_SA_S6_PS5_21rocsparse_index_base_b ; -- Begin function _ZN9rocsparseL19gebsrmvn_2xn_kernelILj128ELj10ELj8E21rocsparse_complex_numIfEEEvi20rocsparse_direction_NS_24const_host_device_scalarIT2_EEPKiS8_PKS5_SA_S6_PS5_21rocsparse_index_base_b
	.p2align	8
	.type	_ZN9rocsparseL19gebsrmvn_2xn_kernelILj128ELj10ELj8E21rocsparse_complex_numIfEEEvi20rocsparse_direction_NS_24const_host_device_scalarIT2_EEPKiS8_PKS5_SA_S6_PS5_21rocsparse_index_base_b,@function
_ZN9rocsparseL19gebsrmvn_2xn_kernelILj128ELj10ELj8E21rocsparse_complex_numIfEEEvi20rocsparse_direction_NS_24const_host_device_scalarIT2_EEPKiS8_PKS5_SA_S6_PS5_21rocsparse_index_base_b: ; @_ZN9rocsparseL19gebsrmvn_2xn_kernelILj128ELj10ELj8E21rocsparse_complex_numIfEEEvi20rocsparse_direction_NS_24const_host_device_scalarIT2_EEPKiS8_PKS5_SA_S6_PS5_21rocsparse_index_base_b
; %bb.0:
	s_clause 0x2
	s_load_b64 s[12:13], s[0:1], 0x40
	s_load_b64 s[2:3], s[0:1], 0x8
	;; [unrolled: 1-line block ×3, first 2 shown]
	v_mov_b32_e32 v1, 0
	s_add_nc_u64 s[6:7], s[0:1], 8
	s_add_nc_u64 s[8:9], s[0:1], 48
	s_wait_kmcnt 0x0
	s_bitcmp1_b32 s13, 0
	s_cselect_b32 s3, s7, s3
	s_cselect_b32 s2, s6, s2
	;; [unrolled: 1-line block ×4, first 2 shown]
	s_clause 0x1
	flat_load_b64 v[2:3], v1, s[2:3]
	flat_load_b64 v[4:5], v1, s[4:5]
	s_wait_loadcnt_dscnt 0x101
	v_cmp_eq_f32_e32 vcc_lo, 0, v2
	v_cmp_eq_f32_e64 s2, 0, v3
	s_wait_loadcnt_dscnt 0x0
	v_cmp_eq_f32_e64 s3, 1.0, v4
	v_cmp_eq_f32_e64 s4, 0, v5
	s_and_b32 s2, vcc_lo, s2
	s_and_b32 s3, s3, s4
	s_delay_alu instid0(SALU_CYCLE_1) | instskip(NEXT) | instid1(SALU_CYCLE_1)
	s_and_b32 s2, s2, s3
	s_xor_b32 s2, s2, -1
	s_delay_alu instid0(SALU_CYCLE_1)
	s_and_saveexec_b32 s3, s2
	s_cbranch_execz .LBB193_19
; %bb.1:
	s_load_b64 s[2:3], s[0:1], 0x0
	s_bfe_u32 s4, ttmp6, 0x4000c
	s_and_b32 s5, ttmp6, 15
	s_add_co_i32 s4, s4, 1
	s_getreg_b32 s6, hwreg(HW_REG_IB_STS2, 6, 4)
	s_mul_i32 s4, ttmp9, s4
	v_lshrrev_b32_e32 v1, 3, v0
	s_add_co_i32 s5, s5, s4
	s_cmp_eq_u32 s6, 0
	s_cselect_b32 s4, ttmp9, s5
	s_delay_alu instid0(VALU_DEP_1) | instid1(SALU_CYCLE_1)
	v_lshl_or_b32 v6, s4, 4, v1
	s_wait_kmcnt 0x0
	s_delay_alu instid0(VALU_DEP_1)
	v_cmp_gt_i32_e32 vcc_lo, s2, v6
	s_and_b32 exec_lo, exec_lo, vcc_lo
	s_cbranch_execz .LBB193_19
; %bb.2:
	s_load_b256 s[4:11], s[0:1], 0x10
	v_ashrrev_i32_e32 v7, 31, v6
	s_cmp_lg_u32 s3, 0
	s_wait_kmcnt 0x0
	s_delay_alu instid0(VALU_DEP_1)
	v_lshl_add_u64 v[8:9], v[6:7], 2, s[4:5]
	v_and_b32_e32 v7, 7, v0
	global_load_b64 v[8:9], v[8:9], off
	s_wait_loadcnt 0x0
	v_subrev_nc_u32_e32 v0, s12, v8
	v_subrev_nc_u32_e32 v14, s12, v9
	s_delay_alu instid0(VALU_DEP_2) | instskip(NEXT) | instid1(VALU_DEP_1)
	v_add_nc_u32_e32 v15, v0, v7
	v_cmp_lt_i32_e64 s2, v15, v14
	s_cbranch_scc0 .LBB193_8
; %bb.3:
	v_mov_b32_e32 v9, 0
	s_delay_alu instid0(VALU_DEP_1)
	v_dual_mov_b32 v8, v9 :: v_dual_mov_b32 v1, v9
	v_mov_b32_e32 v0, v9
	s_and_saveexec_b32 s3, s2
	s_cbranch_execz .LBB193_7
; %bb.4:
	v_mad_u32 v12, v15, 20, 18
	v_dual_mov_b32 v11, 0 :: v_dual_mov_b32 v16, v15
	s_mov_b32 s4, 0
	s_delay_alu instid0(VALU_DEP_1)
	v_dual_mov_b32 v0, v11 :: v_dual_mov_b32 v1, v11
	v_dual_mov_b32 v8, v11 :: v_dual_mov_b32 v9, v11
.LBB193_5:                              ; =>This Inner Loop Header: Depth=1
	global_load_b32 v10, v16, s[6:7] scale_offset
	v_dual_mov_b32 v67, v11 :: v_dual_mov_b32 v13, v11
	s_wait_xcnt 0x0
	v_add_nc_u32_e32 v16, 8, v16
	s_delay_alu instid0(VALU_DEP_1) | instskip(SKIP_3) | instid1(VALU_DEP_1)
	v_cmp_ge_i32_e32 vcc_lo, v16, v14
	s_or_b32 s4, vcc_lo, s4
	s_wait_loadcnt 0x0
	v_subrev_nc_u32_e32 v10, s12, v10
	v_mul_lo_u32 v66, v10, 10
	v_subrev_nc_u32_e32 v10, 18, v12
	s_delay_alu instid0(VALU_DEP_1) | instskip(SKIP_1) | instid1(VALU_DEP_4)
	v_lshl_add_u64 v[26:27], v[10:11], 3, s[8:9]
	v_add_nc_u32_e32 v10, -14, v12
	v_lshl_add_u64 v[28:29], v[66:67], 3, s[10:11]
	global_load_b128 v[18:21], v[26:27], off
	global_load_b128 v[22:25], v[28:29], off
	global_load_b128 v[26:29], v[26:27], off offset:16
	v_lshl_add_u64 v[30:31], v[10:11], 3, s[8:9]
	v_add_nc_u32_e32 v10, 2, v66
	global_load_b128 v[30:33], v[30:31], off
	v_lshl_add_u64 v[34:35], v[10:11], 3, s[10:11]
	v_add_nc_u32_e32 v10, -12, v12
	global_load_b128 v[34:37], v[34:35], off
	s_wait_loadcnt 0x4
	v_mov_b32_e32 v79, v20
	v_lshl_add_u64 v[38:39], v[10:11], 3, s[8:9]
	v_add_nc_u32_e32 v10, -10, v12
	s_wait_loadcnt 0x3
	v_pk_fma_f32 v[8:9], v[18:19], v[22:23], v[8:9] op_sel_hi:[1,0,1]
	v_xor_b32_e32 v78, 0x80000000, v21
	v_pk_fma_f32 v[0:1], v[20:21], v[22:23], v[0:1] op_sel_hi:[1,0,1]
	global_load_b128 v[38:41], v[38:39], off
	v_pk_fma_f32 v[8:9], v[18:19], v[22:23], v[8:9] op_sel:[1,1,0] op_sel_hi:[0,1,1] neg_lo:[1,0,0]
	s_wait_loadcnt 0x3
	v_mov_b32_e32 v19, v28
	v_lshl_add_u64 v[50:51], v[10:11], 3, s[8:9]
	v_add_nc_u32_e32 v10, 4, v66
	v_pk_fma_f32 v[0:1], v[78:79], v[22:23], v[0:1] op_sel:[0,1,0]
	v_xor_b32_e32 v18, 0x80000000, v29
	v_pk_fma_f32 v[8:9], v[26:27], v[24:25], v[8:9] op_sel_hi:[1,0,1]
	s_delay_alu instid0(VALU_DEP_4)
	v_lshl_add_u64 v[52:53], v[10:11], 3, s[10:11]
	v_add_nc_u32_e32 v10, -8, v12
	global_load_b128 v[42:45], v[50:51], off
	global_load_b128 v[46:49], v[52:53], off
	v_pk_fma_f32 v[0:1], v[28:29], v[24:25], v[0:1] op_sel_hi:[1,0,1]
	s_wait_xcnt 0x1
	v_lshl_add_u64 v[50:51], v[10:11], 3, s[8:9]
	v_add_nc_u32_e32 v10, -6, v12
	global_load_b128 v[50:53], v[50:51], off
	v_lshl_add_u64 v[62:63], v[10:11], 3, s[8:9]
	v_add_nc_u32_e32 v10, 6, v66
	s_delay_alu instid0(VALU_DEP_1) | instskip(SKIP_4) | instid1(VALU_DEP_1)
	v_lshl_add_u64 v[64:65], v[10:11], 3, s[10:11]
	global_load_b128 v[54:57], v[62:63], off
	global_load_b128 v[58:61], v[64:65], off
	v_add_nc_u32_e32 v10, -4, v12
	s_wait_xcnt 0x1
	v_lshl_add_u64 v[62:63], v[10:11], 3, s[8:9]
	global_load_b128 v[62:65], v[62:63], off
	v_add_nc_u32_e32 v10, -2, v12
	s_delay_alu instid0(VALU_DEP_1) | instskip(SKIP_1) | instid1(VALU_DEP_1)
	v_lshl_add_u64 v[74:75], v[10:11], 3, s[8:9]
	v_add_nc_u32_e32 v10, 8, v66
	v_lshl_add_u64 v[76:77], v[10:11], 3, s[10:11]
	global_load_b128 v[66:69], v[74:75], off
	global_load_b128 v[70:73], v[76:77], off
	s_wait_xcnt 0x1
	v_lshl_add_u64 v[74:75], v[12:13], 3, s[8:9]
	v_mov_b32_e32 v10, v25
	v_add_nc_u32_e32 v12, 0xa0, v12
	global_load_b128 v[74:77], v[74:75], off
	v_pk_fma_f32 v[8:9], v[26:27], v[10:11], v[8:9] op_sel:[1,0,0] op_sel_hi:[0,0,1] neg_lo:[1,0,0]
	v_pk_fma_f32 v[0:1], v[18:19], v[10:11], v[0:1] op_sel_hi:[1,0,1]
	s_wait_loadcnt 0xb
	v_xor_b32_e32 v18, 0x80000000, v33
	s_wait_loadcnt 0xa
	v_dual_mov_b32 v19, v32 :: v_dual_mov_b32 v10, v37
	v_pk_fma_f32 v[8:9], v[30:31], v[34:35], v[8:9] op_sel_hi:[1,0,1]
	v_pk_fma_f32 v[0:1], v[32:33], v[34:35], v[0:1] op_sel_hi:[1,0,1]
	s_delay_alu instid0(VALU_DEP_2) | instskip(NEXT) | instid1(VALU_DEP_2)
	v_pk_fma_f32 v[8:9], v[30:31], v[34:35], v[8:9] op_sel:[1,1,0] op_sel_hi:[0,1,1] neg_lo:[1,0,0]
	v_pk_fma_f32 v[0:1], v[18:19], v[34:35], v[0:1] op_sel:[0,1,0]
	s_wait_loadcnt 0x9
	v_xor_b32_e32 v18, 0x80000000, v41
	v_mov_b32_e32 v19, v40
	v_pk_fma_f32 v[8:9], v[38:39], v[36:37], v[8:9] op_sel_hi:[1,0,1]
	v_pk_fma_f32 v[0:1], v[40:41], v[36:37], v[0:1] op_sel_hi:[1,0,1]
	s_delay_alu instid0(VALU_DEP_2) | instskip(NEXT) | instid1(VALU_DEP_2)
	v_pk_fma_f32 v[8:9], v[38:39], v[10:11], v[8:9] op_sel:[1,0,0] op_sel_hi:[0,0,1] neg_lo:[1,0,0]
	v_pk_fma_f32 v[0:1], v[18:19], v[10:11], v[0:1] op_sel_hi:[1,0,1]
	s_wait_loadcnt 0x8
	v_xor_b32_e32 v18, 0x80000000, v45
	v_mov_b32_e32 v19, v44
	s_wait_loadcnt 0x7
	v_pk_fma_f32 v[8:9], v[42:43], v[46:47], v[8:9] op_sel_hi:[1,0,1]
	v_pk_fma_f32 v[0:1], v[44:45], v[46:47], v[0:1] op_sel_hi:[1,0,1]
	v_mov_b32_e32 v10, v49
	s_delay_alu instid0(VALU_DEP_3) | instskip(NEXT) | instid1(VALU_DEP_3)
	v_pk_fma_f32 v[8:9], v[42:43], v[46:47], v[8:9] op_sel:[1,1,0] op_sel_hi:[0,1,1] neg_lo:[1,0,0]
	v_pk_fma_f32 v[0:1], v[18:19], v[46:47], v[0:1] op_sel:[0,1,0]
	s_wait_loadcnt 0x6
	v_xor_b32_e32 v18, 0x80000000, v53
	v_mov_b32_e32 v19, v52
	v_pk_fma_f32 v[8:9], v[50:51], v[48:49], v[8:9] op_sel_hi:[1,0,1]
	v_pk_fma_f32 v[0:1], v[52:53], v[48:49], v[0:1] op_sel_hi:[1,0,1]
	s_delay_alu instid0(VALU_DEP_2) | instskip(NEXT) | instid1(VALU_DEP_2)
	v_pk_fma_f32 v[8:9], v[50:51], v[10:11], v[8:9] op_sel:[1,0,0] op_sel_hi:[0,0,1] neg_lo:[1,0,0]
	v_pk_fma_f32 v[0:1], v[18:19], v[10:11], v[0:1] op_sel_hi:[1,0,1]
	s_wait_loadcnt 0x5
	v_xor_b32_e32 v18, 0x80000000, v57
	s_wait_loadcnt 0x4
	v_dual_mov_b32 v19, v56 :: v_dual_mov_b32 v10, v61
	v_pk_fma_f32 v[8:9], v[54:55], v[58:59], v[8:9] op_sel_hi:[1,0,1]
	v_pk_fma_f32 v[0:1], v[56:57], v[58:59], v[0:1] op_sel_hi:[1,0,1]
	s_delay_alu instid0(VALU_DEP_2) | instskip(NEXT) | instid1(VALU_DEP_2)
	v_pk_fma_f32 v[8:9], v[54:55], v[58:59], v[8:9] op_sel:[1,1,0] op_sel_hi:[0,1,1] neg_lo:[1,0,0]
	v_pk_fma_f32 v[0:1], v[18:19], v[58:59], v[0:1] op_sel:[0,1,0]
	s_wait_loadcnt 0x3
	v_xor_b32_e32 v18, 0x80000000, v65
	v_mov_b32_e32 v19, v64
	v_pk_fma_f32 v[8:9], v[62:63], v[60:61], v[8:9] op_sel_hi:[1,0,1]
	v_pk_fma_f32 v[0:1], v[64:65], v[60:61], v[0:1] op_sel_hi:[1,0,1]
	s_delay_alu instid0(VALU_DEP_2) | instskip(NEXT) | instid1(VALU_DEP_2)
	v_pk_fma_f32 v[8:9], v[62:63], v[10:11], v[8:9] op_sel:[1,0,0] op_sel_hi:[0,0,1] neg_lo:[1,0,0]
	v_pk_fma_f32 v[0:1], v[18:19], v[10:11], v[0:1] op_sel_hi:[1,0,1]
	s_wait_loadcnt 0x2
	v_xor_b32_e32 v18, 0x80000000, v69
	v_mov_b32_e32 v19, v68
	s_wait_loadcnt 0x1
	v_pk_fma_f32 v[8:9], v[66:67], v[70:71], v[8:9] op_sel_hi:[1,0,1]
	v_pk_fma_f32 v[0:1], v[68:69], v[70:71], v[0:1] op_sel_hi:[1,0,1]
	v_mov_b32_e32 v10, v73
	s_delay_alu instid0(VALU_DEP_3) | instskip(NEXT) | instid1(VALU_DEP_3)
	v_pk_fma_f32 v[8:9], v[66:67], v[70:71], v[8:9] op_sel:[1,1,0] op_sel_hi:[0,1,1] neg_lo:[1,0,0]
	v_pk_fma_f32 v[0:1], v[18:19], v[70:71], v[0:1] op_sel:[0,1,0]
	s_wait_loadcnt 0x0
	v_xor_b32_e32 v18, 0x80000000, v77
	v_mov_b32_e32 v19, v76
	v_pk_fma_f32 v[8:9], v[74:75], v[72:73], v[8:9] op_sel_hi:[1,0,1]
	v_pk_fma_f32 v[0:1], v[76:77], v[72:73], v[0:1] op_sel_hi:[1,0,1]
	s_delay_alu instid0(VALU_DEP_2) | instskip(NEXT) | instid1(VALU_DEP_2)
	v_pk_fma_f32 v[8:9], v[74:75], v[10:11], v[8:9] op_sel:[1,0,0] op_sel_hi:[0,0,1] neg_lo:[1,0,0]
	v_pk_fma_f32 v[0:1], v[18:19], v[10:11], v[0:1] op_sel_hi:[1,0,1]
	s_and_not1_b32 exec_lo, exec_lo, s4
	s_cbranch_execnz .LBB193_5
; %bb.6:
	s_or_b32 exec_lo, exec_lo, s4
.LBB193_7:
	s_delay_alu instid0(SALU_CYCLE_1)
	s_or_b32 exec_lo, exec_lo, s3
	s_cbranch_execz .LBB193_9
	s_branch .LBB193_14
.LBB193_8:
                                        ; implicit-def: $vgpr9
                                        ; implicit-def: $vgpr1
.LBB193_9:
	v_mov_b32_e32 v9, 0
	s_delay_alu instid0(VALU_DEP_1)
	v_dual_mov_b32 v8, v9 :: v_dual_mov_b32 v1, v9
	v_mov_b32_e32 v0, v9
	s_and_saveexec_b32 s3, s2
	s_cbranch_execz .LBB193_13
; %bb.10:
	v_mad_u32 v12, v15, 20, 19
	v_mov_b32_e32 v11, 0
	s_mov_b32 s2, 0
	s_delay_alu instid0(VALU_DEP_1)
	v_dual_mov_b32 v0, v11 :: v_dual_mov_b32 v1, v11
	v_dual_mov_b32 v8, v11 :: v_dual_mov_b32 v9, v11
.LBB193_11:                             ; =>This Inner Loop Header: Depth=1
	global_load_b32 v13, v15, s[6:7] scale_offset
	v_subrev_nc_u32_e32 v10, 19, v12
	v_dual_mov_b32 v37, v11 :: v_dual_add_nc_u32 v20, -9, v12
	v_dual_add_nc_u32 v26, -8, v12 :: v_dual_add_nc_u32 v44, -7, v12
	s_delay_alu instid0(VALU_DEP_3)
	v_lshl_add_u64 v[32:33], v[10:11], 3, s[8:9]
	v_dual_add_nc_u32 v52, -6, v12 :: v_dual_add_nc_u32 v53, -15, v12
	s_clause 0x1
	global_load_b64 v[38:39], v20, s[8:9] scale_offset
	global_load_b128 v[16:19], v[32:33], off
	v_dual_add_nc_u32 v68, -3, v12 :: v_dual_add_nc_u32 v69, -2, v12
	v_dual_add_nc_u32 v58, -5, v12 :: v_dual_add_nc_u32 v59, -13, v12
	s_wait_xcnt 0x2
	v_add_nc_u32_e32 v15, 8, v15
	s_delay_alu instid0(VALU_DEP_1) | instskip(SKIP_4) | instid1(VALU_DEP_2)
	v_cmp_ge_i32_e32 vcc_lo, v15, v14
	s_or_b32 s2, vcc_lo, s2
	s_wait_loadcnt 0x2
	v_subrev_nc_u32_e32 v10, s12, v13
	v_add_nc_u32_e32 v13, -14, v12
	v_mul_lo_u32 v36, v10, 10
	s_wait_loadcnt 0x0
	v_mov_b32_e32 v61, v18
	v_xor_b32_e32 v60, 0x80000000, v19
	s_delay_alu instid0(VALU_DEP_3) | instskip(SKIP_4) | instid1(VALU_DEP_2)
	v_lshl_add_u64 v[24:25], v[36:37], 3, s[10:11]
	global_load_b128 v[20:23], v[24:25], off
	global_load_b64 v[40:41], v26, s[8:9] scale_offset
	v_add_nc_u32_e32 v10, 2, v36
	v_dual_add_nc_u32 v37, -4, v12 :: v_dual_add_nc_u32 v70, -1, v12
	v_lshl_add_u64 v[34:35], v[10:11], 3, s[10:11]
	s_clause 0x1
	global_load_b64 v[42:43], v44, s[8:9] scale_offset
	global_load_b128 v[24:27], v[32:33], off offset:16
	global_load_b128 v[28:31], v[34:35], off
	s_wait_xcnt 0x1
	v_dual_add_nc_u32 v10, -12, v12 :: v_dual_add_nc_u32 v32, -11, v12
	s_clause 0x3
	global_load_b64 v[44:45], v53, s[8:9] scale_offset
	global_load_b64 v[46:47], v52, s[8:9] scale_offset
	global_load_b64 v[48:49], v10, s[8:9] scale_offset
	global_load_b64 v[50:51], v32, s[8:9] scale_offset
	s_wait_xcnt 0x1
	v_add_nc_u32_e32 v10, 4, v36
	s_clause 0x3
	global_load_b64 v[52:53], v58, s[8:9] scale_offset
	global_load_b64 v[54:55], v13, s[8:9] scale_offset
	;; [unrolled: 1-line block ×4, first 2 shown]
	v_add_nc_u32_e32 v13, -10, v12
	v_lshl_add_u64 v[32:33], v[10:11], 3, s[10:11]
	v_add_nc_u32_e32 v10, 6, v36
	global_load_b128 v[32:35], v[32:33], off
	v_lshl_add_u64 v[62:63], v[10:11], 3, s[10:11]
	v_add_nc_u32_e32 v10, 8, v36
	s_wait_xcnt 0x1
	s_delay_alu instid0(VALU_DEP_1) | instskip(SKIP_4) | instid1(VALU_DEP_3)
	v_lshl_add_u64 v[36:37], v[10:11], 3, s[10:11]
	s_wait_loadcnt 0xd
	v_pk_fma_f32 v[8:9], v[16:17], v[20:21], v[8:9] op_sel_hi:[1,0,1]
	v_pk_fma_f32 v[0:1], v[38:39], v[20:21], v[0:1] op_sel_hi:[1,0,1]
	v_mov_b32_e32 v10, v23
	v_pk_fma_f32 v[8:9], v[16:17], v[20:21], v[8:9] op_sel:[1,1,0] op_sel_hi:[0,1,1] neg_lo:[1,0,0]
	s_delay_alu instid0(VALU_DEP_3) | instskip(NEXT) | instid1(VALU_DEP_2)
	v_pk_fma_f32 v[0:1], v[38:39], v[20:21], v[0:1] op_sel:[1,1,0] op_sel_hi:[0,1,1] neg_lo:[1,0,0]
	v_pk_fma_f32 v[8:9], v[18:19], v[22:23], v[8:9] op_sel_hi:[1,0,1]
	s_clause 0x1
	global_load_b64 v[64:65], v69, s[8:9] scale_offset
	global_load_b64 v[66:67], v68, s[8:9] scale_offset
	global_load_b128 v[16:19], v[62:63], off
	global_load_b64 v[38:39], v70, s[8:9] scale_offset
	s_wait_loadcnt 0x10
	v_pk_fma_f32 v[0:1], v[40:41], v[22:23], v[0:1] op_sel_hi:[1,0,1]
	global_load_b128 v[20:23], v[36:37], off
	v_pk_fma_f32 v[8:9], v[60:61], v[10:11], v[8:9] op_sel_hi:[1,0,1]
	global_load_b64 v[36:37], v12, s[8:9] scale_offset
	v_pk_fma_f32 v[0:1], v[40:41], v[10:11], v[0:1] op_sel:[1,0,0] op_sel_hi:[0,0,1] neg_lo:[1,0,0]
	s_wait_loadcnt 0xf
	v_mov_b32_e32 v10, v31
	global_load_b64 v[40:41], v13, s[8:9] scale_offset
	v_pk_fma_f32 v[8:9], v[24:25], v[28:29], v[8:9] op_sel_hi:[1,0,1]
	s_wait_xcnt 0x1
	v_add_nc_u32_e32 v12, 0xa0, v12
	v_pk_fma_f32 v[0:1], v[42:43], v[28:29], v[0:1] op_sel_hi:[1,0,1]
	s_delay_alu instid0(VALU_DEP_3) | instskip(SKIP_1) | instid1(VALU_DEP_3)
	v_pk_fma_f32 v[8:9], v[24:25], v[28:29], v[8:9] op_sel:[1,1,0] op_sel_hi:[0,1,1] neg_lo:[1,0,0]
	v_xor_b32_e32 v24, 0x80000000, v27
	v_pk_fma_f32 v[0:1], v[42:43], v[28:29], v[0:1] op_sel:[1,1,0] op_sel_hi:[0,1,1] neg_lo:[1,0,0]
	v_mov_b32_e32 v25, v26
	s_delay_alu instid0(VALU_DEP_4) | instskip(SKIP_1) | instid1(VALU_DEP_3)
	v_pk_fma_f32 v[8:9], v[26:27], v[30:31], v[8:9] op_sel_hi:[1,0,1]
	s_wait_loadcnt 0xe
	v_pk_fma_f32 v[0:1], v[46:47], v[30:31], v[0:1] op_sel_hi:[1,0,1]
	s_delay_alu instid0(VALU_DEP_2) | instskip(NEXT) | instid1(VALU_DEP_2)
	v_pk_fma_f32 v[8:9], v[24:25], v[10:11], v[8:9] op_sel_hi:[1,0,1]
	v_pk_fma_f32 v[0:1], v[46:47], v[10:11], v[0:1] op_sel:[1,0,0] op_sel_hi:[0,0,1] neg_lo:[1,0,0]
	s_wait_loadcnt 0x7
	v_mov_b32_e32 v10, v35
	s_delay_alu instid0(VALU_DEP_3) | instskip(NEXT) | instid1(VALU_DEP_3)
	v_pk_fma_f32 v[8:9], v[44:45], v[32:33], v[8:9] op_sel_hi:[1,0,1]
	v_pk_fma_f32 v[0:1], v[52:53], v[32:33], v[0:1] op_sel_hi:[1,0,1]
	s_delay_alu instid0(VALU_DEP_2) | instskip(NEXT) | instid1(VALU_DEP_2)
	v_pk_fma_f32 v[8:9], v[44:45], v[32:33], v[8:9] op_sel:[1,1,0] op_sel_hi:[0,1,1] neg_lo:[1,0,0]
	v_pk_fma_f32 v[0:1], v[52:53], v[32:33], v[0:1] op_sel:[1,1,0] op_sel_hi:[0,1,1] neg_lo:[1,0,0]
	s_delay_alu instid0(VALU_DEP_2) | instskip(NEXT) | instid1(VALU_DEP_2)
	v_pk_fma_f32 v[8:9], v[54:55], v[34:35], v[8:9] op_sel_hi:[1,0,1]
	v_pk_fma_f32 v[0:1], v[58:59], v[34:35], v[0:1] op_sel_hi:[1,0,1]
	s_delay_alu instid0(VALU_DEP_2) | instskip(NEXT) | instid1(VALU_DEP_2)
	v_pk_fma_f32 v[8:9], v[54:55], v[10:11], v[8:9] op_sel:[1,0,0] op_sel_hi:[0,0,1] neg_lo:[1,0,0]
	v_pk_fma_f32 v[0:1], v[58:59], v[10:11], v[0:1] op_sel:[1,0,0] op_sel_hi:[0,0,1] neg_lo:[1,0,0]
	s_wait_loadcnt 0x4
	s_delay_alu instid0(VALU_DEP_2) | instskip(NEXT) | instid1(VALU_DEP_2)
	v_pk_fma_f32 v[8:9], v[56:57], v[16:17], v[8:9] op_sel_hi:[1,0,1]
	v_pk_fma_f32 v[0:1], v[66:67], v[16:17], v[0:1] op_sel_hi:[1,0,1]
	v_mov_b32_e32 v10, v19
	s_delay_alu instid0(VALU_DEP_3) | instskip(NEXT) | instid1(VALU_DEP_3)
	v_pk_fma_f32 v[8:9], v[56:57], v[16:17], v[8:9] op_sel:[1,1,0] op_sel_hi:[0,1,1] neg_lo:[1,0,0]
	v_pk_fma_f32 v[0:1], v[66:67], v[16:17], v[0:1] op_sel:[1,1,0] op_sel_hi:[0,1,1] neg_lo:[1,0,0]
	s_delay_alu instid0(VALU_DEP_2) | instskip(NEXT) | instid1(VALU_DEP_2)
	v_pk_fma_f32 v[8:9], v[48:49], v[18:19], v[8:9] op_sel_hi:[1,0,1]
	v_pk_fma_f32 v[0:1], v[64:65], v[18:19], v[0:1] op_sel_hi:[1,0,1]
	s_delay_alu instid0(VALU_DEP_2) | instskip(NEXT) | instid1(VALU_DEP_2)
	v_pk_fma_f32 v[8:9], v[48:49], v[10:11], v[8:9] op_sel:[1,0,0] op_sel_hi:[0,0,1] neg_lo:[1,0,0]
	v_pk_fma_f32 v[0:1], v[64:65], v[10:11], v[0:1] op_sel:[1,0,0] op_sel_hi:[0,0,1] neg_lo:[1,0,0]
	s_wait_loadcnt 0x2
	v_mov_b32_e32 v10, v23
	s_delay_alu instid0(VALU_DEP_3) | instskip(NEXT) | instid1(VALU_DEP_3)
	v_pk_fma_f32 v[8:9], v[50:51], v[20:21], v[8:9] op_sel_hi:[1,0,1]
	v_pk_fma_f32 v[0:1], v[38:39], v[20:21], v[0:1] op_sel_hi:[1,0,1]
	s_delay_alu instid0(VALU_DEP_2) | instskip(NEXT) | instid1(VALU_DEP_2)
	v_pk_fma_f32 v[8:9], v[50:51], v[20:21], v[8:9] op_sel:[1,1,0] op_sel_hi:[0,1,1] neg_lo:[1,0,0]
	v_pk_fma_f32 v[0:1], v[38:39], v[20:21], v[0:1] op_sel:[1,1,0] op_sel_hi:[0,1,1] neg_lo:[1,0,0]
	s_wait_loadcnt 0x0
	s_delay_alu instid0(VALU_DEP_2) | instskip(NEXT) | instid1(VALU_DEP_2)
	v_pk_fma_f32 v[8:9], v[40:41], v[22:23], v[8:9] op_sel_hi:[1,0,1]
	v_pk_fma_f32 v[0:1], v[36:37], v[22:23], v[0:1] op_sel_hi:[1,0,1]
	s_delay_alu instid0(VALU_DEP_2) | instskip(NEXT) | instid1(VALU_DEP_2)
	v_pk_fma_f32 v[8:9], v[40:41], v[10:11], v[8:9] op_sel:[1,0,0] op_sel_hi:[0,0,1] neg_lo:[1,0,0]
	v_pk_fma_f32 v[0:1], v[36:37], v[10:11], v[0:1] op_sel:[1,0,0] op_sel_hi:[0,0,1] neg_lo:[1,0,0]
	s_and_not1_b32 exec_lo, exec_lo, s2
	s_cbranch_execnz .LBB193_11
; %bb.12:
	s_or_b32 exec_lo, exec_lo, s2
.LBB193_13:
	s_delay_alu instid0(SALU_CYCLE_1)
	s_or_b32 exec_lo, exec_lo, s3
.LBB193_14:
	v_mbcnt_lo_u32_b32 v10, -1, 0
	s_delay_alu instid0(VALU_DEP_1) | instskip(SKIP_1) | instid1(VALU_DEP_1)
	v_xor_b32_e32 v15, 2, v10
	v_xor_b32_e32 v11, 4, v10
	v_cmp_gt_i32_e32 vcc_lo, 32, v11
	v_cndmask_b32_e32 v11, v10, v11, vcc_lo
	s_delay_alu instid0(VALU_DEP_1)
	v_lshlrev_b32_e32 v11, 2, v11
	ds_bpermute_b32 v13, v11, v9
	s_wait_dscnt 0x0
	v_add_f32_e32 v9, v9, v13
	ds_bpermute_b32 v12, v11, v8
	ds_bpermute_b32 v14, v11, v0
	;; [unrolled: 1-line block ×3, first 2 shown]
	s_wait_dscnt 0x2
	v_add_f32_e32 v8, v8, v12
	s_wait_dscnt 0x0
	v_dual_add_f32 v12, v0, v14 :: v_dual_add_f32 v11, v1, v11
	v_cmp_gt_i32_e32 vcc_lo, 32, v15
	v_cndmask_b32_e32 v15, v10, v15, vcc_lo
	s_delay_alu instid0(VALU_DEP_1)
	v_lshlrev_b32_e32 v15, 2, v15
	ds_bpermute_b32 v0, v15, v8
	ds_bpermute_b32 v1, v15, v9
	;; [unrolled: 1-line block ×4, first 2 shown]
	s_wait_dscnt 0x3
	v_dual_add_f32 v0, v8, v0 :: v_dual_bitop2_b32 v15, 1, v10 bitop3:0x14
	s_delay_alu instid0(VALU_DEP_1) | instskip(SKIP_4) | instid1(VALU_DEP_2)
	v_cmp_gt_i32_e32 vcc_lo, 32, v15
	s_wait_dscnt 0x0
	v_dual_add_f32 v8, v9, v1 :: v_dual_add_f32 v9, v11, v14
	v_dual_add_f32 v1, v12, v13 :: v_dual_cndmask_b32 v10, v10, v15
	v_cmp_eq_u32_e32 vcc_lo, 7, v7
	v_lshlrev_b32_e32 v15, 2, v10
	ds_bpermute_b32 v12, v15, v0
	ds_bpermute_b32 v13, v15, v8
	;; [unrolled: 1-line block ×4, first 2 shown]
	s_and_b32 exec_lo, exec_lo, vcc_lo
	s_cbranch_execz .LBB193_19
; %bb.15:
	s_load_b64 s[2:3], s[0:1], 0x38
	v_cmp_eq_f32_e32 vcc_lo, 0, v4
	s_wait_xcnt 0x0
	v_cmp_eq_f32_e64 s0, 0, v5
	s_wait_dscnt 0x3
	v_add_f32_e32 v0, v0, v12
	s_wait_dscnt 0x1
	v_dual_add_f32 v12, v8, v13 :: v_dual_add_f32 v8, v1, v10
	s_wait_dscnt 0x0
	v_add_f32_e32 v10, v9, v11
	s_and_b32 s0, vcc_lo, s0
	s_delay_alu instid0(SALU_CYCLE_1) | instskip(NEXT) | instid1(SALU_CYCLE_1)
	s_and_saveexec_b32 s1, s0
	s_xor_b32 s0, exec_lo, s1
	s_cbranch_execz .LBB193_17
; %bb.16:
	v_xor_b32_e32 v4, 0x80000000, v3
	v_dual_mov_b32 v5, v2 :: v_dual_lshlrev_b32 v6, 1, v6
	s_delay_alu instid0(VALU_DEP_1) | instskip(NEXT) | instid1(VALU_DEP_2)
	v_ashrrev_i32_e32 v7, 31, v6
	v_pk_mul_f32 v[12:13], v[12:13], v[4:5] op_sel_hi:[0,1]
	v_pk_mul_f32 v[4:5], v[10:11], v[4:5] op_sel_hi:[0,1]
                                        ; implicit-def: $vgpr10
	s_wait_kmcnt 0x0
	s_delay_alu instid0(VALU_DEP_3) | instskip(NEXT) | instid1(VALU_DEP_3)
	v_lshl_add_u64 v[6:7], v[6:7], 3, s[2:3]
	v_pk_fma_f32 v[0:1], v[2:3], v[0:1], v[12:13] op_sel_hi:[1,0,1]
	s_delay_alu instid0(VALU_DEP_3)
	v_pk_fma_f32 v[2:3], v[2:3], v[8:9], v[4:5] op_sel_hi:[1,0,1]
                                        ; implicit-def: $vgpr4_vgpr5
                                        ; implicit-def: $vgpr12
                                        ; implicit-def: $vgpr8
	global_store_b128 v[6:7], v[0:3], off
                                        ; implicit-def: $vgpr6
                                        ; implicit-def: $vgpr2_vgpr3
                                        ; implicit-def: $vgpr0
.LBB193_17:
	s_wait_xcnt 0x0
	s_and_not1_saveexec_b32 s0, s0
	s_cbranch_execz .LBB193_19
; %bb.18:
	v_dual_mov_b32 v19, v2 :: v_dual_lshlrev_b32 v6, 1, v6
	v_xor_b32_e32 v18, 0x80000000, v3
	s_delay_alu instid0(VALU_DEP_2) | instskip(NEXT) | instid1(VALU_DEP_2)
	v_ashrrev_i32_e32 v7, 31, v6
	v_pk_mul_f32 v[12:13], v[12:13], v[18:19] op_sel_hi:[0,1]
	v_pk_mul_f32 v[10:11], v[10:11], v[18:19] op_sel_hi:[0,1]
	s_delay_alu instid0(VALU_DEP_2) | instskip(NEXT) | instid1(VALU_DEP_2)
	v_pk_fma_f32 v[0:1], v[2:3], v[0:1], v[12:13] op_sel_hi:[1,0,1]
	v_pk_fma_f32 v[2:3], v[2:3], v[8:9], v[10:11] op_sel_hi:[1,0,1]
	v_mov_b32_e32 v9, v4
	s_wait_kmcnt 0x0
	v_lshl_add_u64 v[6:7], v[6:7], 3, s[2:3]
	v_xor_b32_e32 v8, 0x80000000, v5
	global_load_b128 v[14:17], v[6:7], off
	s_wait_loadcnt 0x0
	v_pk_fma_f32 v[0:1], v[4:5], v[14:15], v[0:1] op_sel_hi:[1,0,1]
	v_pk_fma_f32 v[2:3], v[4:5], v[16:17], v[2:3] op_sel_hi:[1,0,1]
	v_mov_b32_e32 v4, v17
	s_delay_alu instid0(VALU_DEP_3) | instskip(NEXT) | instid1(VALU_DEP_2)
	v_pk_fma_f32 v[0:1], v[8:9], v[14:15], v[0:1] op_sel:[0,1,0]
	v_pk_fma_f32 v[2:3], v[8:9], v[4:5], v[2:3] op_sel_hi:[1,0,1]
	global_store_b128 v[6:7], v[0:3], off
.LBB193_19:
	s_sendmsg sendmsg(MSG_DEALLOC_VGPRS)
	s_endpgm
	.section	.rodata,"a",@progbits
	.p2align	6, 0x0
	.amdhsa_kernel _ZN9rocsparseL19gebsrmvn_2xn_kernelILj128ELj10ELj8E21rocsparse_complex_numIfEEEvi20rocsparse_direction_NS_24const_host_device_scalarIT2_EEPKiS8_PKS5_SA_S6_PS5_21rocsparse_index_base_b
		.amdhsa_group_segment_fixed_size 0
		.amdhsa_private_segment_fixed_size 0
		.amdhsa_kernarg_size 72
		.amdhsa_user_sgpr_count 2
		.amdhsa_user_sgpr_dispatch_ptr 0
		.amdhsa_user_sgpr_queue_ptr 0
		.amdhsa_user_sgpr_kernarg_segment_ptr 1
		.amdhsa_user_sgpr_dispatch_id 0
		.amdhsa_user_sgpr_kernarg_preload_length 0
		.amdhsa_user_sgpr_kernarg_preload_offset 0
		.amdhsa_user_sgpr_private_segment_size 0
		.amdhsa_wavefront_size32 1
		.amdhsa_uses_dynamic_stack 0
		.amdhsa_enable_private_segment 0
		.amdhsa_system_sgpr_workgroup_id_x 1
		.amdhsa_system_sgpr_workgroup_id_y 0
		.amdhsa_system_sgpr_workgroup_id_z 0
		.amdhsa_system_sgpr_workgroup_info 0
		.amdhsa_system_vgpr_workitem_id 0
		.amdhsa_next_free_vgpr 80
		.amdhsa_next_free_sgpr 14
		.amdhsa_named_barrier_count 0
		.amdhsa_reserve_vcc 1
		.amdhsa_float_round_mode_32 0
		.amdhsa_float_round_mode_16_64 0
		.amdhsa_float_denorm_mode_32 3
		.amdhsa_float_denorm_mode_16_64 3
		.amdhsa_fp16_overflow 0
		.amdhsa_memory_ordered 1
		.amdhsa_forward_progress 1
		.amdhsa_inst_pref_size 24
		.amdhsa_round_robin_scheduling 0
		.amdhsa_exception_fp_ieee_invalid_op 0
		.amdhsa_exception_fp_denorm_src 0
		.amdhsa_exception_fp_ieee_div_zero 0
		.amdhsa_exception_fp_ieee_overflow 0
		.amdhsa_exception_fp_ieee_underflow 0
		.amdhsa_exception_fp_ieee_inexact 0
		.amdhsa_exception_int_div_zero 0
	.end_amdhsa_kernel
	.section	.text._ZN9rocsparseL19gebsrmvn_2xn_kernelILj128ELj10ELj8E21rocsparse_complex_numIfEEEvi20rocsparse_direction_NS_24const_host_device_scalarIT2_EEPKiS8_PKS5_SA_S6_PS5_21rocsparse_index_base_b,"axG",@progbits,_ZN9rocsparseL19gebsrmvn_2xn_kernelILj128ELj10ELj8E21rocsparse_complex_numIfEEEvi20rocsparse_direction_NS_24const_host_device_scalarIT2_EEPKiS8_PKS5_SA_S6_PS5_21rocsparse_index_base_b,comdat
.Lfunc_end193:
	.size	_ZN9rocsparseL19gebsrmvn_2xn_kernelILj128ELj10ELj8E21rocsparse_complex_numIfEEEvi20rocsparse_direction_NS_24const_host_device_scalarIT2_EEPKiS8_PKS5_SA_S6_PS5_21rocsparse_index_base_b, .Lfunc_end193-_ZN9rocsparseL19gebsrmvn_2xn_kernelILj128ELj10ELj8E21rocsparse_complex_numIfEEEvi20rocsparse_direction_NS_24const_host_device_scalarIT2_EEPKiS8_PKS5_SA_S6_PS5_21rocsparse_index_base_b
                                        ; -- End function
	.set _ZN9rocsparseL19gebsrmvn_2xn_kernelILj128ELj10ELj8E21rocsparse_complex_numIfEEEvi20rocsparse_direction_NS_24const_host_device_scalarIT2_EEPKiS8_PKS5_SA_S6_PS5_21rocsparse_index_base_b.num_vgpr, 80
	.set _ZN9rocsparseL19gebsrmvn_2xn_kernelILj128ELj10ELj8E21rocsparse_complex_numIfEEEvi20rocsparse_direction_NS_24const_host_device_scalarIT2_EEPKiS8_PKS5_SA_S6_PS5_21rocsparse_index_base_b.num_agpr, 0
	.set _ZN9rocsparseL19gebsrmvn_2xn_kernelILj128ELj10ELj8E21rocsparse_complex_numIfEEEvi20rocsparse_direction_NS_24const_host_device_scalarIT2_EEPKiS8_PKS5_SA_S6_PS5_21rocsparse_index_base_b.numbered_sgpr, 14
	.set _ZN9rocsparseL19gebsrmvn_2xn_kernelILj128ELj10ELj8E21rocsparse_complex_numIfEEEvi20rocsparse_direction_NS_24const_host_device_scalarIT2_EEPKiS8_PKS5_SA_S6_PS5_21rocsparse_index_base_b.num_named_barrier, 0
	.set _ZN9rocsparseL19gebsrmvn_2xn_kernelILj128ELj10ELj8E21rocsparse_complex_numIfEEEvi20rocsparse_direction_NS_24const_host_device_scalarIT2_EEPKiS8_PKS5_SA_S6_PS5_21rocsparse_index_base_b.private_seg_size, 0
	.set _ZN9rocsparseL19gebsrmvn_2xn_kernelILj128ELj10ELj8E21rocsparse_complex_numIfEEEvi20rocsparse_direction_NS_24const_host_device_scalarIT2_EEPKiS8_PKS5_SA_S6_PS5_21rocsparse_index_base_b.uses_vcc, 1
	.set _ZN9rocsparseL19gebsrmvn_2xn_kernelILj128ELj10ELj8E21rocsparse_complex_numIfEEEvi20rocsparse_direction_NS_24const_host_device_scalarIT2_EEPKiS8_PKS5_SA_S6_PS5_21rocsparse_index_base_b.uses_flat_scratch, 1
	.set _ZN9rocsparseL19gebsrmvn_2xn_kernelILj128ELj10ELj8E21rocsparse_complex_numIfEEEvi20rocsparse_direction_NS_24const_host_device_scalarIT2_EEPKiS8_PKS5_SA_S6_PS5_21rocsparse_index_base_b.has_dyn_sized_stack, 0
	.set _ZN9rocsparseL19gebsrmvn_2xn_kernelILj128ELj10ELj8E21rocsparse_complex_numIfEEEvi20rocsparse_direction_NS_24const_host_device_scalarIT2_EEPKiS8_PKS5_SA_S6_PS5_21rocsparse_index_base_b.has_recursion, 0
	.set _ZN9rocsparseL19gebsrmvn_2xn_kernelILj128ELj10ELj8E21rocsparse_complex_numIfEEEvi20rocsparse_direction_NS_24const_host_device_scalarIT2_EEPKiS8_PKS5_SA_S6_PS5_21rocsparse_index_base_b.has_indirect_call, 0
	.section	.AMDGPU.csdata,"",@progbits
; Kernel info:
; codeLenInByte = 3060
; TotalNumSgprs: 16
; NumVgprs: 80
; ScratchSize: 0
; MemoryBound: 0
; FloatMode: 240
; IeeeMode: 1
; LDSByteSize: 0 bytes/workgroup (compile time only)
; SGPRBlocks: 0
; VGPRBlocks: 4
; NumSGPRsForWavesPerEU: 16
; NumVGPRsForWavesPerEU: 80
; NamedBarCnt: 0
; Occupancy: 12
; WaveLimiterHint : 1
; COMPUTE_PGM_RSRC2:SCRATCH_EN: 0
; COMPUTE_PGM_RSRC2:USER_SGPR: 2
; COMPUTE_PGM_RSRC2:TRAP_HANDLER: 0
; COMPUTE_PGM_RSRC2:TGID_X_EN: 1
; COMPUTE_PGM_RSRC2:TGID_Y_EN: 0
; COMPUTE_PGM_RSRC2:TGID_Z_EN: 0
; COMPUTE_PGM_RSRC2:TIDIG_COMP_CNT: 0
	.section	.text._ZN9rocsparseL19gebsrmvn_2xn_kernelILj128ELj10ELj16E21rocsparse_complex_numIfEEEvi20rocsparse_direction_NS_24const_host_device_scalarIT2_EEPKiS8_PKS5_SA_S6_PS5_21rocsparse_index_base_b,"axG",@progbits,_ZN9rocsparseL19gebsrmvn_2xn_kernelILj128ELj10ELj16E21rocsparse_complex_numIfEEEvi20rocsparse_direction_NS_24const_host_device_scalarIT2_EEPKiS8_PKS5_SA_S6_PS5_21rocsparse_index_base_b,comdat
	.globl	_ZN9rocsparseL19gebsrmvn_2xn_kernelILj128ELj10ELj16E21rocsparse_complex_numIfEEEvi20rocsparse_direction_NS_24const_host_device_scalarIT2_EEPKiS8_PKS5_SA_S6_PS5_21rocsparse_index_base_b ; -- Begin function _ZN9rocsparseL19gebsrmvn_2xn_kernelILj128ELj10ELj16E21rocsparse_complex_numIfEEEvi20rocsparse_direction_NS_24const_host_device_scalarIT2_EEPKiS8_PKS5_SA_S6_PS5_21rocsparse_index_base_b
	.p2align	8
	.type	_ZN9rocsparseL19gebsrmvn_2xn_kernelILj128ELj10ELj16E21rocsparse_complex_numIfEEEvi20rocsparse_direction_NS_24const_host_device_scalarIT2_EEPKiS8_PKS5_SA_S6_PS5_21rocsparse_index_base_b,@function
_ZN9rocsparseL19gebsrmvn_2xn_kernelILj128ELj10ELj16E21rocsparse_complex_numIfEEEvi20rocsparse_direction_NS_24const_host_device_scalarIT2_EEPKiS8_PKS5_SA_S6_PS5_21rocsparse_index_base_b: ; @_ZN9rocsparseL19gebsrmvn_2xn_kernelILj128ELj10ELj16E21rocsparse_complex_numIfEEEvi20rocsparse_direction_NS_24const_host_device_scalarIT2_EEPKiS8_PKS5_SA_S6_PS5_21rocsparse_index_base_b
; %bb.0:
	s_clause 0x2
	s_load_b64 s[12:13], s[0:1], 0x40
	s_load_b64 s[2:3], s[0:1], 0x8
	;; [unrolled: 1-line block ×3, first 2 shown]
	v_mov_b32_e32 v1, 0
	s_add_nc_u64 s[6:7], s[0:1], 8
	s_add_nc_u64 s[8:9], s[0:1], 48
	s_wait_kmcnt 0x0
	s_bitcmp1_b32 s13, 0
	s_cselect_b32 s3, s7, s3
	s_cselect_b32 s2, s6, s2
	;; [unrolled: 1-line block ×4, first 2 shown]
	s_clause 0x1
	flat_load_b64 v[2:3], v1, s[2:3]
	flat_load_b64 v[4:5], v1, s[4:5]
	s_wait_loadcnt_dscnt 0x101
	v_cmp_eq_f32_e32 vcc_lo, 0, v2
	v_cmp_eq_f32_e64 s2, 0, v3
	s_wait_loadcnt_dscnt 0x0
	v_cmp_eq_f32_e64 s3, 1.0, v4
	v_cmp_eq_f32_e64 s4, 0, v5
	s_and_b32 s2, vcc_lo, s2
	s_and_b32 s3, s3, s4
	s_delay_alu instid0(SALU_CYCLE_1) | instskip(NEXT) | instid1(SALU_CYCLE_1)
	s_and_b32 s2, s2, s3
	s_xor_b32 s2, s2, -1
	s_delay_alu instid0(SALU_CYCLE_1)
	s_and_saveexec_b32 s3, s2
	s_cbranch_execz .LBB194_19
; %bb.1:
	s_load_b64 s[2:3], s[0:1], 0x0
	s_bfe_u32 s4, ttmp6, 0x4000c
	s_and_b32 s5, ttmp6, 15
	s_add_co_i32 s4, s4, 1
	s_getreg_b32 s6, hwreg(HW_REG_IB_STS2, 6, 4)
	s_mul_i32 s4, ttmp9, s4
	v_lshrrev_b32_e32 v1, 4, v0
	s_add_co_i32 s5, s5, s4
	s_cmp_eq_u32 s6, 0
	s_cselect_b32 s4, ttmp9, s5
	s_delay_alu instid0(VALU_DEP_1) | instid1(SALU_CYCLE_1)
	v_lshl_or_b32 v6, s4, 3, v1
	s_wait_kmcnt 0x0
	s_delay_alu instid0(VALU_DEP_1)
	v_cmp_gt_i32_e32 vcc_lo, s2, v6
	s_and_b32 exec_lo, exec_lo, vcc_lo
	s_cbranch_execz .LBB194_19
; %bb.2:
	s_load_b256 s[4:11], s[0:1], 0x10
	v_ashrrev_i32_e32 v7, 31, v6
	s_cmp_lg_u32 s3, 0
	s_wait_kmcnt 0x0
	s_delay_alu instid0(VALU_DEP_1)
	v_lshl_add_u64 v[8:9], v[6:7], 2, s[4:5]
	v_and_b32_e32 v7, 15, v0
	global_load_b64 v[8:9], v[8:9], off
	s_wait_loadcnt 0x0
	v_subrev_nc_u32_e32 v0, s12, v8
	v_subrev_nc_u32_e32 v14, s12, v9
	s_delay_alu instid0(VALU_DEP_2) | instskip(NEXT) | instid1(VALU_DEP_1)
	v_add_nc_u32_e32 v15, v0, v7
	v_cmp_lt_i32_e64 s2, v15, v14
	s_cbranch_scc0 .LBB194_8
; %bb.3:
	v_mov_b32_e32 v9, 0
	s_delay_alu instid0(VALU_DEP_1)
	v_dual_mov_b32 v8, v9 :: v_dual_mov_b32 v1, v9
	v_mov_b32_e32 v0, v9
	s_and_saveexec_b32 s3, s2
	s_cbranch_execz .LBB194_7
; %bb.4:
	v_mad_u32 v12, v15, 20, 18
	v_dual_mov_b32 v11, 0 :: v_dual_mov_b32 v16, v15
	s_mov_b32 s4, 0
	s_delay_alu instid0(VALU_DEP_1)
	v_dual_mov_b32 v0, v11 :: v_dual_mov_b32 v1, v11
	v_dual_mov_b32 v8, v11 :: v_dual_mov_b32 v9, v11
.LBB194_5:                              ; =>This Inner Loop Header: Depth=1
	global_load_b32 v10, v16, s[6:7] scale_offset
	v_dual_mov_b32 v67, v11 :: v_dual_mov_b32 v13, v11
	s_wait_xcnt 0x0
	v_add_nc_u32_e32 v16, 16, v16
	s_delay_alu instid0(VALU_DEP_1) | instskip(SKIP_3) | instid1(VALU_DEP_1)
	v_cmp_ge_i32_e32 vcc_lo, v16, v14
	s_or_b32 s4, vcc_lo, s4
	s_wait_loadcnt 0x0
	v_subrev_nc_u32_e32 v10, s12, v10
	v_mul_lo_u32 v66, v10, 10
	v_subrev_nc_u32_e32 v10, 18, v12
	s_delay_alu instid0(VALU_DEP_1) | instskip(SKIP_1) | instid1(VALU_DEP_4)
	v_lshl_add_u64 v[26:27], v[10:11], 3, s[8:9]
	v_add_nc_u32_e32 v10, -14, v12
	v_lshl_add_u64 v[28:29], v[66:67], 3, s[10:11]
	global_load_b128 v[18:21], v[26:27], off
	global_load_b128 v[22:25], v[28:29], off
	global_load_b128 v[26:29], v[26:27], off offset:16
	v_lshl_add_u64 v[30:31], v[10:11], 3, s[8:9]
	v_add_nc_u32_e32 v10, 2, v66
	global_load_b128 v[30:33], v[30:31], off
	v_lshl_add_u64 v[34:35], v[10:11], 3, s[10:11]
	v_add_nc_u32_e32 v10, -12, v12
	global_load_b128 v[34:37], v[34:35], off
	s_wait_loadcnt 0x4
	v_mov_b32_e32 v79, v20
	v_lshl_add_u64 v[38:39], v[10:11], 3, s[8:9]
	v_add_nc_u32_e32 v10, -10, v12
	s_wait_loadcnt 0x3
	v_pk_fma_f32 v[8:9], v[18:19], v[22:23], v[8:9] op_sel_hi:[1,0,1]
	v_xor_b32_e32 v78, 0x80000000, v21
	v_pk_fma_f32 v[0:1], v[20:21], v[22:23], v[0:1] op_sel_hi:[1,0,1]
	global_load_b128 v[38:41], v[38:39], off
	v_pk_fma_f32 v[8:9], v[18:19], v[22:23], v[8:9] op_sel:[1,1,0] op_sel_hi:[0,1,1] neg_lo:[1,0,0]
	s_wait_loadcnt 0x3
	v_mov_b32_e32 v19, v28
	v_lshl_add_u64 v[50:51], v[10:11], 3, s[8:9]
	v_add_nc_u32_e32 v10, 4, v66
	v_pk_fma_f32 v[0:1], v[78:79], v[22:23], v[0:1] op_sel:[0,1,0]
	v_xor_b32_e32 v18, 0x80000000, v29
	v_pk_fma_f32 v[8:9], v[26:27], v[24:25], v[8:9] op_sel_hi:[1,0,1]
	s_delay_alu instid0(VALU_DEP_4)
	v_lshl_add_u64 v[52:53], v[10:11], 3, s[10:11]
	v_add_nc_u32_e32 v10, -8, v12
	global_load_b128 v[42:45], v[50:51], off
	global_load_b128 v[46:49], v[52:53], off
	v_pk_fma_f32 v[0:1], v[28:29], v[24:25], v[0:1] op_sel_hi:[1,0,1]
	s_wait_xcnt 0x1
	v_lshl_add_u64 v[50:51], v[10:11], 3, s[8:9]
	v_add_nc_u32_e32 v10, -6, v12
	global_load_b128 v[50:53], v[50:51], off
	v_lshl_add_u64 v[62:63], v[10:11], 3, s[8:9]
	v_add_nc_u32_e32 v10, 6, v66
	s_delay_alu instid0(VALU_DEP_1) | instskip(SKIP_4) | instid1(VALU_DEP_1)
	v_lshl_add_u64 v[64:65], v[10:11], 3, s[10:11]
	global_load_b128 v[54:57], v[62:63], off
	global_load_b128 v[58:61], v[64:65], off
	v_add_nc_u32_e32 v10, -4, v12
	s_wait_xcnt 0x1
	v_lshl_add_u64 v[62:63], v[10:11], 3, s[8:9]
	global_load_b128 v[62:65], v[62:63], off
	v_add_nc_u32_e32 v10, -2, v12
	s_delay_alu instid0(VALU_DEP_1) | instskip(SKIP_1) | instid1(VALU_DEP_1)
	v_lshl_add_u64 v[74:75], v[10:11], 3, s[8:9]
	v_add_nc_u32_e32 v10, 8, v66
	v_lshl_add_u64 v[76:77], v[10:11], 3, s[10:11]
	global_load_b128 v[66:69], v[74:75], off
	global_load_b128 v[70:73], v[76:77], off
	s_wait_xcnt 0x1
	v_lshl_add_u64 v[74:75], v[12:13], 3, s[8:9]
	v_mov_b32_e32 v10, v25
	v_add_nc_u32_e32 v12, 0x140, v12
	global_load_b128 v[74:77], v[74:75], off
	v_pk_fma_f32 v[8:9], v[26:27], v[10:11], v[8:9] op_sel:[1,0,0] op_sel_hi:[0,0,1] neg_lo:[1,0,0]
	v_pk_fma_f32 v[0:1], v[18:19], v[10:11], v[0:1] op_sel_hi:[1,0,1]
	s_wait_loadcnt 0xb
	v_xor_b32_e32 v18, 0x80000000, v33
	s_wait_loadcnt 0xa
	v_dual_mov_b32 v19, v32 :: v_dual_mov_b32 v10, v37
	v_pk_fma_f32 v[8:9], v[30:31], v[34:35], v[8:9] op_sel_hi:[1,0,1]
	v_pk_fma_f32 v[0:1], v[32:33], v[34:35], v[0:1] op_sel_hi:[1,0,1]
	s_delay_alu instid0(VALU_DEP_2) | instskip(NEXT) | instid1(VALU_DEP_2)
	v_pk_fma_f32 v[8:9], v[30:31], v[34:35], v[8:9] op_sel:[1,1,0] op_sel_hi:[0,1,1] neg_lo:[1,0,0]
	v_pk_fma_f32 v[0:1], v[18:19], v[34:35], v[0:1] op_sel:[0,1,0]
	s_wait_loadcnt 0x9
	v_xor_b32_e32 v18, 0x80000000, v41
	v_mov_b32_e32 v19, v40
	v_pk_fma_f32 v[8:9], v[38:39], v[36:37], v[8:9] op_sel_hi:[1,0,1]
	v_pk_fma_f32 v[0:1], v[40:41], v[36:37], v[0:1] op_sel_hi:[1,0,1]
	s_delay_alu instid0(VALU_DEP_2) | instskip(NEXT) | instid1(VALU_DEP_2)
	v_pk_fma_f32 v[8:9], v[38:39], v[10:11], v[8:9] op_sel:[1,0,0] op_sel_hi:[0,0,1] neg_lo:[1,0,0]
	v_pk_fma_f32 v[0:1], v[18:19], v[10:11], v[0:1] op_sel_hi:[1,0,1]
	s_wait_loadcnt 0x8
	v_xor_b32_e32 v18, 0x80000000, v45
	v_mov_b32_e32 v19, v44
	s_wait_loadcnt 0x7
	v_pk_fma_f32 v[8:9], v[42:43], v[46:47], v[8:9] op_sel_hi:[1,0,1]
	v_pk_fma_f32 v[0:1], v[44:45], v[46:47], v[0:1] op_sel_hi:[1,0,1]
	v_mov_b32_e32 v10, v49
	s_delay_alu instid0(VALU_DEP_3) | instskip(NEXT) | instid1(VALU_DEP_3)
	v_pk_fma_f32 v[8:9], v[42:43], v[46:47], v[8:9] op_sel:[1,1,0] op_sel_hi:[0,1,1] neg_lo:[1,0,0]
	v_pk_fma_f32 v[0:1], v[18:19], v[46:47], v[0:1] op_sel:[0,1,0]
	s_wait_loadcnt 0x6
	v_xor_b32_e32 v18, 0x80000000, v53
	v_mov_b32_e32 v19, v52
	v_pk_fma_f32 v[8:9], v[50:51], v[48:49], v[8:9] op_sel_hi:[1,0,1]
	v_pk_fma_f32 v[0:1], v[52:53], v[48:49], v[0:1] op_sel_hi:[1,0,1]
	s_delay_alu instid0(VALU_DEP_2) | instskip(NEXT) | instid1(VALU_DEP_2)
	v_pk_fma_f32 v[8:9], v[50:51], v[10:11], v[8:9] op_sel:[1,0,0] op_sel_hi:[0,0,1] neg_lo:[1,0,0]
	v_pk_fma_f32 v[0:1], v[18:19], v[10:11], v[0:1] op_sel_hi:[1,0,1]
	s_wait_loadcnt 0x5
	v_xor_b32_e32 v18, 0x80000000, v57
	s_wait_loadcnt 0x4
	v_dual_mov_b32 v19, v56 :: v_dual_mov_b32 v10, v61
	v_pk_fma_f32 v[8:9], v[54:55], v[58:59], v[8:9] op_sel_hi:[1,0,1]
	v_pk_fma_f32 v[0:1], v[56:57], v[58:59], v[0:1] op_sel_hi:[1,0,1]
	s_delay_alu instid0(VALU_DEP_2) | instskip(NEXT) | instid1(VALU_DEP_2)
	v_pk_fma_f32 v[8:9], v[54:55], v[58:59], v[8:9] op_sel:[1,1,0] op_sel_hi:[0,1,1] neg_lo:[1,0,0]
	v_pk_fma_f32 v[0:1], v[18:19], v[58:59], v[0:1] op_sel:[0,1,0]
	s_wait_loadcnt 0x3
	v_xor_b32_e32 v18, 0x80000000, v65
	v_mov_b32_e32 v19, v64
	v_pk_fma_f32 v[8:9], v[62:63], v[60:61], v[8:9] op_sel_hi:[1,0,1]
	v_pk_fma_f32 v[0:1], v[64:65], v[60:61], v[0:1] op_sel_hi:[1,0,1]
	s_delay_alu instid0(VALU_DEP_2) | instskip(NEXT) | instid1(VALU_DEP_2)
	v_pk_fma_f32 v[8:9], v[62:63], v[10:11], v[8:9] op_sel:[1,0,0] op_sel_hi:[0,0,1] neg_lo:[1,0,0]
	v_pk_fma_f32 v[0:1], v[18:19], v[10:11], v[0:1] op_sel_hi:[1,0,1]
	s_wait_loadcnt 0x2
	v_xor_b32_e32 v18, 0x80000000, v69
	v_mov_b32_e32 v19, v68
	s_wait_loadcnt 0x1
	v_pk_fma_f32 v[8:9], v[66:67], v[70:71], v[8:9] op_sel_hi:[1,0,1]
	v_pk_fma_f32 v[0:1], v[68:69], v[70:71], v[0:1] op_sel_hi:[1,0,1]
	v_mov_b32_e32 v10, v73
	s_delay_alu instid0(VALU_DEP_3) | instskip(NEXT) | instid1(VALU_DEP_3)
	v_pk_fma_f32 v[8:9], v[66:67], v[70:71], v[8:9] op_sel:[1,1,0] op_sel_hi:[0,1,1] neg_lo:[1,0,0]
	v_pk_fma_f32 v[0:1], v[18:19], v[70:71], v[0:1] op_sel:[0,1,0]
	s_wait_loadcnt 0x0
	v_xor_b32_e32 v18, 0x80000000, v77
	v_mov_b32_e32 v19, v76
	v_pk_fma_f32 v[8:9], v[74:75], v[72:73], v[8:9] op_sel_hi:[1,0,1]
	v_pk_fma_f32 v[0:1], v[76:77], v[72:73], v[0:1] op_sel_hi:[1,0,1]
	s_delay_alu instid0(VALU_DEP_2) | instskip(NEXT) | instid1(VALU_DEP_2)
	v_pk_fma_f32 v[8:9], v[74:75], v[10:11], v[8:9] op_sel:[1,0,0] op_sel_hi:[0,0,1] neg_lo:[1,0,0]
	v_pk_fma_f32 v[0:1], v[18:19], v[10:11], v[0:1] op_sel_hi:[1,0,1]
	s_and_not1_b32 exec_lo, exec_lo, s4
	s_cbranch_execnz .LBB194_5
; %bb.6:
	s_or_b32 exec_lo, exec_lo, s4
.LBB194_7:
	s_delay_alu instid0(SALU_CYCLE_1)
	s_or_b32 exec_lo, exec_lo, s3
	s_cbranch_execz .LBB194_9
	s_branch .LBB194_14
.LBB194_8:
                                        ; implicit-def: $vgpr9
                                        ; implicit-def: $vgpr1
.LBB194_9:
	v_mov_b32_e32 v9, 0
	s_delay_alu instid0(VALU_DEP_1)
	v_dual_mov_b32 v8, v9 :: v_dual_mov_b32 v1, v9
	v_mov_b32_e32 v0, v9
	s_and_saveexec_b32 s3, s2
	s_cbranch_execz .LBB194_13
; %bb.10:
	v_mad_u32 v12, v15, 20, 19
	v_mov_b32_e32 v11, 0
	s_mov_b32 s2, 0
	s_delay_alu instid0(VALU_DEP_1)
	v_dual_mov_b32 v0, v11 :: v_dual_mov_b32 v1, v11
	v_dual_mov_b32 v8, v11 :: v_dual_mov_b32 v9, v11
.LBB194_11:                             ; =>This Inner Loop Header: Depth=1
	global_load_b32 v13, v15, s[6:7] scale_offset
	v_subrev_nc_u32_e32 v10, 19, v12
	v_dual_mov_b32 v37, v11 :: v_dual_add_nc_u32 v20, -9, v12
	v_dual_add_nc_u32 v26, -8, v12 :: v_dual_add_nc_u32 v44, -7, v12
	s_delay_alu instid0(VALU_DEP_3)
	v_lshl_add_u64 v[32:33], v[10:11], 3, s[8:9]
	v_dual_add_nc_u32 v52, -6, v12 :: v_dual_add_nc_u32 v53, -15, v12
	s_clause 0x1
	global_load_b64 v[38:39], v20, s[8:9] scale_offset
	global_load_b128 v[16:19], v[32:33], off
	v_dual_add_nc_u32 v68, -3, v12 :: v_dual_add_nc_u32 v69, -2, v12
	v_dual_add_nc_u32 v58, -5, v12 :: v_dual_add_nc_u32 v59, -13, v12
	s_wait_xcnt 0x2
	v_add_nc_u32_e32 v15, 16, v15
	s_delay_alu instid0(VALU_DEP_1) | instskip(SKIP_4) | instid1(VALU_DEP_2)
	v_cmp_ge_i32_e32 vcc_lo, v15, v14
	s_or_b32 s2, vcc_lo, s2
	s_wait_loadcnt 0x2
	v_subrev_nc_u32_e32 v10, s12, v13
	v_add_nc_u32_e32 v13, -14, v12
	v_mul_lo_u32 v36, v10, 10
	s_wait_loadcnt 0x0
	v_mov_b32_e32 v61, v18
	v_xor_b32_e32 v60, 0x80000000, v19
	s_delay_alu instid0(VALU_DEP_3) | instskip(SKIP_4) | instid1(VALU_DEP_2)
	v_lshl_add_u64 v[24:25], v[36:37], 3, s[10:11]
	global_load_b128 v[20:23], v[24:25], off
	global_load_b64 v[40:41], v26, s[8:9] scale_offset
	v_add_nc_u32_e32 v10, 2, v36
	v_dual_add_nc_u32 v37, -4, v12 :: v_dual_add_nc_u32 v70, -1, v12
	v_lshl_add_u64 v[34:35], v[10:11], 3, s[10:11]
	s_clause 0x1
	global_load_b64 v[42:43], v44, s[8:9] scale_offset
	global_load_b128 v[24:27], v[32:33], off offset:16
	global_load_b128 v[28:31], v[34:35], off
	s_wait_xcnt 0x1
	v_dual_add_nc_u32 v10, -12, v12 :: v_dual_add_nc_u32 v32, -11, v12
	s_clause 0x3
	global_load_b64 v[44:45], v53, s[8:9] scale_offset
	global_load_b64 v[46:47], v52, s[8:9] scale_offset
	global_load_b64 v[48:49], v10, s[8:9] scale_offset
	global_load_b64 v[50:51], v32, s[8:9] scale_offset
	s_wait_xcnt 0x1
	v_add_nc_u32_e32 v10, 4, v36
	s_clause 0x3
	global_load_b64 v[52:53], v58, s[8:9] scale_offset
	global_load_b64 v[54:55], v13, s[8:9] scale_offset
	;; [unrolled: 1-line block ×4, first 2 shown]
	v_add_nc_u32_e32 v13, -10, v12
	v_lshl_add_u64 v[32:33], v[10:11], 3, s[10:11]
	v_add_nc_u32_e32 v10, 6, v36
	global_load_b128 v[32:35], v[32:33], off
	v_lshl_add_u64 v[62:63], v[10:11], 3, s[10:11]
	v_add_nc_u32_e32 v10, 8, v36
	s_wait_xcnt 0x1
	s_delay_alu instid0(VALU_DEP_1) | instskip(SKIP_4) | instid1(VALU_DEP_3)
	v_lshl_add_u64 v[36:37], v[10:11], 3, s[10:11]
	s_wait_loadcnt 0xd
	v_pk_fma_f32 v[8:9], v[16:17], v[20:21], v[8:9] op_sel_hi:[1,0,1]
	v_pk_fma_f32 v[0:1], v[38:39], v[20:21], v[0:1] op_sel_hi:[1,0,1]
	v_mov_b32_e32 v10, v23
	v_pk_fma_f32 v[8:9], v[16:17], v[20:21], v[8:9] op_sel:[1,1,0] op_sel_hi:[0,1,1] neg_lo:[1,0,0]
	s_delay_alu instid0(VALU_DEP_3) | instskip(NEXT) | instid1(VALU_DEP_2)
	v_pk_fma_f32 v[0:1], v[38:39], v[20:21], v[0:1] op_sel:[1,1,0] op_sel_hi:[0,1,1] neg_lo:[1,0,0]
	v_pk_fma_f32 v[8:9], v[18:19], v[22:23], v[8:9] op_sel_hi:[1,0,1]
	s_clause 0x1
	global_load_b64 v[64:65], v69, s[8:9] scale_offset
	global_load_b64 v[66:67], v68, s[8:9] scale_offset
	global_load_b128 v[16:19], v[62:63], off
	global_load_b64 v[38:39], v70, s[8:9] scale_offset
	s_wait_loadcnt 0x10
	v_pk_fma_f32 v[0:1], v[40:41], v[22:23], v[0:1] op_sel_hi:[1,0,1]
	global_load_b128 v[20:23], v[36:37], off
	v_pk_fma_f32 v[8:9], v[60:61], v[10:11], v[8:9] op_sel_hi:[1,0,1]
	global_load_b64 v[36:37], v12, s[8:9] scale_offset
	v_pk_fma_f32 v[0:1], v[40:41], v[10:11], v[0:1] op_sel:[1,0,0] op_sel_hi:[0,0,1] neg_lo:[1,0,0]
	s_wait_loadcnt 0xf
	v_mov_b32_e32 v10, v31
	global_load_b64 v[40:41], v13, s[8:9] scale_offset
	v_pk_fma_f32 v[8:9], v[24:25], v[28:29], v[8:9] op_sel_hi:[1,0,1]
	s_wait_xcnt 0x1
	v_add_nc_u32_e32 v12, 0x140, v12
	v_pk_fma_f32 v[0:1], v[42:43], v[28:29], v[0:1] op_sel_hi:[1,0,1]
	s_delay_alu instid0(VALU_DEP_3) | instskip(SKIP_1) | instid1(VALU_DEP_3)
	v_pk_fma_f32 v[8:9], v[24:25], v[28:29], v[8:9] op_sel:[1,1,0] op_sel_hi:[0,1,1] neg_lo:[1,0,0]
	v_xor_b32_e32 v24, 0x80000000, v27
	v_pk_fma_f32 v[0:1], v[42:43], v[28:29], v[0:1] op_sel:[1,1,0] op_sel_hi:[0,1,1] neg_lo:[1,0,0]
	v_mov_b32_e32 v25, v26
	s_delay_alu instid0(VALU_DEP_4) | instskip(SKIP_1) | instid1(VALU_DEP_3)
	v_pk_fma_f32 v[8:9], v[26:27], v[30:31], v[8:9] op_sel_hi:[1,0,1]
	s_wait_loadcnt 0xe
	v_pk_fma_f32 v[0:1], v[46:47], v[30:31], v[0:1] op_sel_hi:[1,0,1]
	s_delay_alu instid0(VALU_DEP_2) | instskip(NEXT) | instid1(VALU_DEP_2)
	v_pk_fma_f32 v[8:9], v[24:25], v[10:11], v[8:9] op_sel_hi:[1,0,1]
	v_pk_fma_f32 v[0:1], v[46:47], v[10:11], v[0:1] op_sel:[1,0,0] op_sel_hi:[0,0,1] neg_lo:[1,0,0]
	s_wait_loadcnt 0x7
	v_mov_b32_e32 v10, v35
	s_delay_alu instid0(VALU_DEP_3) | instskip(NEXT) | instid1(VALU_DEP_3)
	v_pk_fma_f32 v[8:9], v[44:45], v[32:33], v[8:9] op_sel_hi:[1,0,1]
	v_pk_fma_f32 v[0:1], v[52:53], v[32:33], v[0:1] op_sel_hi:[1,0,1]
	s_delay_alu instid0(VALU_DEP_2) | instskip(NEXT) | instid1(VALU_DEP_2)
	v_pk_fma_f32 v[8:9], v[44:45], v[32:33], v[8:9] op_sel:[1,1,0] op_sel_hi:[0,1,1] neg_lo:[1,0,0]
	v_pk_fma_f32 v[0:1], v[52:53], v[32:33], v[0:1] op_sel:[1,1,0] op_sel_hi:[0,1,1] neg_lo:[1,0,0]
	s_delay_alu instid0(VALU_DEP_2) | instskip(NEXT) | instid1(VALU_DEP_2)
	v_pk_fma_f32 v[8:9], v[54:55], v[34:35], v[8:9] op_sel_hi:[1,0,1]
	v_pk_fma_f32 v[0:1], v[58:59], v[34:35], v[0:1] op_sel_hi:[1,0,1]
	s_delay_alu instid0(VALU_DEP_2) | instskip(NEXT) | instid1(VALU_DEP_2)
	v_pk_fma_f32 v[8:9], v[54:55], v[10:11], v[8:9] op_sel:[1,0,0] op_sel_hi:[0,0,1] neg_lo:[1,0,0]
	v_pk_fma_f32 v[0:1], v[58:59], v[10:11], v[0:1] op_sel:[1,0,0] op_sel_hi:[0,0,1] neg_lo:[1,0,0]
	s_wait_loadcnt 0x4
	s_delay_alu instid0(VALU_DEP_2) | instskip(NEXT) | instid1(VALU_DEP_2)
	v_pk_fma_f32 v[8:9], v[56:57], v[16:17], v[8:9] op_sel_hi:[1,0,1]
	v_pk_fma_f32 v[0:1], v[66:67], v[16:17], v[0:1] op_sel_hi:[1,0,1]
	v_mov_b32_e32 v10, v19
	s_delay_alu instid0(VALU_DEP_3) | instskip(NEXT) | instid1(VALU_DEP_3)
	v_pk_fma_f32 v[8:9], v[56:57], v[16:17], v[8:9] op_sel:[1,1,0] op_sel_hi:[0,1,1] neg_lo:[1,0,0]
	v_pk_fma_f32 v[0:1], v[66:67], v[16:17], v[0:1] op_sel:[1,1,0] op_sel_hi:[0,1,1] neg_lo:[1,0,0]
	s_delay_alu instid0(VALU_DEP_2) | instskip(NEXT) | instid1(VALU_DEP_2)
	v_pk_fma_f32 v[8:9], v[48:49], v[18:19], v[8:9] op_sel_hi:[1,0,1]
	v_pk_fma_f32 v[0:1], v[64:65], v[18:19], v[0:1] op_sel_hi:[1,0,1]
	s_delay_alu instid0(VALU_DEP_2) | instskip(NEXT) | instid1(VALU_DEP_2)
	v_pk_fma_f32 v[8:9], v[48:49], v[10:11], v[8:9] op_sel:[1,0,0] op_sel_hi:[0,0,1] neg_lo:[1,0,0]
	v_pk_fma_f32 v[0:1], v[64:65], v[10:11], v[0:1] op_sel:[1,0,0] op_sel_hi:[0,0,1] neg_lo:[1,0,0]
	s_wait_loadcnt 0x2
	v_mov_b32_e32 v10, v23
	s_delay_alu instid0(VALU_DEP_3) | instskip(NEXT) | instid1(VALU_DEP_3)
	v_pk_fma_f32 v[8:9], v[50:51], v[20:21], v[8:9] op_sel_hi:[1,0,1]
	v_pk_fma_f32 v[0:1], v[38:39], v[20:21], v[0:1] op_sel_hi:[1,0,1]
	s_delay_alu instid0(VALU_DEP_2) | instskip(NEXT) | instid1(VALU_DEP_2)
	v_pk_fma_f32 v[8:9], v[50:51], v[20:21], v[8:9] op_sel:[1,1,0] op_sel_hi:[0,1,1] neg_lo:[1,0,0]
	v_pk_fma_f32 v[0:1], v[38:39], v[20:21], v[0:1] op_sel:[1,1,0] op_sel_hi:[0,1,1] neg_lo:[1,0,0]
	s_wait_loadcnt 0x0
	s_delay_alu instid0(VALU_DEP_2) | instskip(NEXT) | instid1(VALU_DEP_2)
	v_pk_fma_f32 v[8:9], v[40:41], v[22:23], v[8:9] op_sel_hi:[1,0,1]
	v_pk_fma_f32 v[0:1], v[36:37], v[22:23], v[0:1] op_sel_hi:[1,0,1]
	s_delay_alu instid0(VALU_DEP_2) | instskip(NEXT) | instid1(VALU_DEP_2)
	v_pk_fma_f32 v[8:9], v[40:41], v[10:11], v[8:9] op_sel:[1,0,0] op_sel_hi:[0,0,1] neg_lo:[1,0,0]
	v_pk_fma_f32 v[0:1], v[36:37], v[10:11], v[0:1] op_sel:[1,0,0] op_sel_hi:[0,0,1] neg_lo:[1,0,0]
	s_and_not1_b32 exec_lo, exec_lo, s2
	s_cbranch_execnz .LBB194_11
; %bb.12:
	s_or_b32 exec_lo, exec_lo, s2
.LBB194_13:
	s_delay_alu instid0(SALU_CYCLE_1)
	s_or_b32 exec_lo, exec_lo, s3
.LBB194_14:
	v_mbcnt_lo_u32_b32 v10, -1, 0
	s_delay_alu instid0(VALU_DEP_1) | instskip(SKIP_1) | instid1(VALU_DEP_1)
	v_xor_b32_e32 v15, 4, v10
	v_xor_b32_e32 v11, 8, v10
	v_cmp_gt_i32_e32 vcc_lo, 32, v11
	v_cndmask_b32_e32 v11, v10, v11, vcc_lo
	s_delay_alu instid0(VALU_DEP_1)
	v_lshlrev_b32_e32 v11, 2, v11
	ds_bpermute_b32 v13, v11, v9
	s_wait_dscnt 0x0
	v_add_f32_e32 v9, v9, v13
	ds_bpermute_b32 v12, v11, v8
	ds_bpermute_b32 v14, v11, v0
	ds_bpermute_b32 v11, v11, v1
	s_wait_dscnt 0x2
	v_add_f32_e32 v8, v8, v12
	s_wait_dscnt 0x0
	v_dual_add_f32 v0, v0, v14 :: v_dual_add_f32 v1, v1, v11
	v_cmp_gt_i32_e32 vcc_lo, 32, v15
	v_cndmask_b32_e32 v15, v10, v15, vcc_lo
	s_delay_alu instid0(VALU_DEP_1)
	v_lshlrev_b32_e32 v15, 2, v15
	ds_bpermute_b32 v11, v15, v8
	ds_bpermute_b32 v12, v15, v9
	ds_bpermute_b32 v13, v15, v0
	ds_bpermute_b32 v14, v15, v1
	s_wait_dscnt 0x3
	v_dual_add_f32 v8, v8, v11 :: v_dual_bitop2_b32 v15, 2, v10 bitop3:0x14
	s_delay_alu instid0(VALU_DEP_1)
	v_cmp_gt_i32_e32 vcc_lo, 32, v15
	s_wait_dscnt 0x2
	v_add_f32_e32 v9, v9, v12
	s_wait_dscnt 0x0
	v_dual_add_f32 v12, v1, v14 :: v_dual_add_f32 v11, v0, v13
	v_cndmask_b32_e32 v15, v10, v15, vcc_lo
	s_delay_alu instid0(VALU_DEP_1)
	v_lshlrev_b32_e32 v15, 2, v15
	ds_bpermute_b32 v0, v15, v8
	ds_bpermute_b32 v1, v15, v9
	;; [unrolled: 1-line block ×4, first 2 shown]
	s_wait_dscnt 0x3
	v_dual_add_f32 v0, v8, v0 :: v_dual_bitop2_b32 v15, 1, v10 bitop3:0x14
	s_delay_alu instid0(VALU_DEP_1)
	v_cmp_gt_i32_e32 vcc_lo, 32, v15
	s_wait_dscnt 0x2
	v_dual_add_f32 v8, v9, v1 :: v_dual_cndmask_b32 v10, v10, v15, vcc_lo
	s_wait_dscnt 0x0
	v_dual_add_f32 v1, v11, v13 :: v_dual_add_f32 v9, v12, v14
	v_cmp_eq_u32_e32 vcc_lo, 15, v7
	s_delay_alu instid0(VALU_DEP_3)
	v_lshlrev_b32_e32 v15, 2, v10
	ds_bpermute_b32 v12, v15, v0
	ds_bpermute_b32 v13, v15, v8
	;; [unrolled: 1-line block ×4, first 2 shown]
	s_and_b32 exec_lo, exec_lo, vcc_lo
	s_cbranch_execz .LBB194_19
; %bb.15:
	s_load_b64 s[2:3], s[0:1], 0x38
	v_cmp_eq_f32_e32 vcc_lo, 0, v4
	s_wait_xcnt 0x0
	v_cmp_eq_f32_e64 s0, 0, v5
	s_wait_dscnt 0x3
	v_add_f32_e32 v0, v0, v12
	s_wait_dscnt 0x1
	v_dual_add_f32 v12, v8, v13 :: v_dual_add_f32 v8, v1, v10
	s_wait_dscnt 0x0
	v_add_f32_e32 v10, v9, v11
	s_and_b32 s0, vcc_lo, s0
	s_delay_alu instid0(SALU_CYCLE_1) | instskip(NEXT) | instid1(SALU_CYCLE_1)
	s_and_saveexec_b32 s1, s0
	s_xor_b32 s0, exec_lo, s1
	s_cbranch_execz .LBB194_17
; %bb.16:
	v_xor_b32_e32 v4, 0x80000000, v3
	v_dual_mov_b32 v5, v2 :: v_dual_lshlrev_b32 v6, 1, v6
	s_delay_alu instid0(VALU_DEP_1) | instskip(NEXT) | instid1(VALU_DEP_2)
	v_ashrrev_i32_e32 v7, 31, v6
	v_pk_mul_f32 v[12:13], v[12:13], v[4:5] op_sel_hi:[0,1]
	v_pk_mul_f32 v[4:5], v[10:11], v[4:5] op_sel_hi:[0,1]
                                        ; implicit-def: $vgpr10
	s_wait_kmcnt 0x0
	s_delay_alu instid0(VALU_DEP_3) | instskip(NEXT) | instid1(VALU_DEP_3)
	v_lshl_add_u64 v[6:7], v[6:7], 3, s[2:3]
	v_pk_fma_f32 v[0:1], v[2:3], v[0:1], v[12:13] op_sel_hi:[1,0,1]
	s_delay_alu instid0(VALU_DEP_3)
	v_pk_fma_f32 v[2:3], v[2:3], v[8:9], v[4:5] op_sel_hi:[1,0,1]
                                        ; implicit-def: $vgpr4_vgpr5
                                        ; implicit-def: $vgpr12
                                        ; implicit-def: $vgpr8
	global_store_b128 v[6:7], v[0:3], off
                                        ; implicit-def: $vgpr6
                                        ; implicit-def: $vgpr2_vgpr3
                                        ; implicit-def: $vgpr0
.LBB194_17:
	s_wait_xcnt 0x0
	s_and_not1_saveexec_b32 s0, s0
	s_cbranch_execz .LBB194_19
; %bb.18:
	v_dual_mov_b32 v19, v2 :: v_dual_lshlrev_b32 v6, 1, v6
	v_xor_b32_e32 v18, 0x80000000, v3
	s_delay_alu instid0(VALU_DEP_2) | instskip(NEXT) | instid1(VALU_DEP_2)
	v_ashrrev_i32_e32 v7, 31, v6
	v_pk_mul_f32 v[12:13], v[12:13], v[18:19] op_sel_hi:[0,1]
	v_pk_mul_f32 v[10:11], v[10:11], v[18:19] op_sel_hi:[0,1]
	s_delay_alu instid0(VALU_DEP_2) | instskip(NEXT) | instid1(VALU_DEP_2)
	v_pk_fma_f32 v[0:1], v[2:3], v[0:1], v[12:13] op_sel_hi:[1,0,1]
	v_pk_fma_f32 v[2:3], v[2:3], v[8:9], v[10:11] op_sel_hi:[1,0,1]
	v_mov_b32_e32 v9, v4
	s_wait_kmcnt 0x0
	v_lshl_add_u64 v[6:7], v[6:7], 3, s[2:3]
	v_xor_b32_e32 v8, 0x80000000, v5
	global_load_b128 v[14:17], v[6:7], off
	s_wait_loadcnt 0x0
	v_pk_fma_f32 v[0:1], v[4:5], v[14:15], v[0:1] op_sel_hi:[1,0,1]
	v_pk_fma_f32 v[2:3], v[4:5], v[16:17], v[2:3] op_sel_hi:[1,0,1]
	v_mov_b32_e32 v4, v17
	s_delay_alu instid0(VALU_DEP_3) | instskip(NEXT) | instid1(VALU_DEP_2)
	v_pk_fma_f32 v[0:1], v[8:9], v[14:15], v[0:1] op_sel:[0,1,0]
	v_pk_fma_f32 v[2:3], v[8:9], v[4:5], v[2:3] op_sel_hi:[1,0,1]
	global_store_b128 v[6:7], v[0:3], off
.LBB194_19:
	s_sendmsg sendmsg(MSG_DEALLOC_VGPRS)
	s_endpgm
	.section	.rodata,"a",@progbits
	.p2align	6, 0x0
	.amdhsa_kernel _ZN9rocsparseL19gebsrmvn_2xn_kernelILj128ELj10ELj16E21rocsparse_complex_numIfEEEvi20rocsparse_direction_NS_24const_host_device_scalarIT2_EEPKiS8_PKS5_SA_S6_PS5_21rocsparse_index_base_b
		.amdhsa_group_segment_fixed_size 0
		.amdhsa_private_segment_fixed_size 0
		.amdhsa_kernarg_size 72
		.amdhsa_user_sgpr_count 2
		.amdhsa_user_sgpr_dispatch_ptr 0
		.amdhsa_user_sgpr_queue_ptr 0
		.amdhsa_user_sgpr_kernarg_segment_ptr 1
		.amdhsa_user_sgpr_dispatch_id 0
		.amdhsa_user_sgpr_kernarg_preload_length 0
		.amdhsa_user_sgpr_kernarg_preload_offset 0
		.amdhsa_user_sgpr_private_segment_size 0
		.amdhsa_wavefront_size32 1
		.amdhsa_uses_dynamic_stack 0
		.amdhsa_enable_private_segment 0
		.amdhsa_system_sgpr_workgroup_id_x 1
		.amdhsa_system_sgpr_workgroup_id_y 0
		.amdhsa_system_sgpr_workgroup_id_z 0
		.amdhsa_system_sgpr_workgroup_info 0
		.amdhsa_system_vgpr_workitem_id 0
		.amdhsa_next_free_vgpr 80
		.amdhsa_next_free_sgpr 14
		.amdhsa_named_barrier_count 0
		.amdhsa_reserve_vcc 1
		.amdhsa_float_round_mode_32 0
		.amdhsa_float_round_mode_16_64 0
		.amdhsa_float_denorm_mode_32 3
		.amdhsa_float_denorm_mode_16_64 3
		.amdhsa_fp16_overflow 0
		.amdhsa_memory_ordered 1
		.amdhsa_forward_progress 1
		.amdhsa_inst_pref_size 25
		.amdhsa_round_robin_scheduling 0
		.amdhsa_exception_fp_ieee_invalid_op 0
		.amdhsa_exception_fp_denorm_src 0
		.amdhsa_exception_fp_ieee_div_zero 0
		.amdhsa_exception_fp_ieee_overflow 0
		.amdhsa_exception_fp_ieee_underflow 0
		.amdhsa_exception_fp_ieee_inexact 0
		.amdhsa_exception_int_div_zero 0
	.end_amdhsa_kernel
	.section	.text._ZN9rocsparseL19gebsrmvn_2xn_kernelILj128ELj10ELj16E21rocsparse_complex_numIfEEEvi20rocsparse_direction_NS_24const_host_device_scalarIT2_EEPKiS8_PKS5_SA_S6_PS5_21rocsparse_index_base_b,"axG",@progbits,_ZN9rocsparseL19gebsrmvn_2xn_kernelILj128ELj10ELj16E21rocsparse_complex_numIfEEEvi20rocsparse_direction_NS_24const_host_device_scalarIT2_EEPKiS8_PKS5_SA_S6_PS5_21rocsparse_index_base_b,comdat
.Lfunc_end194:
	.size	_ZN9rocsparseL19gebsrmvn_2xn_kernelILj128ELj10ELj16E21rocsparse_complex_numIfEEEvi20rocsparse_direction_NS_24const_host_device_scalarIT2_EEPKiS8_PKS5_SA_S6_PS5_21rocsparse_index_base_b, .Lfunc_end194-_ZN9rocsparseL19gebsrmvn_2xn_kernelILj128ELj10ELj16E21rocsparse_complex_numIfEEEvi20rocsparse_direction_NS_24const_host_device_scalarIT2_EEPKiS8_PKS5_SA_S6_PS5_21rocsparse_index_base_b
                                        ; -- End function
	.set _ZN9rocsparseL19gebsrmvn_2xn_kernelILj128ELj10ELj16E21rocsparse_complex_numIfEEEvi20rocsparse_direction_NS_24const_host_device_scalarIT2_EEPKiS8_PKS5_SA_S6_PS5_21rocsparse_index_base_b.num_vgpr, 80
	.set _ZN9rocsparseL19gebsrmvn_2xn_kernelILj128ELj10ELj16E21rocsparse_complex_numIfEEEvi20rocsparse_direction_NS_24const_host_device_scalarIT2_EEPKiS8_PKS5_SA_S6_PS5_21rocsparse_index_base_b.num_agpr, 0
	.set _ZN9rocsparseL19gebsrmvn_2xn_kernelILj128ELj10ELj16E21rocsparse_complex_numIfEEEvi20rocsparse_direction_NS_24const_host_device_scalarIT2_EEPKiS8_PKS5_SA_S6_PS5_21rocsparse_index_base_b.numbered_sgpr, 14
	.set _ZN9rocsparseL19gebsrmvn_2xn_kernelILj128ELj10ELj16E21rocsparse_complex_numIfEEEvi20rocsparse_direction_NS_24const_host_device_scalarIT2_EEPKiS8_PKS5_SA_S6_PS5_21rocsparse_index_base_b.num_named_barrier, 0
	.set _ZN9rocsparseL19gebsrmvn_2xn_kernelILj128ELj10ELj16E21rocsparse_complex_numIfEEEvi20rocsparse_direction_NS_24const_host_device_scalarIT2_EEPKiS8_PKS5_SA_S6_PS5_21rocsparse_index_base_b.private_seg_size, 0
	.set _ZN9rocsparseL19gebsrmvn_2xn_kernelILj128ELj10ELj16E21rocsparse_complex_numIfEEEvi20rocsparse_direction_NS_24const_host_device_scalarIT2_EEPKiS8_PKS5_SA_S6_PS5_21rocsparse_index_base_b.uses_vcc, 1
	.set _ZN9rocsparseL19gebsrmvn_2xn_kernelILj128ELj10ELj16E21rocsparse_complex_numIfEEEvi20rocsparse_direction_NS_24const_host_device_scalarIT2_EEPKiS8_PKS5_SA_S6_PS5_21rocsparse_index_base_b.uses_flat_scratch, 1
	.set _ZN9rocsparseL19gebsrmvn_2xn_kernelILj128ELj10ELj16E21rocsparse_complex_numIfEEEvi20rocsparse_direction_NS_24const_host_device_scalarIT2_EEPKiS8_PKS5_SA_S6_PS5_21rocsparse_index_base_b.has_dyn_sized_stack, 0
	.set _ZN9rocsparseL19gebsrmvn_2xn_kernelILj128ELj10ELj16E21rocsparse_complex_numIfEEEvi20rocsparse_direction_NS_24const_host_device_scalarIT2_EEPKiS8_PKS5_SA_S6_PS5_21rocsparse_index_base_b.has_recursion, 0
	.set _ZN9rocsparseL19gebsrmvn_2xn_kernelILj128ELj10ELj16E21rocsparse_complex_numIfEEEvi20rocsparse_direction_NS_24const_host_device_scalarIT2_EEPKiS8_PKS5_SA_S6_PS5_21rocsparse_index_base_b.has_indirect_call, 0
	.section	.AMDGPU.csdata,"",@progbits
; Kernel info:
; codeLenInByte = 3164
; TotalNumSgprs: 16
; NumVgprs: 80
; ScratchSize: 0
; MemoryBound: 0
; FloatMode: 240
; IeeeMode: 1
; LDSByteSize: 0 bytes/workgroup (compile time only)
; SGPRBlocks: 0
; VGPRBlocks: 4
; NumSGPRsForWavesPerEU: 16
; NumVGPRsForWavesPerEU: 80
; NamedBarCnt: 0
; Occupancy: 12
; WaveLimiterHint : 1
; COMPUTE_PGM_RSRC2:SCRATCH_EN: 0
; COMPUTE_PGM_RSRC2:USER_SGPR: 2
; COMPUTE_PGM_RSRC2:TRAP_HANDLER: 0
; COMPUTE_PGM_RSRC2:TGID_X_EN: 1
; COMPUTE_PGM_RSRC2:TGID_Y_EN: 0
; COMPUTE_PGM_RSRC2:TGID_Z_EN: 0
; COMPUTE_PGM_RSRC2:TIDIG_COMP_CNT: 0
	.section	.text._ZN9rocsparseL19gebsrmvn_2xn_kernelILj128ELj10ELj32E21rocsparse_complex_numIfEEEvi20rocsparse_direction_NS_24const_host_device_scalarIT2_EEPKiS8_PKS5_SA_S6_PS5_21rocsparse_index_base_b,"axG",@progbits,_ZN9rocsparseL19gebsrmvn_2xn_kernelILj128ELj10ELj32E21rocsparse_complex_numIfEEEvi20rocsparse_direction_NS_24const_host_device_scalarIT2_EEPKiS8_PKS5_SA_S6_PS5_21rocsparse_index_base_b,comdat
	.globl	_ZN9rocsparseL19gebsrmvn_2xn_kernelILj128ELj10ELj32E21rocsparse_complex_numIfEEEvi20rocsparse_direction_NS_24const_host_device_scalarIT2_EEPKiS8_PKS5_SA_S6_PS5_21rocsparse_index_base_b ; -- Begin function _ZN9rocsparseL19gebsrmvn_2xn_kernelILj128ELj10ELj32E21rocsparse_complex_numIfEEEvi20rocsparse_direction_NS_24const_host_device_scalarIT2_EEPKiS8_PKS5_SA_S6_PS5_21rocsparse_index_base_b
	.p2align	8
	.type	_ZN9rocsparseL19gebsrmvn_2xn_kernelILj128ELj10ELj32E21rocsparse_complex_numIfEEEvi20rocsparse_direction_NS_24const_host_device_scalarIT2_EEPKiS8_PKS5_SA_S6_PS5_21rocsparse_index_base_b,@function
_ZN9rocsparseL19gebsrmvn_2xn_kernelILj128ELj10ELj32E21rocsparse_complex_numIfEEEvi20rocsparse_direction_NS_24const_host_device_scalarIT2_EEPKiS8_PKS5_SA_S6_PS5_21rocsparse_index_base_b: ; @_ZN9rocsparseL19gebsrmvn_2xn_kernelILj128ELj10ELj32E21rocsparse_complex_numIfEEEvi20rocsparse_direction_NS_24const_host_device_scalarIT2_EEPKiS8_PKS5_SA_S6_PS5_21rocsparse_index_base_b
; %bb.0:
	s_clause 0x2
	s_load_b64 s[12:13], s[0:1], 0x40
	s_load_b64 s[2:3], s[0:1], 0x8
	;; [unrolled: 1-line block ×3, first 2 shown]
	v_mov_b32_e32 v1, 0
	s_add_nc_u64 s[6:7], s[0:1], 8
	s_add_nc_u64 s[8:9], s[0:1], 48
	s_wait_kmcnt 0x0
	s_bitcmp1_b32 s13, 0
	s_cselect_b32 s3, s7, s3
	s_cselect_b32 s2, s6, s2
	;; [unrolled: 1-line block ×4, first 2 shown]
	s_clause 0x1
	flat_load_b64 v[2:3], v1, s[2:3]
	flat_load_b64 v[4:5], v1, s[4:5]
	s_wait_loadcnt_dscnt 0x101
	v_cmp_eq_f32_e32 vcc_lo, 0, v2
	v_cmp_eq_f32_e64 s2, 0, v3
	s_wait_loadcnt_dscnt 0x0
	v_cmp_eq_f32_e64 s3, 1.0, v4
	v_cmp_eq_f32_e64 s4, 0, v5
	s_and_b32 s2, vcc_lo, s2
	s_and_b32 s3, s3, s4
	s_delay_alu instid0(SALU_CYCLE_1) | instskip(NEXT) | instid1(SALU_CYCLE_1)
	s_and_b32 s2, s2, s3
	s_xor_b32 s2, s2, -1
	s_delay_alu instid0(SALU_CYCLE_1)
	s_and_saveexec_b32 s3, s2
	s_cbranch_execz .LBB195_19
; %bb.1:
	s_load_b64 s[2:3], s[0:1], 0x0
	s_bfe_u32 s4, ttmp6, 0x4000c
	s_and_b32 s5, ttmp6, 15
	s_add_co_i32 s4, s4, 1
	s_getreg_b32 s6, hwreg(HW_REG_IB_STS2, 6, 4)
	s_mul_i32 s4, ttmp9, s4
	v_lshrrev_b32_e32 v1, 5, v0
	s_add_co_i32 s5, s5, s4
	s_cmp_eq_u32 s6, 0
	s_cselect_b32 s4, ttmp9, s5
	s_delay_alu instid0(VALU_DEP_1) | instid1(SALU_CYCLE_1)
	v_lshl_or_b32 v6, s4, 2, v1
	s_wait_kmcnt 0x0
	s_delay_alu instid0(VALU_DEP_1)
	v_cmp_gt_i32_e32 vcc_lo, s2, v6
	s_and_b32 exec_lo, exec_lo, vcc_lo
	s_cbranch_execz .LBB195_19
; %bb.2:
	s_load_b256 s[4:11], s[0:1], 0x10
	v_ashrrev_i32_e32 v7, 31, v6
	s_cmp_lg_u32 s3, 0
	s_wait_kmcnt 0x0
	s_delay_alu instid0(VALU_DEP_1)
	v_lshl_add_u64 v[8:9], v[6:7], 2, s[4:5]
	v_and_b32_e32 v7, 31, v0
	global_load_b64 v[8:9], v[8:9], off
	s_wait_loadcnt 0x0
	v_subrev_nc_u32_e32 v0, s12, v8
	v_subrev_nc_u32_e32 v14, s12, v9
	s_delay_alu instid0(VALU_DEP_2) | instskip(NEXT) | instid1(VALU_DEP_1)
	v_add_nc_u32_e32 v15, v0, v7
	v_cmp_lt_i32_e64 s2, v15, v14
	s_cbranch_scc0 .LBB195_8
; %bb.3:
	v_mov_b32_e32 v9, 0
	s_delay_alu instid0(VALU_DEP_1)
	v_dual_mov_b32 v8, v9 :: v_dual_mov_b32 v1, v9
	v_mov_b32_e32 v0, v9
	s_and_saveexec_b32 s3, s2
	s_cbranch_execz .LBB195_7
; %bb.4:
	v_mad_u32 v12, v15, 20, 18
	v_dual_mov_b32 v11, 0 :: v_dual_mov_b32 v16, v15
	s_mov_b32 s4, 0
	s_delay_alu instid0(VALU_DEP_1)
	v_dual_mov_b32 v0, v11 :: v_dual_mov_b32 v1, v11
	v_dual_mov_b32 v8, v11 :: v_dual_mov_b32 v9, v11
.LBB195_5:                              ; =>This Inner Loop Header: Depth=1
	global_load_b32 v10, v16, s[6:7] scale_offset
	v_dual_mov_b32 v67, v11 :: v_dual_mov_b32 v13, v11
	s_wait_xcnt 0x0
	v_add_nc_u32_e32 v16, 32, v16
	s_delay_alu instid0(VALU_DEP_1) | instskip(SKIP_3) | instid1(VALU_DEP_1)
	v_cmp_ge_i32_e32 vcc_lo, v16, v14
	s_or_b32 s4, vcc_lo, s4
	s_wait_loadcnt 0x0
	v_subrev_nc_u32_e32 v10, s12, v10
	v_mul_lo_u32 v66, v10, 10
	v_subrev_nc_u32_e32 v10, 18, v12
	s_delay_alu instid0(VALU_DEP_1) | instskip(SKIP_1) | instid1(VALU_DEP_4)
	v_lshl_add_u64 v[26:27], v[10:11], 3, s[8:9]
	v_add_nc_u32_e32 v10, -14, v12
	v_lshl_add_u64 v[28:29], v[66:67], 3, s[10:11]
	global_load_b128 v[18:21], v[26:27], off
	global_load_b128 v[22:25], v[28:29], off
	global_load_b128 v[26:29], v[26:27], off offset:16
	v_lshl_add_u64 v[30:31], v[10:11], 3, s[8:9]
	v_add_nc_u32_e32 v10, 2, v66
	global_load_b128 v[30:33], v[30:31], off
	v_lshl_add_u64 v[34:35], v[10:11], 3, s[10:11]
	v_add_nc_u32_e32 v10, -12, v12
	global_load_b128 v[34:37], v[34:35], off
	s_wait_loadcnt 0x4
	v_mov_b32_e32 v79, v20
	v_lshl_add_u64 v[38:39], v[10:11], 3, s[8:9]
	v_add_nc_u32_e32 v10, -10, v12
	s_wait_loadcnt 0x3
	v_pk_fma_f32 v[8:9], v[18:19], v[22:23], v[8:9] op_sel_hi:[1,0,1]
	v_xor_b32_e32 v78, 0x80000000, v21
	v_pk_fma_f32 v[0:1], v[20:21], v[22:23], v[0:1] op_sel_hi:[1,0,1]
	global_load_b128 v[38:41], v[38:39], off
	v_pk_fma_f32 v[8:9], v[18:19], v[22:23], v[8:9] op_sel:[1,1,0] op_sel_hi:[0,1,1] neg_lo:[1,0,0]
	s_wait_loadcnt 0x3
	v_mov_b32_e32 v19, v28
	v_lshl_add_u64 v[50:51], v[10:11], 3, s[8:9]
	v_add_nc_u32_e32 v10, 4, v66
	v_pk_fma_f32 v[0:1], v[78:79], v[22:23], v[0:1] op_sel:[0,1,0]
	v_xor_b32_e32 v18, 0x80000000, v29
	v_pk_fma_f32 v[8:9], v[26:27], v[24:25], v[8:9] op_sel_hi:[1,0,1]
	s_delay_alu instid0(VALU_DEP_4)
	v_lshl_add_u64 v[52:53], v[10:11], 3, s[10:11]
	v_add_nc_u32_e32 v10, -8, v12
	global_load_b128 v[42:45], v[50:51], off
	global_load_b128 v[46:49], v[52:53], off
	v_pk_fma_f32 v[0:1], v[28:29], v[24:25], v[0:1] op_sel_hi:[1,0,1]
	s_wait_xcnt 0x1
	v_lshl_add_u64 v[50:51], v[10:11], 3, s[8:9]
	v_add_nc_u32_e32 v10, -6, v12
	global_load_b128 v[50:53], v[50:51], off
	v_lshl_add_u64 v[62:63], v[10:11], 3, s[8:9]
	v_add_nc_u32_e32 v10, 6, v66
	s_delay_alu instid0(VALU_DEP_1) | instskip(SKIP_4) | instid1(VALU_DEP_1)
	v_lshl_add_u64 v[64:65], v[10:11], 3, s[10:11]
	global_load_b128 v[54:57], v[62:63], off
	global_load_b128 v[58:61], v[64:65], off
	v_add_nc_u32_e32 v10, -4, v12
	s_wait_xcnt 0x1
	v_lshl_add_u64 v[62:63], v[10:11], 3, s[8:9]
	global_load_b128 v[62:65], v[62:63], off
	v_add_nc_u32_e32 v10, -2, v12
	s_delay_alu instid0(VALU_DEP_1) | instskip(SKIP_1) | instid1(VALU_DEP_1)
	v_lshl_add_u64 v[74:75], v[10:11], 3, s[8:9]
	v_add_nc_u32_e32 v10, 8, v66
	v_lshl_add_u64 v[76:77], v[10:11], 3, s[10:11]
	global_load_b128 v[66:69], v[74:75], off
	global_load_b128 v[70:73], v[76:77], off
	s_wait_xcnt 0x1
	v_lshl_add_u64 v[74:75], v[12:13], 3, s[8:9]
	v_mov_b32_e32 v10, v25
	v_add_nc_u32_e32 v12, 0x280, v12
	global_load_b128 v[74:77], v[74:75], off
	v_pk_fma_f32 v[8:9], v[26:27], v[10:11], v[8:9] op_sel:[1,0,0] op_sel_hi:[0,0,1] neg_lo:[1,0,0]
	v_pk_fma_f32 v[0:1], v[18:19], v[10:11], v[0:1] op_sel_hi:[1,0,1]
	s_wait_loadcnt 0xb
	v_xor_b32_e32 v18, 0x80000000, v33
	s_wait_loadcnt 0xa
	v_dual_mov_b32 v19, v32 :: v_dual_mov_b32 v10, v37
	v_pk_fma_f32 v[8:9], v[30:31], v[34:35], v[8:9] op_sel_hi:[1,0,1]
	v_pk_fma_f32 v[0:1], v[32:33], v[34:35], v[0:1] op_sel_hi:[1,0,1]
	s_delay_alu instid0(VALU_DEP_2) | instskip(NEXT) | instid1(VALU_DEP_2)
	v_pk_fma_f32 v[8:9], v[30:31], v[34:35], v[8:9] op_sel:[1,1,0] op_sel_hi:[0,1,1] neg_lo:[1,0,0]
	v_pk_fma_f32 v[0:1], v[18:19], v[34:35], v[0:1] op_sel:[0,1,0]
	s_wait_loadcnt 0x9
	v_xor_b32_e32 v18, 0x80000000, v41
	v_mov_b32_e32 v19, v40
	v_pk_fma_f32 v[8:9], v[38:39], v[36:37], v[8:9] op_sel_hi:[1,0,1]
	v_pk_fma_f32 v[0:1], v[40:41], v[36:37], v[0:1] op_sel_hi:[1,0,1]
	s_delay_alu instid0(VALU_DEP_2) | instskip(NEXT) | instid1(VALU_DEP_2)
	v_pk_fma_f32 v[8:9], v[38:39], v[10:11], v[8:9] op_sel:[1,0,0] op_sel_hi:[0,0,1] neg_lo:[1,0,0]
	v_pk_fma_f32 v[0:1], v[18:19], v[10:11], v[0:1] op_sel_hi:[1,0,1]
	s_wait_loadcnt 0x8
	v_xor_b32_e32 v18, 0x80000000, v45
	v_mov_b32_e32 v19, v44
	s_wait_loadcnt 0x7
	v_pk_fma_f32 v[8:9], v[42:43], v[46:47], v[8:9] op_sel_hi:[1,0,1]
	v_pk_fma_f32 v[0:1], v[44:45], v[46:47], v[0:1] op_sel_hi:[1,0,1]
	v_mov_b32_e32 v10, v49
	s_delay_alu instid0(VALU_DEP_3) | instskip(NEXT) | instid1(VALU_DEP_3)
	v_pk_fma_f32 v[8:9], v[42:43], v[46:47], v[8:9] op_sel:[1,1,0] op_sel_hi:[0,1,1] neg_lo:[1,0,0]
	v_pk_fma_f32 v[0:1], v[18:19], v[46:47], v[0:1] op_sel:[0,1,0]
	s_wait_loadcnt 0x6
	v_xor_b32_e32 v18, 0x80000000, v53
	v_mov_b32_e32 v19, v52
	v_pk_fma_f32 v[8:9], v[50:51], v[48:49], v[8:9] op_sel_hi:[1,0,1]
	v_pk_fma_f32 v[0:1], v[52:53], v[48:49], v[0:1] op_sel_hi:[1,0,1]
	s_delay_alu instid0(VALU_DEP_2) | instskip(NEXT) | instid1(VALU_DEP_2)
	v_pk_fma_f32 v[8:9], v[50:51], v[10:11], v[8:9] op_sel:[1,0,0] op_sel_hi:[0,0,1] neg_lo:[1,0,0]
	v_pk_fma_f32 v[0:1], v[18:19], v[10:11], v[0:1] op_sel_hi:[1,0,1]
	s_wait_loadcnt 0x5
	v_xor_b32_e32 v18, 0x80000000, v57
	s_wait_loadcnt 0x4
	v_dual_mov_b32 v19, v56 :: v_dual_mov_b32 v10, v61
	v_pk_fma_f32 v[8:9], v[54:55], v[58:59], v[8:9] op_sel_hi:[1,0,1]
	v_pk_fma_f32 v[0:1], v[56:57], v[58:59], v[0:1] op_sel_hi:[1,0,1]
	s_delay_alu instid0(VALU_DEP_2) | instskip(NEXT) | instid1(VALU_DEP_2)
	v_pk_fma_f32 v[8:9], v[54:55], v[58:59], v[8:9] op_sel:[1,1,0] op_sel_hi:[0,1,1] neg_lo:[1,0,0]
	v_pk_fma_f32 v[0:1], v[18:19], v[58:59], v[0:1] op_sel:[0,1,0]
	s_wait_loadcnt 0x3
	v_xor_b32_e32 v18, 0x80000000, v65
	v_mov_b32_e32 v19, v64
	v_pk_fma_f32 v[8:9], v[62:63], v[60:61], v[8:9] op_sel_hi:[1,0,1]
	v_pk_fma_f32 v[0:1], v[64:65], v[60:61], v[0:1] op_sel_hi:[1,0,1]
	s_delay_alu instid0(VALU_DEP_2) | instskip(NEXT) | instid1(VALU_DEP_2)
	v_pk_fma_f32 v[8:9], v[62:63], v[10:11], v[8:9] op_sel:[1,0,0] op_sel_hi:[0,0,1] neg_lo:[1,0,0]
	v_pk_fma_f32 v[0:1], v[18:19], v[10:11], v[0:1] op_sel_hi:[1,0,1]
	s_wait_loadcnt 0x2
	v_xor_b32_e32 v18, 0x80000000, v69
	v_mov_b32_e32 v19, v68
	s_wait_loadcnt 0x1
	v_pk_fma_f32 v[8:9], v[66:67], v[70:71], v[8:9] op_sel_hi:[1,0,1]
	v_pk_fma_f32 v[0:1], v[68:69], v[70:71], v[0:1] op_sel_hi:[1,0,1]
	v_mov_b32_e32 v10, v73
	s_delay_alu instid0(VALU_DEP_3) | instskip(NEXT) | instid1(VALU_DEP_3)
	v_pk_fma_f32 v[8:9], v[66:67], v[70:71], v[8:9] op_sel:[1,1,0] op_sel_hi:[0,1,1] neg_lo:[1,0,0]
	v_pk_fma_f32 v[0:1], v[18:19], v[70:71], v[0:1] op_sel:[0,1,0]
	s_wait_loadcnt 0x0
	v_xor_b32_e32 v18, 0x80000000, v77
	v_mov_b32_e32 v19, v76
	v_pk_fma_f32 v[8:9], v[74:75], v[72:73], v[8:9] op_sel_hi:[1,0,1]
	v_pk_fma_f32 v[0:1], v[76:77], v[72:73], v[0:1] op_sel_hi:[1,0,1]
	s_delay_alu instid0(VALU_DEP_2) | instskip(NEXT) | instid1(VALU_DEP_2)
	v_pk_fma_f32 v[8:9], v[74:75], v[10:11], v[8:9] op_sel:[1,0,0] op_sel_hi:[0,0,1] neg_lo:[1,0,0]
	v_pk_fma_f32 v[0:1], v[18:19], v[10:11], v[0:1] op_sel_hi:[1,0,1]
	s_and_not1_b32 exec_lo, exec_lo, s4
	s_cbranch_execnz .LBB195_5
; %bb.6:
	s_or_b32 exec_lo, exec_lo, s4
.LBB195_7:
	s_delay_alu instid0(SALU_CYCLE_1)
	s_or_b32 exec_lo, exec_lo, s3
	s_cbranch_execz .LBB195_9
	s_branch .LBB195_14
.LBB195_8:
                                        ; implicit-def: $vgpr9
                                        ; implicit-def: $vgpr1
.LBB195_9:
	v_mov_b32_e32 v9, 0
	s_delay_alu instid0(VALU_DEP_1)
	v_dual_mov_b32 v8, v9 :: v_dual_mov_b32 v1, v9
	v_mov_b32_e32 v0, v9
	s_and_saveexec_b32 s3, s2
	s_cbranch_execz .LBB195_13
; %bb.10:
	v_mad_u32 v12, v15, 20, 19
	v_mov_b32_e32 v11, 0
	s_mov_b32 s2, 0
	s_delay_alu instid0(VALU_DEP_1)
	v_dual_mov_b32 v0, v11 :: v_dual_mov_b32 v1, v11
	v_dual_mov_b32 v8, v11 :: v_dual_mov_b32 v9, v11
.LBB195_11:                             ; =>This Inner Loop Header: Depth=1
	global_load_b32 v13, v15, s[6:7] scale_offset
	v_subrev_nc_u32_e32 v10, 19, v12
	v_dual_mov_b32 v37, v11 :: v_dual_add_nc_u32 v20, -9, v12
	v_dual_add_nc_u32 v26, -8, v12 :: v_dual_add_nc_u32 v44, -7, v12
	s_delay_alu instid0(VALU_DEP_3)
	v_lshl_add_u64 v[32:33], v[10:11], 3, s[8:9]
	v_dual_add_nc_u32 v52, -6, v12 :: v_dual_add_nc_u32 v53, -15, v12
	s_clause 0x1
	global_load_b64 v[38:39], v20, s[8:9] scale_offset
	global_load_b128 v[16:19], v[32:33], off
	v_dual_add_nc_u32 v68, -3, v12 :: v_dual_add_nc_u32 v69, -2, v12
	v_dual_add_nc_u32 v58, -5, v12 :: v_dual_add_nc_u32 v59, -13, v12
	s_wait_xcnt 0x2
	v_add_nc_u32_e32 v15, 32, v15
	s_delay_alu instid0(VALU_DEP_1) | instskip(SKIP_4) | instid1(VALU_DEP_2)
	v_cmp_ge_i32_e32 vcc_lo, v15, v14
	s_or_b32 s2, vcc_lo, s2
	s_wait_loadcnt 0x2
	v_subrev_nc_u32_e32 v10, s12, v13
	v_add_nc_u32_e32 v13, -14, v12
	v_mul_lo_u32 v36, v10, 10
	s_wait_loadcnt 0x0
	v_mov_b32_e32 v61, v18
	v_xor_b32_e32 v60, 0x80000000, v19
	s_delay_alu instid0(VALU_DEP_3) | instskip(SKIP_4) | instid1(VALU_DEP_2)
	v_lshl_add_u64 v[24:25], v[36:37], 3, s[10:11]
	global_load_b128 v[20:23], v[24:25], off
	global_load_b64 v[40:41], v26, s[8:9] scale_offset
	v_add_nc_u32_e32 v10, 2, v36
	v_dual_add_nc_u32 v37, -4, v12 :: v_dual_add_nc_u32 v70, -1, v12
	v_lshl_add_u64 v[34:35], v[10:11], 3, s[10:11]
	s_clause 0x1
	global_load_b64 v[42:43], v44, s[8:9] scale_offset
	global_load_b128 v[24:27], v[32:33], off offset:16
	global_load_b128 v[28:31], v[34:35], off
	s_wait_xcnt 0x1
	v_dual_add_nc_u32 v10, -12, v12 :: v_dual_add_nc_u32 v32, -11, v12
	s_clause 0x3
	global_load_b64 v[44:45], v53, s[8:9] scale_offset
	global_load_b64 v[46:47], v52, s[8:9] scale_offset
	;; [unrolled: 1-line block ×4, first 2 shown]
	s_wait_xcnt 0x1
	v_add_nc_u32_e32 v10, 4, v36
	s_clause 0x3
	global_load_b64 v[52:53], v58, s[8:9] scale_offset
	global_load_b64 v[54:55], v13, s[8:9] scale_offset
	;; [unrolled: 1-line block ×4, first 2 shown]
	v_add_nc_u32_e32 v13, -10, v12
	v_lshl_add_u64 v[32:33], v[10:11], 3, s[10:11]
	v_add_nc_u32_e32 v10, 6, v36
	global_load_b128 v[32:35], v[32:33], off
	v_lshl_add_u64 v[62:63], v[10:11], 3, s[10:11]
	v_add_nc_u32_e32 v10, 8, v36
	s_wait_xcnt 0x1
	s_delay_alu instid0(VALU_DEP_1) | instskip(SKIP_4) | instid1(VALU_DEP_3)
	v_lshl_add_u64 v[36:37], v[10:11], 3, s[10:11]
	s_wait_loadcnt 0xd
	v_pk_fma_f32 v[8:9], v[16:17], v[20:21], v[8:9] op_sel_hi:[1,0,1]
	v_pk_fma_f32 v[0:1], v[38:39], v[20:21], v[0:1] op_sel_hi:[1,0,1]
	v_mov_b32_e32 v10, v23
	v_pk_fma_f32 v[8:9], v[16:17], v[20:21], v[8:9] op_sel:[1,1,0] op_sel_hi:[0,1,1] neg_lo:[1,0,0]
	s_delay_alu instid0(VALU_DEP_3) | instskip(NEXT) | instid1(VALU_DEP_2)
	v_pk_fma_f32 v[0:1], v[38:39], v[20:21], v[0:1] op_sel:[1,1,0] op_sel_hi:[0,1,1] neg_lo:[1,0,0]
	v_pk_fma_f32 v[8:9], v[18:19], v[22:23], v[8:9] op_sel_hi:[1,0,1]
	s_clause 0x1
	global_load_b64 v[64:65], v69, s[8:9] scale_offset
	global_load_b64 v[66:67], v68, s[8:9] scale_offset
	global_load_b128 v[16:19], v[62:63], off
	global_load_b64 v[38:39], v70, s[8:9] scale_offset
	s_wait_loadcnt 0x10
	v_pk_fma_f32 v[0:1], v[40:41], v[22:23], v[0:1] op_sel_hi:[1,0,1]
	global_load_b128 v[20:23], v[36:37], off
	v_pk_fma_f32 v[8:9], v[60:61], v[10:11], v[8:9] op_sel_hi:[1,0,1]
	global_load_b64 v[36:37], v12, s[8:9] scale_offset
	v_pk_fma_f32 v[0:1], v[40:41], v[10:11], v[0:1] op_sel:[1,0,0] op_sel_hi:[0,0,1] neg_lo:[1,0,0]
	s_wait_loadcnt 0xf
	v_mov_b32_e32 v10, v31
	global_load_b64 v[40:41], v13, s[8:9] scale_offset
	v_pk_fma_f32 v[8:9], v[24:25], v[28:29], v[8:9] op_sel_hi:[1,0,1]
	s_wait_xcnt 0x1
	v_add_nc_u32_e32 v12, 0x280, v12
	v_pk_fma_f32 v[0:1], v[42:43], v[28:29], v[0:1] op_sel_hi:[1,0,1]
	s_delay_alu instid0(VALU_DEP_3) | instskip(SKIP_1) | instid1(VALU_DEP_3)
	v_pk_fma_f32 v[8:9], v[24:25], v[28:29], v[8:9] op_sel:[1,1,0] op_sel_hi:[0,1,1] neg_lo:[1,0,0]
	v_xor_b32_e32 v24, 0x80000000, v27
	v_pk_fma_f32 v[0:1], v[42:43], v[28:29], v[0:1] op_sel:[1,1,0] op_sel_hi:[0,1,1] neg_lo:[1,0,0]
	v_mov_b32_e32 v25, v26
	s_delay_alu instid0(VALU_DEP_4) | instskip(SKIP_1) | instid1(VALU_DEP_3)
	v_pk_fma_f32 v[8:9], v[26:27], v[30:31], v[8:9] op_sel_hi:[1,0,1]
	s_wait_loadcnt 0xe
	v_pk_fma_f32 v[0:1], v[46:47], v[30:31], v[0:1] op_sel_hi:[1,0,1]
	s_delay_alu instid0(VALU_DEP_2) | instskip(NEXT) | instid1(VALU_DEP_2)
	v_pk_fma_f32 v[8:9], v[24:25], v[10:11], v[8:9] op_sel_hi:[1,0,1]
	v_pk_fma_f32 v[0:1], v[46:47], v[10:11], v[0:1] op_sel:[1,0,0] op_sel_hi:[0,0,1] neg_lo:[1,0,0]
	s_wait_loadcnt 0x7
	v_mov_b32_e32 v10, v35
	s_delay_alu instid0(VALU_DEP_3) | instskip(NEXT) | instid1(VALU_DEP_3)
	v_pk_fma_f32 v[8:9], v[44:45], v[32:33], v[8:9] op_sel_hi:[1,0,1]
	v_pk_fma_f32 v[0:1], v[52:53], v[32:33], v[0:1] op_sel_hi:[1,0,1]
	s_delay_alu instid0(VALU_DEP_2) | instskip(NEXT) | instid1(VALU_DEP_2)
	v_pk_fma_f32 v[8:9], v[44:45], v[32:33], v[8:9] op_sel:[1,1,0] op_sel_hi:[0,1,1] neg_lo:[1,0,0]
	v_pk_fma_f32 v[0:1], v[52:53], v[32:33], v[0:1] op_sel:[1,1,0] op_sel_hi:[0,1,1] neg_lo:[1,0,0]
	s_delay_alu instid0(VALU_DEP_2) | instskip(NEXT) | instid1(VALU_DEP_2)
	v_pk_fma_f32 v[8:9], v[54:55], v[34:35], v[8:9] op_sel_hi:[1,0,1]
	v_pk_fma_f32 v[0:1], v[58:59], v[34:35], v[0:1] op_sel_hi:[1,0,1]
	s_delay_alu instid0(VALU_DEP_2) | instskip(NEXT) | instid1(VALU_DEP_2)
	v_pk_fma_f32 v[8:9], v[54:55], v[10:11], v[8:9] op_sel:[1,0,0] op_sel_hi:[0,0,1] neg_lo:[1,0,0]
	v_pk_fma_f32 v[0:1], v[58:59], v[10:11], v[0:1] op_sel:[1,0,0] op_sel_hi:[0,0,1] neg_lo:[1,0,0]
	s_wait_loadcnt 0x4
	s_delay_alu instid0(VALU_DEP_2) | instskip(NEXT) | instid1(VALU_DEP_2)
	v_pk_fma_f32 v[8:9], v[56:57], v[16:17], v[8:9] op_sel_hi:[1,0,1]
	v_pk_fma_f32 v[0:1], v[66:67], v[16:17], v[0:1] op_sel_hi:[1,0,1]
	v_mov_b32_e32 v10, v19
	s_delay_alu instid0(VALU_DEP_3) | instskip(NEXT) | instid1(VALU_DEP_3)
	v_pk_fma_f32 v[8:9], v[56:57], v[16:17], v[8:9] op_sel:[1,1,0] op_sel_hi:[0,1,1] neg_lo:[1,0,0]
	v_pk_fma_f32 v[0:1], v[66:67], v[16:17], v[0:1] op_sel:[1,1,0] op_sel_hi:[0,1,1] neg_lo:[1,0,0]
	s_delay_alu instid0(VALU_DEP_2) | instskip(NEXT) | instid1(VALU_DEP_2)
	v_pk_fma_f32 v[8:9], v[48:49], v[18:19], v[8:9] op_sel_hi:[1,0,1]
	v_pk_fma_f32 v[0:1], v[64:65], v[18:19], v[0:1] op_sel_hi:[1,0,1]
	s_delay_alu instid0(VALU_DEP_2) | instskip(NEXT) | instid1(VALU_DEP_2)
	v_pk_fma_f32 v[8:9], v[48:49], v[10:11], v[8:9] op_sel:[1,0,0] op_sel_hi:[0,0,1] neg_lo:[1,0,0]
	v_pk_fma_f32 v[0:1], v[64:65], v[10:11], v[0:1] op_sel:[1,0,0] op_sel_hi:[0,0,1] neg_lo:[1,0,0]
	s_wait_loadcnt 0x2
	v_mov_b32_e32 v10, v23
	s_delay_alu instid0(VALU_DEP_3) | instskip(NEXT) | instid1(VALU_DEP_3)
	v_pk_fma_f32 v[8:9], v[50:51], v[20:21], v[8:9] op_sel_hi:[1,0,1]
	v_pk_fma_f32 v[0:1], v[38:39], v[20:21], v[0:1] op_sel_hi:[1,0,1]
	s_delay_alu instid0(VALU_DEP_2) | instskip(NEXT) | instid1(VALU_DEP_2)
	v_pk_fma_f32 v[8:9], v[50:51], v[20:21], v[8:9] op_sel:[1,1,0] op_sel_hi:[0,1,1] neg_lo:[1,0,0]
	v_pk_fma_f32 v[0:1], v[38:39], v[20:21], v[0:1] op_sel:[1,1,0] op_sel_hi:[0,1,1] neg_lo:[1,0,0]
	s_wait_loadcnt 0x0
	s_delay_alu instid0(VALU_DEP_2) | instskip(NEXT) | instid1(VALU_DEP_2)
	v_pk_fma_f32 v[8:9], v[40:41], v[22:23], v[8:9] op_sel_hi:[1,0,1]
	v_pk_fma_f32 v[0:1], v[36:37], v[22:23], v[0:1] op_sel_hi:[1,0,1]
	s_delay_alu instid0(VALU_DEP_2) | instskip(NEXT) | instid1(VALU_DEP_2)
	v_pk_fma_f32 v[8:9], v[40:41], v[10:11], v[8:9] op_sel:[1,0,0] op_sel_hi:[0,0,1] neg_lo:[1,0,0]
	v_pk_fma_f32 v[0:1], v[36:37], v[10:11], v[0:1] op_sel:[1,0,0] op_sel_hi:[0,0,1] neg_lo:[1,0,0]
	s_and_not1_b32 exec_lo, exec_lo, s2
	s_cbranch_execnz .LBB195_11
; %bb.12:
	s_or_b32 exec_lo, exec_lo, s2
.LBB195_13:
	s_delay_alu instid0(SALU_CYCLE_1)
	s_or_b32 exec_lo, exec_lo, s3
.LBB195_14:
	v_mbcnt_lo_u32_b32 v10, -1, 0
	s_delay_alu instid0(VALU_DEP_1) | instskip(SKIP_1) | instid1(VALU_DEP_1)
	v_xor_b32_e32 v15, 8, v10
	v_xor_b32_e32 v11, 16, v10
	v_cmp_gt_i32_e32 vcc_lo, 32, v11
	v_cndmask_b32_e32 v11, v10, v11, vcc_lo
	s_delay_alu instid0(VALU_DEP_1)
	v_lshlrev_b32_e32 v11, 2, v11
	ds_bpermute_b32 v13, v11, v9
	s_wait_dscnt 0x0
	v_add_f32_e32 v9, v9, v13
	ds_bpermute_b32 v12, v11, v8
	ds_bpermute_b32 v14, v11, v0
	;; [unrolled: 1-line block ×3, first 2 shown]
	s_wait_dscnt 0x2
	v_add_f32_e32 v8, v8, v12
	s_wait_dscnt 0x0
	v_dual_add_f32 v0, v0, v14 :: v_dual_add_f32 v1, v1, v11
	v_cmp_gt_i32_e32 vcc_lo, 32, v15
	v_cndmask_b32_e32 v15, v10, v15, vcc_lo
	s_delay_alu instid0(VALU_DEP_1)
	v_lshlrev_b32_e32 v15, 2, v15
	ds_bpermute_b32 v11, v15, v8
	ds_bpermute_b32 v12, v15, v9
	;; [unrolled: 1-line block ×4, first 2 shown]
	s_wait_dscnt 0x3
	v_dual_add_f32 v8, v8, v11 :: v_dual_bitop2_b32 v15, 4, v10 bitop3:0x14
	s_delay_alu instid0(VALU_DEP_1)
	v_cmp_gt_i32_e32 vcc_lo, 32, v15
	s_wait_dscnt 0x2
	v_add_f32_e32 v9, v9, v12
	s_wait_dscnt 0x0
	v_dual_add_f32 v1, v1, v14 :: v_dual_add_f32 v0, v0, v13
	v_cndmask_b32_e32 v15, v10, v15, vcc_lo
	s_delay_alu instid0(VALU_DEP_1)
	v_lshlrev_b32_e32 v15, 2, v15
	ds_bpermute_b32 v11, v15, v8
	ds_bpermute_b32 v12, v15, v9
	ds_bpermute_b32 v13, v15, v0
	ds_bpermute_b32 v14, v15, v1
	s_wait_dscnt 0x3
	v_dual_add_f32 v8, v8, v11 :: v_dual_bitop2_b32 v15, 2, v10 bitop3:0x14
	s_delay_alu instid0(VALU_DEP_1) | instskip(SKIP_4) | instid1(VALU_DEP_2)
	v_cmp_gt_i32_e32 vcc_lo, 32, v15
	s_wait_dscnt 0x2
	v_dual_add_f32 v9, v9, v12 :: v_dual_cndmask_b32 v15, v10, v15, vcc_lo
	s_wait_dscnt 0x0
	v_dual_add_f32 v11, v0, v13 :: v_dual_add_f32 v12, v1, v14
	v_lshlrev_b32_e32 v15, 2, v15
	ds_bpermute_b32 v0, v15, v8
	ds_bpermute_b32 v1, v15, v9
	;; [unrolled: 1-line block ×4, first 2 shown]
	s_wait_dscnt 0x3
	v_dual_add_f32 v0, v8, v0 :: v_dual_bitop2_b32 v15, 1, v10 bitop3:0x14
	s_delay_alu instid0(VALU_DEP_1)
	v_cmp_gt_i32_e32 vcc_lo, 32, v15
	s_wait_dscnt 0x2
	v_add_f32_e32 v8, v9, v1
	s_wait_dscnt 0x0
	v_dual_add_f32 v1, v11, v13 :: v_dual_add_f32 v9, v12, v14
	v_cndmask_b32_e32 v10, v10, v15, vcc_lo
	v_cmp_eq_u32_e32 vcc_lo, 31, v7
	s_delay_alu instid0(VALU_DEP_2)
	v_lshlrev_b32_e32 v15, 2, v10
	ds_bpermute_b32 v12, v15, v0
	ds_bpermute_b32 v13, v15, v8
	;; [unrolled: 1-line block ×4, first 2 shown]
	s_and_b32 exec_lo, exec_lo, vcc_lo
	s_cbranch_execz .LBB195_19
; %bb.15:
	s_load_b64 s[2:3], s[0:1], 0x38
	v_cmp_eq_f32_e32 vcc_lo, 0, v4
	s_wait_xcnt 0x0
	v_cmp_eq_f32_e64 s0, 0, v5
	s_wait_dscnt 0x3
	v_add_f32_e32 v0, v0, v12
	s_wait_dscnt 0x1
	v_dual_add_f32 v12, v8, v13 :: v_dual_add_f32 v8, v1, v10
	s_wait_dscnt 0x0
	v_add_f32_e32 v10, v9, v11
	s_and_b32 s0, vcc_lo, s0
	s_delay_alu instid0(SALU_CYCLE_1) | instskip(NEXT) | instid1(SALU_CYCLE_1)
	s_and_saveexec_b32 s1, s0
	s_xor_b32 s0, exec_lo, s1
	s_cbranch_execz .LBB195_17
; %bb.16:
	v_xor_b32_e32 v4, 0x80000000, v3
	v_dual_mov_b32 v5, v2 :: v_dual_lshlrev_b32 v6, 1, v6
	s_delay_alu instid0(VALU_DEP_1) | instskip(NEXT) | instid1(VALU_DEP_2)
	v_ashrrev_i32_e32 v7, 31, v6
	v_pk_mul_f32 v[12:13], v[12:13], v[4:5] op_sel_hi:[0,1]
	v_pk_mul_f32 v[4:5], v[10:11], v[4:5] op_sel_hi:[0,1]
                                        ; implicit-def: $vgpr10
	s_wait_kmcnt 0x0
	s_delay_alu instid0(VALU_DEP_3) | instskip(NEXT) | instid1(VALU_DEP_3)
	v_lshl_add_u64 v[6:7], v[6:7], 3, s[2:3]
	v_pk_fma_f32 v[0:1], v[2:3], v[0:1], v[12:13] op_sel_hi:[1,0,1]
	s_delay_alu instid0(VALU_DEP_3)
	v_pk_fma_f32 v[2:3], v[2:3], v[8:9], v[4:5] op_sel_hi:[1,0,1]
                                        ; implicit-def: $vgpr4_vgpr5
                                        ; implicit-def: $vgpr12
                                        ; implicit-def: $vgpr8
	global_store_b128 v[6:7], v[0:3], off
                                        ; implicit-def: $vgpr6
                                        ; implicit-def: $vgpr2_vgpr3
                                        ; implicit-def: $vgpr0
.LBB195_17:
	s_wait_xcnt 0x0
	s_and_not1_saveexec_b32 s0, s0
	s_cbranch_execz .LBB195_19
; %bb.18:
	v_dual_mov_b32 v19, v2 :: v_dual_lshlrev_b32 v6, 1, v6
	v_xor_b32_e32 v18, 0x80000000, v3
	s_delay_alu instid0(VALU_DEP_2) | instskip(NEXT) | instid1(VALU_DEP_2)
	v_ashrrev_i32_e32 v7, 31, v6
	v_pk_mul_f32 v[12:13], v[12:13], v[18:19] op_sel_hi:[0,1]
	v_pk_mul_f32 v[10:11], v[10:11], v[18:19] op_sel_hi:[0,1]
	s_delay_alu instid0(VALU_DEP_2) | instskip(NEXT) | instid1(VALU_DEP_2)
	v_pk_fma_f32 v[0:1], v[2:3], v[0:1], v[12:13] op_sel_hi:[1,0,1]
	v_pk_fma_f32 v[2:3], v[2:3], v[8:9], v[10:11] op_sel_hi:[1,0,1]
	v_mov_b32_e32 v9, v4
	s_wait_kmcnt 0x0
	v_lshl_add_u64 v[6:7], v[6:7], 3, s[2:3]
	v_xor_b32_e32 v8, 0x80000000, v5
	global_load_b128 v[14:17], v[6:7], off
	s_wait_loadcnt 0x0
	v_pk_fma_f32 v[0:1], v[4:5], v[14:15], v[0:1] op_sel_hi:[1,0,1]
	v_pk_fma_f32 v[2:3], v[4:5], v[16:17], v[2:3] op_sel_hi:[1,0,1]
	v_mov_b32_e32 v4, v17
	s_delay_alu instid0(VALU_DEP_3) | instskip(NEXT) | instid1(VALU_DEP_2)
	v_pk_fma_f32 v[0:1], v[8:9], v[14:15], v[0:1] op_sel:[0,1,0]
	v_pk_fma_f32 v[2:3], v[8:9], v[4:5], v[2:3] op_sel_hi:[1,0,1]
	global_store_b128 v[6:7], v[0:3], off
.LBB195_19:
	s_sendmsg sendmsg(MSG_DEALLOC_VGPRS)
	s_endpgm
	.section	.rodata,"a",@progbits
	.p2align	6, 0x0
	.amdhsa_kernel _ZN9rocsparseL19gebsrmvn_2xn_kernelILj128ELj10ELj32E21rocsparse_complex_numIfEEEvi20rocsparse_direction_NS_24const_host_device_scalarIT2_EEPKiS8_PKS5_SA_S6_PS5_21rocsparse_index_base_b
		.amdhsa_group_segment_fixed_size 0
		.amdhsa_private_segment_fixed_size 0
		.amdhsa_kernarg_size 72
		.amdhsa_user_sgpr_count 2
		.amdhsa_user_sgpr_dispatch_ptr 0
		.amdhsa_user_sgpr_queue_ptr 0
		.amdhsa_user_sgpr_kernarg_segment_ptr 1
		.amdhsa_user_sgpr_dispatch_id 0
		.amdhsa_user_sgpr_kernarg_preload_length 0
		.amdhsa_user_sgpr_kernarg_preload_offset 0
		.amdhsa_user_sgpr_private_segment_size 0
		.amdhsa_wavefront_size32 1
		.amdhsa_uses_dynamic_stack 0
		.amdhsa_enable_private_segment 0
		.amdhsa_system_sgpr_workgroup_id_x 1
		.amdhsa_system_sgpr_workgroup_id_y 0
		.amdhsa_system_sgpr_workgroup_id_z 0
		.amdhsa_system_sgpr_workgroup_info 0
		.amdhsa_system_vgpr_workitem_id 0
		.amdhsa_next_free_vgpr 80
		.amdhsa_next_free_sgpr 14
		.amdhsa_named_barrier_count 0
		.amdhsa_reserve_vcc 1
		.amdhsa_float_round_mode_32 0
		.amdhsa_float_round_mode_16_64 0
		.amdhsa_float_denorm_mode_32 3
		.amdhsa_float_denorm_mode_16_64 3
		.amdhsa_fp16_overflow 0
		.amdhsa_memory_ordered 1
		.amdhsa_forward_progress 1
		.amdhsa_inst_pref_size 26
		.amdhsa_round_robin_scheduling 0
		.amdhsa_exception_fp_ieee_invalid_op 0
		.amdhsa_exception_fp_denorm_src 0
		.amdhsa_exception_fp_ieee_div_zero 0
		.amdhsa_exception_fp_ieee_overflow 0
		.amdhsa_exception_fp_ieee_underflow 0
		.amdhsa_exception_fp_ieee_inexact 0
		.amdhsa_exception_int_div_zero 0
	.end_amdhsa_kernel
	.section	.text._ZN9rocsparseL19gebsrmvn_2xn_kernelILj128ELj10ELj32E21rocsparse_complex_numIfEEEvi20rocsparse_direction_NS_24const_host_device_scalarIT2_EEPKiS8_PKS5_SA_S6_PS5_21rocsparse_index_base_b,"axG",@progbits,_ZN9rocsparseL19gebsrmvn_2xn_kernelILj128ELj10ELj32E21rocsparse_complex_numIfEEEvi20rocsparse_direction_NS_24const_host_device_scalarIT2_EEPKiS8_PKS5_SA_S6_PS5_21rocsparse_index_base_b,comdat
.Lfunc_end195:
	.size	_ZN9rocsparseL19gebsrmvn_2xn_kernelILj128ELj10ELj32E21rocsparse_complex_numIfEEEvi20rocsparse_direction_NS_24const_host_device_scalarIT2_EEPKiS8_PKS5_SA_S6_PS5_21rocsparse_index_base_b, .Lfunc_end195-_ZN9rocsparseL19gebsrmvn_2xn_kernelILj128ELj10ELj32E21rocsparse_complex_numIfEEEvi20rocsparse_direction_NS_24const_host_device_scalarIT2_EEPKiS8_PKS5_SA_S6_PS5_21rocsparse_index_base_b
                                        ; -- End function
	.set _ZN9rocsparseL19gebsrmvn_2xn_kernelILj128ELj10ELj32E21rocsparse_complex_numIfEEEvi20rocsparse_direction_NS_24const_host_device_scalarIT2_EEPKiS8_PKS5_SA_S6_PS5_21rocsparse_index_base_b.num_vgpr, 80
	.set _ZN9rocsparseL19gebsrmvn_2xn_kernelILj128ELj10ELj32E21rocsparse_complex_numIfEEEvi20rocsparse_direction_NS_24const_host_device_scalarIT2_EEPKiS8_PKS5_SA_S6_PS5_21rocsparse_index_base_b.num_agpr, 0
	.set _ZN9rocsparseL19gebsrmvn_2xn_kernelILj128ELj10ELj32E21rocsparse_complex_numIfEEEvi20rocsparse_direction_NS_24const_host_device_scalarIT2_EEPKiS8_PKS5_SA_S6_PS5_21rocsparse_index_base_b.numbered_sgpr, 14
	.set _ZN9rocsparseL19gebsrmvn_2xn_kernelILj128ELj10ELj32E21rocsparse_complex_numIfEEEvi20rocsparse_direction_NS_24const_host_device_scalarIT2_EEPKiS8_PKS5_SA_S6_PS5_21rocsparse_index_base_b.num_named_barrier, 0
	.set _ZN9rocsparseL19gebsrmvn_2xn_kernelILj128ELj10ELj32E21rocsparse_complex_numIfEEEvi20rocsparse_direction_NS_24const_host_device_scalarIT2_EEPKiS8_PKS5_SA_S6_PS5_21rocsparse_index_base_b.private_seg_size, 0
	.set _ZN9rocsparseL19gebsrmvn_2xn_kernelILj128ELj10ELj32E21rocsparse_complex_numIfEEEvi20rocsparse_direction_NS_24const_host_device_scalarIT2_EEPKiS8_PKS5_SA_S6_PS5_21rocsparse_index_base_b.uses_vcc, 1
	.set _ZN9rocsparseL19gebsrmvn_2xn_kernelILj128ELj10ELj32E21rocsparse_complex_numIfEEEvi20rocsparse_direction_NS_24const_host_device_scalarIT2_EEPKiS8_PKS5_SA_S6_PS5_21rocsparse_index_base_b.uses_flat_scratch, 1
	.set _ZN9rocsparseL19gebsrmvn_2xn_kernelILj128ELj10ELj32E21rocsparse_complex_numIfEEEvi20rocsparse_direction_NS_24const_host_device_scalarIT2_EEPKiS8_PKS5_SA_S6_PS5_21rocsparse_index_base_b.has_dyn_sized_stack, 0
	.set _ZN9rocsparseL19gebsrmvn_2xn_kernelILj128ELj10ELj32E21rocsparse_complex_numIfEEEvi20rocsparse_direction_NS_24const_host_device_scalarIT2_EEPKiS8_PKS5_SA_S6_PS5_21rocsparse_index_base_b.has_recursion, 0
	.set _ZN9rocsparseL19gebsrmvn_2xn_kernelILj128ELj10ELj32E21rocsparse_complex_numIfEEEvi20rocsparse_direction_NS_24const_host_device_scalarIT2_EEPKiS8_PKS5_SA_S6_PS5_21rocsparse_index_base_b.has_indirect_call, 0
	.section	.AMDGPU.csdata,"",@progbits
; Kernel info:
; codeLenInByte = 3248
; TotalNumSgprs: 16
; NumVgprs: 80
; ScratchSize: 0
; MemoryBound: 0
; FloatMode: 240
; IeeeMode: 1
; LDSByteSize: 0 bytes/workgroup (compile time only)
; SGPRBlocks: 0
; VGPRBlocks: 4
; NumSGPRsForWavesPerEU: 16
; NumVGPRsForWavesPerEU: 80
; NamedBarCnt: 0
; Occupancy: 12
; WaveLimiterHint : 1
; COMPUTE_PGM_RSRC2:SCRATCH_EN: 0
; COMPUTE_PGM_RSRC2:USER_SGPR: 2
; COMPUTE_PGM_RSRC2:TRAP_HANDLER: 0
; COMPUTE_PGM_RSRC2:TGID_X_EN: 1
; COMPUTE_PGM_RSRC2:TGID_Y_EN: 0
; COMPUTE_PGM_RSRC2:TGID_Z_EN: 0
; COMPUTE_PGM_RSRC2:TIDIG_COMP_CNT: 0
	.section	.text._ZN9rocsparseL19gebsrmvn_2xn_kernelILj128ELj10ELj64E21rocsparse_complex_numIfEEEvi20rocsparse_direction_NS_24const_host_device_scalarIT2_EEPKiS8_PKS5_SA_S6_PS5_21rocsparse_index_base_b,"axG",@progbits,_ZN9rocsparseL19gebsrmvn_2xn_kernelILj128ELj10ELj64E21rocsparse_complex_numIfEEEvi20rocsparse_direction_NS_24const_host_device_scalarIT2_EEPKiS8_PKS5_SA_S6_PS5_21rocsparse_index_base_b,comdat
	.globl	_ZN9rocsparseL19gebsrmvn_2xn_kernelILj128ELj10ELj64E21rocsparse_complex_numIfEEEvi20rocsparse_direction_NS_24const_host_device_scalarIT2_EEPKiS8_PKS5_SA_S6_PS5_21rocsparse_index_base_b ; -- Begin function _ZN9rocsparseL19gebsrmvn_2xn_kernelILj128ELj10ELj64E21rocsparse_complex_numIfEEEvi20rocsparse_direction_NS_24const_host_device_scalarIT2_EEPKiS8_PKS5_SA_S6_PS5_21rocsparse_index_base_b
	.p2align	8
	.type	_ZN9rocsparseL19gebsrmvn_2xn_kernelILj128ELj10ELj64E21rocsparse_complex_numIfEEEvi20rocsparse_direction_NS_24const_host_device_scalarIT2_EEPKiS8_PKS5_SA_S6_PS5_21rocsparse_index_base_b,@function
_ZN9rocsparseL19gebsrmvn_2xn_kernelILj128ELj10ELj64E21rocsparse_complex_numIfEEEvi20rocsparse_direction_NS_24const_host_device_scalarIT2_EEPKiS8_PKS5_SA_S6_PS5_21rocsparse_index_base_b: ; @_ZN9rocsparseL19gebsrmvn_2xn_kernelILj128ELj10ELj64E21rocsparse_complex_numIfEEEvi20rocsparse_direction_NS_24const_host_device_scalarIT2_EEPKiS8_PKS5_SA_S6_PS5_21rocsparse_index_base_b
; %bb.0:
	s_clause 0x2
	s_load_b64 s[12:13], s[0:1], 0x40
	s_load_b64 s[2:3], s[0:1], 0x8
	;; [unrolled: 1-line block ×3, first 2 shown]
	v_mov_b32_e32 v1, 0
	s_add_nc_u64 s[6:7], s[0:1], 8
	s_add_nc_u64 s[8:9], s[0:1], 48
	s_wait_kmcnt 0x0
	s_bitcmp1_b32 s13, 0
	s_cselect_b32 s3, s7, s3
	s_cselect_b32 s2, s6, s2
	;; [unrolled: 1-line block ×4, first 2 shown]
	s_clause 0x1
	flat_load_b64 v[2:3], v1, s[2:3]
	flat_load_b64 v[4:5], v1, s[4:5]
	s_wait_loadcnt_dscnt 0x101
	v_cmp_eq_f32_e32 vcc_lo, 0, v2
	v_cmp_eq_f32_e64 s2, 0, v3
	s_wait_loadcnt_dscnt 0x0
	v_cmp_eq_f32_e64 s3, 1.0, v4
	v_cmp_eq_f32_e64 s4, 0, v5
	s_and_b32 s2, vcc_lo, s2
	s_and_b32 s3, s3, s4
	s_delay_alu instid0(SALU_CYCLE_1) | instskip(NEXT) | instid1(SALU_CYCLE_1)
	s_and_b32 s2, s2, s3
	s_xor_b32 s2, s2, -1
	s_delay_alu instid0(SALU_CYCLE_1)
	s_and_saveexec_b32 s3, s2
	s_cbranch_execz .LBB196_19
; %bb.1:
	s_load_b64 s[2:3], s[0:1], 0x0
	s_bfe_u32 s4, ttmp6, 0x4000c
	s_and_b32 s5, ttmp6, 15
	s_add_co_i32 s4, s4, 1
	s_getreg_b32 s6, hwreg(HW_REG_IB_STS2, 6, 4)
	s_mul_i32 s4, ttmp9, s4
	v_lshrrev_b32_e32 v1, 6, v0
	s_add_co_i32 s5, s5, s4
	s_cmp_eq_u32 s6, 0
	s_cselect_b32 s4, ttmp9, s5
	s_delay_alu instid0(VALU_DEP_1) | instid1(SALU_CYCLE_1)
	v_lshl_or_b32 v6, s4, 1, v1
	s_wait_kmcnt 0x0
	s_delay_alu instid0(VALU_DEP_1)
	v_cmp_gt_i32_e32 vcc_lo, s2, v6
	s_and_b32 exec_lo, exec_lo, vcc_lo
	s_cbranch_execz .LBB196_19
; %bb.2:
	s_load_b256 s[4:11], s[0:1], 0x10
	v_ashrrev_i32_e32 v7, 31, v6
	s_cmp_lg_u32 s3, 0
	s_wait_kmcnt 0x0
	s_delay_alu instid0(VALU_DEP_1)
	v_lshl_add_u64 v[8:9], v[6:7], 2, s[4:5]
	v_and_b32_e32 v7, 63, v0
	global_load_b64 v[8:9], v[8:9], off
	s_wait_loadcnt 0x0
	v_subrev_nc_u32_e32 v0, s12, v8
	v_subrev_nc_u32_e32 v14, s12, v9
	s_delay_alu instid0(VALU_DEP_2) | instskip(NEXT) | instid1(VALU_DEP_1)
	v_add_nc_u32_e32 v15, v0, v7
	v_cmp_lt_i32_e64 s2, v15, v14
	s_cbranch_scc0 .LBB196_8
; %bb.3:
	v_mov_b32_e32 v9, 0
	s_delay_alu instid0(VALU_DEP_1)
	v_dual_mov_b32 v8, v9 :: v_dual_mov_b32 v1, v9
	v_mov_b32_e32 v0, v9
	s_and_saveexec_b32 s3, s2
	s_cbranch_execz .LBB196_7
; %bb.4:
	v_mad_u32 v12, v15, 20, 18
	v_dual_mov_b32 v11, 0 :: v_dual_mov_b32 v16, v15
	s_mov_b32 s4, 0
	s_delay_alu instid0(VALU_DEP_1)
	v_dual_mov_b32 v0, v11 :: v_dual_mov_b32 v1, v11
	v_dual_mov_b32 v8, v11 :: v_dual_mov_b32 v9, v11
.LBB196_5:                              ; =>This Inner Loop Header: Depth=1
	global_load_b32 v10, v16, s[6:7] scale_offset
	v_dual_mov_b32 v67, v11 :: v_dual_mov_b32 v13, v11
	s_wait_xcnt 0x0
	v_add_nc_u32_e32 v16, 64, v16
	s_delay_alu instid0(VALU_DEP_1) | instskip(SKIP_3) | instid1(VALU_DEP_1)
	v_cmp_ge_i32_e32 vcc_lo, v16, v14
	s_or_b32 s4, vcc_lo, s4
	s_wait_loadcnt 0x0
	v_subrev_nc_u32_e32 v10, s12, v10
	v_mul_lo_u32 v66, v10, 10
	v_subrev_nc_u32_e32 v10, 18, v12
	s_delay_alu instid0(VALU_DEP_1) | instskip(SKIP_1) | instid1(VALU_DEP_4)
	v_lshl_add_u64 v[26:27], v[10:11], 3, s[8:9]
	v_add_nc_u32_e32 v10, -14, v12
	v_lshl_add_u64 v[28:29], v[66:67], 3, s[10:11]
	global_load_b128 v[18:21], v[26:27], off
	global_load_b128 v[22:25], v[28:29], off
	global_load_b128 v[26:29], v[26:27], off offset:16
	v_lshl_add_u64 v[30:31], v[10:11], 3, s[8:9]
	v_add_nc_u32_e32 v10, 2, v66
	global_load_b128 v[30:33], v[30:31], off
	v_lshl_add_u64 v[34:35], v[10:11], 3, s[10:11]
	v_add_nc_u32_e32 v10, -12, v12
	global_load_b128 v[34:37], v[34:35], off
	s_wait_loadcnt 0x4
	v_mov_b32_e32 v79, v20
	v_lshl_add_u64 v[38:39], v[10:11], 3, s[8:9]
	v_add_nc_u32_e32 v10, -10, v12
	s_wait_loadcnt 0x3
	v_pk_fma_f32 v[8:9], v[18:19], v[22:23], v[8:9] op_sel_hi:[1,0,1]
	v_xor_b32_e32 v78, 0x80000000, v21
	v_pk_fma_f32 v[0:1], v[20:21], v[22:23], v[0:1] op_sel_hi:[1,0,1]
	global_load_b128 v[38:41], v[38:39], off
	v_pk_fma_f32 v[8:9], v[18:19], v[22:23], v[8:9] op_sel:[1,1,0] op_sel_hi:[0,1,1] neg_lo:[1,0,0]
	s_wait_loadcnt 0x3
	v_mov_b32_e32 v19, v28
	v_lshl_add_u64 v[50:51], v[10:11], 3, s[8:9]
	v_add_nc_u32_e32 v10, 4, v66
	v_pk_fma_f32 v[0:1], v[78:79], v[22:23], v[0:1] op_sel:[0,1,0]
	v_xor_b32_e32 v18, 0x80000000, v29
	v_pk_fma_f32 v[8:9], v[26:27], v[24:25], v[8:9] op_sel_hi:[1,0,1]
	s_delay_alu instid0(VALU_DEP_4)
	v_lshl_add_u64 v[52:53], v[10:11], 3, s[10:11]
	v_add_nc_u32_e32 v10, -8, v12
	global_load_b128 v[42:45], v[50:51], off
	global_load_b128 v[46:49], v[52:53], off
	v_pk_fma_f32 v[0:1], v[28:29], v[24:25], v[0:1] op_sel_hi:[1,0,1]
	s_wait_xcnt 0x1
	v_lshl_add_u64 v[50:51], v[10:11], 3, s[8:9]
	v_add_nc_u32_e32 v10, -6, v12
	global_load_b128 v[50:53], v[50:51], off
	v_lshl_add_u64 v[62:63], v[10:11], 3, s[8:9]
	v_add_nc_u32_e32 v10, 6, v66
	s_delay_alu instid0(VALU_DEP_1) | instskip(SKIP_4) | instid1(VALU_DEP_1)
	v_lshl_add_u64 v[64:65], v[10:11], 3, s[10:11]
	global_load_b128 v[54:57], v[62:63], off
	global_load_b128 v[58:61], v[64:65], off
	v_add_nc_u32_e32 v10, -4, v12
	s_wait_xcnt 0x1
	v_lshl_add_u64 v[62:63], v[10:11], 3, s[8:9]
	global_load_b128 v[62:65], v[62:63], off
	v_add_nc_u32_e32 v10, -2, v12
	s_delay_alu instid0(VALU_DEP_1) | instskip(SKIP_1) | instid1(VALU_DEP_1)
	v_lshl_add_u64 v[74:75], v[10:11], 3, s[8:9]
	v_add_nc_u32_e32 v10, 8, v66
	v_lshl_add_u64 v[76:77], v[10:11], 3, s[10:11]
	global_load_b128 v[66:69], v[74:75], off
	global_load_b128 v[70:73], v[76:77], off
	s_wait_xcnt 0x1
	v_lshl_add_u64 v[74:75], v[12:13], 3, s[8:9]
	v_mov_b32_e32 v10, v25
	v_add_nc_u32_e32 v12, 0x500, v12
	global_load_b128 v[74:77], v[74:75], off
	v_pk_fma_f32 v[8:9], v[26:27], v[10:11], v[8:9] op_sel:[1,0,0] op_sel_hi:[0,0,1] neg_lo:[1,0,0]
	v_pk_fma_f32 v[0:1], v[18:19], v[10:11], v[0:1] op_sel_hi:[1,0,1]
	s_wait_loadcnt 0xb
	v_xor_b32_e32 v18, 0x80000000, v33
	s_wait_loadcnt 0xa
	v_dual_mov_b32 v19, v32 :: v_dual_mov_b32 v10, v37
	v_pk_fma_f32 v[8:9], v[30:31], v[34:35], v[8:9] op_sel_hi:[1,0,1]
	v_pk_fma_f32 v[0:1], v[32:33], v[34:35], v[0:1] op_sel_hi:[1,0,1]
	s_delay_alu instid0(VALU_DEP_2) | instskip(NEXT) | instid1(VALU_DEP_2)
	v_pk_fma_f32 v[8:9], v[30:31], v[34:35], v[8:9] op_sel:[1,1,0] op_sel_hi:[0,1,1] neg_lo:[1,0,0]
	v_pk_fma_f32 v[0:1], v[18:19], v[34:35], v[0:1] op_sel:[0,1,0]
	s_wait_loadcnt 0x9
	v_xor_b32_e32 v18, 0x80000000, v41
	v_mov_b32_e32 v19, v40
	v_pk_fma_f32 v[8:9], v[38:39], v[36:37], v[8:9] op_sel_hi:[1,0,1]
	v_pk_fma_f32 v[0:1], v[40:41], v[36:37], v[0:1] op_sel_hi:[1,0,1]
	s_delay_alu instid0(VALU_DEP_2) | instskip(NEXT) | instid1(VALU_DEP_2)
	v_pk_fma_f32 v[8:9], v[38:39], v[10:11], v[8:9] op_sel:[1,0,0] op_sel_hi:[0,0,1] neg_lo:[1,0,0]
	v_pk_fma_f32 v[0:1], v[18:19], v[10:11], v[0:1] op_sel_hi:[1,0,1]
	s_wait_loadcnt 0x8
	v_xor_b32_e32 v18, 0x80000000, v45
	v_mov_b32_e32 v19, v44
	s_wait_loadcnt 0x7
	v_pk_fma_f32 v[8:9], v[42:43], v[46:47], v[8:9] op_sel_hi:[1,0,1]
	v_pk_fma_f32 v[0:1], v[44:45], v[46:47], v[0:1] op_sel_hi:[1,0,1]
	v_mov_b32_e32 v10, v49
	s_delay_alu instid0(VALU_DEP_3) | instskip(NEXT) | instid1(VALU_DEP_3)
	v_pk_fma_f32 v[8:9], v[42:43], v[46:47], v[8:9] op_sel:[1,1,0] op_sel_hi:[0,1,1] neg_lo:[1,0,0]
	v_pk_fma_f32 v[0:1], v[18:19], v[46:47], v[0:1] op_sel:[0,1,0]
	s_wait_loadcnt 0x6
	v_xor_b32_e32 v18, 0x80000000, v53
	v_mov_b32_e32 v19, v52
	v_pk_fma_f32 v[8:9], v[50:51], v[48:49], v[8:9] op_sel_hi:[1,0,1]
	v_pk_fma_f32 v[0:1], v[52:53], v[48:49], v[0:1] op_sel_hi:[1,0,1]
	s_delay_alu instid0(VALU_DEP_2) | instskip(NEXT) | instid1(VALU_DEP_2)
	v_pk_fma_f32 v[8:9], v[50:51], v[10:11], v[8:9] op_sel:[1,0,0] op_sel_hi:[0,0,1] neg_lo:[1,0,0]
	v_pk_fma_f32 v[0:1], v[18:19], v[10:11], v[0:1] op_sel_hi:[1,0,1]
	s_wait_loadcnt 0x5
	v_xor_b32_e32 v18, 0x80000000, v57
	s_wait_loadcnt 0x4
	v_dual_mov_b32 v19, v56 :: v_dual_mov_b32 v10, v61
	v_pk_fma_f32 v[8:9], v[54:55], v[58:59], v[8:9] op_sel_hi:[1,0,1]
	v_pk_fma_f32 v[0:1], v[56:57], v[58:59], v[0:1] op_sel_hi:[1,0,1]
	s_delay_alu instid0(VALU_DEP_2) | instskip(NEXT) | instid1(VALU_DEP_2)
	v_pk_fma_f32 v[8:9], v[54:55], v[58:59], v[8:9] op_sel:[1,1,0] op_sel_hi:[0,1,1] neg_lo:[1,0,0]
	v_pk_fma_f32 v[0:1], v[18:19], v[58:59], v[0:1] op_sel:[0,1,0]
	s_wait_loadcnt 0x3
	v_xor_b32_e32 v18, 0x80000000, v65
	v_mov_b32_e32 v19, v64
	v_pk_fma_f32 v[8:9], v[62:63], v[60:61], v[8:9] op_sel_hi:[1,0,1]
	v_pk_fma_f32 v[0:1], v[64:65], v[60:61], v[0:1] op_sel_hi:[1,0,1]
	s_delay_alu instid0(VALU_DEP_2) | instskip(NEXT) | instid1(VALU_DEP_2)
	v_pk_fma_f32 v[8:9], v[62:63], v[10:11], v[8:9] op_sel:[1,0,0] op_sel_hi:[0,0,1] neg_lo:[1,0,0]
	v_pk_fma_f32 v[0:1], v[18:19], v[10:11], v[0:1] op_sel_hi:[1,0,1]
	s_wait_loadcnt 0x2
	v_xor_b32_e32 v18, 0x80000000, v69
	v_mov_b32_e32 v19, v68
	s_wait_loadcnt 0x1
	v_pk_fma_f32 v[8:9], v[66:67], v[70:71], v[8:9] op_sel_hi:[1,0,1]
	v_pk_fma_f32 v[0:1], v[68:69], v[70:71], v[0:1] op_sel_hi:[1,0,1]
	v_mov_b32_e32 v10, v73
	s_delay_alu instid0(VALU_DEP_3) | instskip(NEXT) | instid1(VALU_DEP_3)
	v_pk_fma_f32 v[8:9], v[66:67], v[70:71], v[8:9] op_sel:[1,1,0] op_sel_hi:[0,1,1] neg_lo:[1,0,0]
	v_pk_fma_f32 v[0:1], v[18:19], v[70:71], v[0:1] op_sel:[0,1,0]
	s_wait_loadcnt 0x0
	v_xor_b32_e32 v18, 0x80000000, v77
	v_mov_b32_e32 v19, v76
	v_pk_fma_f32 v[8:9], v[74:75], v[72:73], v[8:9] op_sel_hi:[1,0,1]
	v_pk_fma_f32 v[0:1], v[76:77], v[72:73], v[0:1] op_sel_hi:[1,0,1]
	s_delay_alu instid0(VALU_DEP_2) | instskip(NEXT) | instid1(VALU_DEP_2)
	v_pk_fma_f32 v[8:9], v[74:75], v[10:11], v[8:9] op_sel:[1,0,0] op_sel_hi:[0,0,1] neg_lo:[1,0,0]
	v_pk_fma_f32 v[0:1], v[18:19], v[10:11], v[0:1] op_sel_hi:[1,0,1]
	s_and_not1_b32 exec_lo, exec_lo, s4
	s_cbranch_execnz .LBB196_5
; %bb.6:
	s_or_b32 exec_lo, exec_lo, s4
.LBB196_7:
	s_delay_alu instid0(SALU_CYCLE_1)
	s_or_b32 exec_lo, exec_lo, s3
	s_cbranch_execz .LBB196_9
	s_branch .LBB196_14
.LBB196_8:
                                        ; implicit-def: $vgpr9
                                        ; implicit-def: $vgpr1
.LBB196_9:
	v_mov_b32_e32 v9, 0
	s_delay_alu instid0(VALU_DEP_1)
	v_dual_mov_b32 v8, v9 :: v_dual_mov_b32 v1, v9
	v_mov_b32_e32 v0, v9
	s_and_saveexec_b32 s3, s2
	s_cbranch_execz .LBB196_13
; %bb.10:
	v_mad_u32 v12, v15, 20, 19
	v_mov_b32_e32 v11, 0
	s_mov_b32 s2, 0
	s_delay_alu instid0(VALU_DEP_1)
	v_dual_mov_b32 v0, v11 :: v_dual_mov_b32 v1, v11
	v_dual_mov_b32 v8, v11 :: v_dual_mov_b32 v9, v11
.LBB196_11:                             ; =>This Inner Loop Header: Depth=1
	global_load_b32 v13, v15, s[6:7] scale_offset
	v_subrev_nc_u32_e32 v10, 19, v12
	v_dual_mov_b32 v37, v11 :: v_dual_add_nc_u32 v20, -9, v12
	v_dual_add_nc_u32 v26, -8, v12 :: v_dual_add_nc_u32 v44, -7, v12
	s_delay_alu instid0(VALU_DEP_3)
	v_lshl_add_u64 v[32:33], v[10:11], 3, s[8:9]
	v_dual_add_nc_u32 v52, -6, v12 :: v_dual_add_nc_u32 v53, -15, v12
	s_clause 0x1
	global_load_b64 v[38:39], v20, s[8:9] scale_offset
	global_load_b128 v[16:19], v[32:33], off
	v_dual_add_nc_u32 v68, -3, v12 :: v_dual_add_nc_u32 v69, -2, v12
	v_dual_add_nc_u32 v58, -5, v12 :: v_dual_add_nc_u32 v59, -13, v12
	s_wait_xcnt 0x2
	v_add_nc_u32_e32 v15, 64, v15
	s_delay_alu instid0(VALU_DEP_1) | instskip(SKIP_4) | instid1(VALU_DEP_2)
	v_cmp_ge_i32_e32 vcc_lo, v15, v14
	s_or_b32 s2, vcc_lo, s2
	s_wait_loadcnt 0x2
	v_subrev_nc_u32_e32 v10, s12, v13
	v_add_nc_u32_e32 v13, -14, v12
	v_mul_lo_u32 v36, v10, 10
	s_wait_loadcnt 0x0
	v_mov_b32_e32 v61, v18
	v_xor_b32_e32 v60, 0x80000000, v19
	s_delay_alu instid0(VALU_DEP_3) | instskip(SKIP_4) | instid1(VALU_DEP_2)
	v_lshl_add_u64 v[24:25], v[36:37], 3, s[10:11]
	global_load_b128 v[20:23], v[24:25], off
	global_load_b64 v[40:41], v26, s[8:9] scale_offset
	v_add_nc_u32_e32 v10, 2, v36
	v_dual_add_nc_u32 v37, -4, v12 :: v_dual_add_nc_u32 v70, -1, v12
	v_lshl_add_u64 v[34:35], v[10:11], 3, s[10:11]
	s_clause 0x1
	global_load_b64 v[42:43], v44, s[8:9] scale_offset
	global_load_b128 v[24:27], v[32:33], off offset:16
	global_load_b128 v[28:31], v[34:35], off
	s_wait_xcnt 0x1
	v_dual_add_nc_u32 v10, -12, v12 :: v_dual_add_nc_u32 v32, -11, v12
	s_clause 0x3
	global_load_b64 v[44:45], v53, s[8:9] scale_offset
	global_load_b64 v[46:47], v52, s[8:9] scale_offset
	;; [unrolled: 1-line block ×4, first 2 shown]
	s_wait_xcnt 0x1
	v_add_nc_u32_e32 v10, 4, v36
	s_clause 0x3
	global_load_b64 v[52:53], v58, s[8:9] scale_offset
	global_load_b64 v[54:55], v13, s[8:9] scale_offset
	;; [unrolled: 1-line block ×4, first 2 shown]
	v_add_nc_u32_e32 v13, -10, v12
	v_lshl_add_u64 v[32:33], v[10:11], 3, s[10:11]
	v_add_nc_u32_e32 v10, 6, v36
	global_load_b128 v[32:35], v[32:33], off
	v_lshl_add_u64 v[62:63], v[10:11], 3, s[10:11]
	v_add_nc_u32_e32 v10, 8, v36
	s_wait_xcnt 0x1
	s_delay_alu instid0(VALU_DEP_1) | instskip(SKIP_4) | instid1(VALU_DEP_3)
	v_lshl_add_u64 v[36:37], v[10:11], 3, s[10:11]
	s_wait_loadcnt 0xd
	v_pk_fma_f32 v[8:9], v[16:17], v[20:21], v[8:9] op_sel_hi:[1,0,1]
	v_pk_fma_f32 v[0:1], v[38:39], v[20:21], v[0:1] op_sel_hi:[1,0,1]
	v_mov_b32_e32 v10, v23
	v_pk_fma_f32 v[8:9], v[16:17], v[20:21], v[8:9] op_sel:[1,1,0] op_sel_hi:[0,1,1] neg_lo:[1,0,0]
	s_delay_alu instid0(VALU_DEP_3) | instskip(NEXT) | instid1(VALU_DEP_2)
	v_pk_fma_f32 v[0:1], v[38:39], v[20:21], v[0:1] op_sel:[1,1,0] op_sel_hi:[0,1,1] neg_lo:[1,0,0]
	v_pk_fma_f32 v[8:9], v[18:19], v[22:23], v[8:9] op_sel_hi:[1,0,1]
	s_clause 0x1
	global_load_b64 v[64:65], v69, s[8:9] scale_offset
	global_load_b64 v[66:67], v68, s[8:9] scale_offset
	global_load_b128 v[16:19], v[62:63], off
	global_load_b64 v[38:39], v70, s[8:9] scale_offset
	s_wait_loadcnt 0x10
	v_pk_fma_f32 v[0:1], v[40:41], v[22:23], v[0:1] op_sel_hi:[1,0,1]
	global_load_b128 v[20:23], v[36:37], off
	v_pk_fma_f32 v[8:9], v[60:61], v[10:11], v[8:9] op_sel_hi:[1,0,1]
	global_load_b64 v[36:37], v12, s[8:9] scale_offset
	v_pk_fma_f32 v[0:1], v[40:41], v[10:11], v[0:1] op_sel:[1,0,0] op_sel_hi:[0,0,1] neg_lo:[1,0,0]
	s_wait_loadcnt 0xf
	v_mov_b32_e32 v10, v31
	global_load_b64 v[40:41], v13, s[8:9] scale_offset
	v_pk_fma_f32 v[8:9], v[24:25], v[28:29], v[8:9] op_sel_hi:[1,0,1]
	s_wait_xcnt 0x1
	v_add_nc_u32_e32 v12, 0x500, v12
	v_pk_fma_f32 v[0:1], v[42:43], v[28:29], v[0:1] op_sel_hi:[1,0,1]
	s_delay_alu instid0(VALU_DEP_3) | instskip(SKIP_1) | instid1(VALU_DEP_3)
	v_pk_fma_f32 v[8:9], v[24:25], v[28:29], v[8:9] op_sel:[1,1,0] op_sel_hi:[0,1,1] neg_lo:[1,0,0]
	v_xor_b32_e32 v24, 0x80000000, v27
	v_pk_fma_f32 v[0:1], v[42:43], v[28:29], v[0:1] op_sel:[1,1,0] op_sel_hi:[0,1,1] neg_lo:[1,0,0]
	v_mov_b32_e32 v25, v26
	s_delay_alu instid0(VALU_DEP_4) | instskip(SKIP_1) | instid1(VALU_DEP_3)
	v_pk_fma_f32 v[8:9], v[26:27], v[30:31], v[8:9] op_sel_hi:[1,0,1]
	s_wait_loadcnt 0xe
	v_pk_fma_f32 v[0:1], v[46:47], v[30:31], v[0:1] op_sel_hi:[1,0,1]
	s_delay_alu instid0(VALU_DEP_2) | instskip(NEXT) | instid1(VALU_DEP_2)
	v_pk_fma_f32 v[8:9], v[24:25], v[10:11], v[8:9] op_sel_hi:[1,0,1]
	v_pk_fma_f32 v[0:1], v[46:47], v[10:11], v[0:1] op_sel:[1,0,0] op_sel_hi:[0,0,1] neg_lo:[1,0,0]
	s_wait_loadcnt 0x7
	v_mov_b32_e32 v10, v35
	s_delay_alu instid0(VALU_DEP_3) | instskip(NEXT) | instid1(VALU_DEP_3)
	v_pk_fma_f32 v[8:9], v[44:45], v[32:33], v[8:9] op_sel_hi:[1,0,1]
	v_pk_fma_f32 v[0:1], v[52:53], v[32:33], v[0:1] op_sel_hi:[1,0,1]
	s_delay_alu instid0(VALU_DEP_2) | instskip(NEXT) | instid1(VALU_DEP_2)
	v_pk_fma_f32 v[8:9], v[44:45], v[32:33], v[8:9] op_sel:[1,1,0] op_sel_hi:[0,1,1] neg_lo:[1,0,0]
	v_pk_fma_f32 v[0:1], v[52:53], v[32:33], v[0:1] op_sel:[1,1,0] op_sel_hi:[0,1,1] neg_lo:[1,0,0]
	s_delay_alu instid0(VALU_DEP_2) | instskip(NEXT) | instid1(VALU_DEP_2)
	v_pk_fma_f32 v[8:9], v[54:55], v[34:35], v[8:9] op_sel_hi:[1,0,1]
	v_pk_fma_f32 v[0:1], v[58:59], v[34:35], v[0:1] op_sel_hi:[1,0,1]
	s_delay_alu instid0(VALU_DEP_2) | instskip(NEXT) | instid1(VALU_DEP_2)
	v_pk_fma_f32 v[8:9], v[54:55], v[10:11], v[8:9] op_sel:[1,0,0] op_sel_hi:[0,0,1] neg_lo:[1,0,0]
	v_pk_fma_f32 v[0:1], v[58:59], v[10:11], v[0:1] op_sel:[1,0,0] op_sel_hi:[0,0,1] neg_lo:[1,0,0]
	s_wait_loadcnt 0x4
	s_delay_alu instid0(VALU_DEP_2) | instskip(NEXT) | instid1(VALU_DEP_2)
	v_pk_fma_f32 v[8:9], v[56:57], v[16:17], v[8:9] op_sel_hi:[1,0,1]
	v_pk_fma_f32 v[0:1], v[66:67], v[16:17], v[0:1] op_sel_hi:[1,0,1]
	v_mov_b32_e32 v10, v19
	s_delay_alu instid0(VALU_DEP_3) | instskip(NEXT) | instid1(VALU_DEP_3)
	v_pk_fma_f32 v[8:9], v[56:57], v[16:17], v[8:9] op_sel:[1,1,0] op_sel_hi:[0,1,1] neg_lo:[1,0,0]
	v_pk_fma_f32 v[0:1], v[66:67], v[16:17], v[0:1] op_sel:[1,1,0] op_sel_hi:[0,1,1] neg_lo:[1,0,0]
	s_delay_alu instid0(VALU_DEP_2) | instskip(NEXT) | instid1(VALU_DEP_2)
	v_pk_fma_f32 v[8:9], v[48:49], v[18:19], v[8:9] op_sel_hi:[1,0,1]
	v_pk_fma_f32 v[0:1], v[64:65], v[18:19], v[0:1] op_sel_hi:[1,0,1]
	s_delay_alu instid0(VALU_DEP_2) | instskip(NEXT) | instid1(VALU_DEP_2)
	v_pk_fma_f32 v[8:9], v[48:49], v[10:11], v[8:9] op_sel:[1,0,0] op_sel_hi:[0,0,1] neg_lo:[1,0,0]
	v_pk_fma_f32 v[0:1], v[64:65], v[10:11], v[0:1] op_sel:[1,0,0] op_sel_hi:[0,0,1] neg_lo:[1,0,0]
	s_wait_loadcnt 0x2
	v_mov_b32_e32 v10, v23
	s_delay_alu instid0(VALU_DEP_3) | instskip(NEXT) | instid1(VALU_DEP_3)
	v_pk_fma_f32 v[8:9], v[50:51], v[20:21], v[8:9] op_sel_hi:[1,0,1]
	v_pk_fma_f32 v[0:1], v[38:39], v[20:21], v[0:1] op_sel_hi:[1,0,1]
	s_delay_alu instid0(VALU_DEP_2) | instskip(NEXT) | instid1(VALU_DEP_2)
	v_pk_fma_f32 v[8:9], v[50:51], v[20:21], v[8:9] op_sel:[1,1,0] op_sel_hi:[0,1,1] neg_lo:[1,0,0]
	v_pk_fma_f32 v[0:1], v[38:39], v[20:21], v[0:1] op_sel:[1,1,0] op_sel_hi:[0,1,1] neg_lo:[1,0,0]
	s_wait_loadcnt 0x0
	s_delay_alu instid0(VALU_DEP_2) | instskip(NEXT) | instid1(VALU_DEP_2)
	v_pk_fma_f32 v[8:9], v[40:41], v[22:23], v[8:9] op_sel_hi:[1,0,1]
	v_pk_fma_f32 v[0:1], v[36:37], v[22:23], v[0:1] op_sel_hi:[1,0,1]
	s_delay_alu instid0(VALU_DEP_2) | instskip(NEXT) | instid1(VALU_DEP_2)
	v_pk_fma_f32 v[8:9], v[40:41], v[10:11], v[8:9] op_sel:[1,0,0] op_sel_hi:[0,0,1] neg_lo:[1,0,0]
	v_pk_fma_f32 v[0:1], v[36:37], v[10:11], v[0:1] op_sel:[1,0,0] op_sel_hi:[0,0,1] neg_lo:[1,0,0]
	s_and_not1_b32 exec_lo, exec_lo, s2
	s_cbranch_execnz .LBB196_11
; %bb.12:
	s_or_b32 exec_lo, exec_lo, s2
.LBB196_13:
	s_delay_alu instid0(SALU_CYCLE_1)
	s_or_b32 exec_lo, exec_lo, s3
.LBB196_14:
	v_mbcnt_lo_u32_b32 v10, -1, 0
	s_delay_alu instid0(VALU_DEP_1) | instskip(SKIP_1) | instid1(VALU_DEP_1)
	v_xor_b32_e32 v15, 16, v10
	v_or_b32_e32 v11, 32, v10
	v_cmp_gt_i32_e32 vcc_lo, 32, v11
	v_cndmask_b32_e32 v11, v10, v11, vcc_lo
	s_delay_alu instid0(VALU_DEP_1)
	v_lshlrev_b32_e32 v11, 2, v11
	ds_bpermute_b32 v13, v11, v9
	s_wait_dscnt 0x0
	v_add_f32_e32 v9, v9, v13
	ds_bpermute_b32 v12, v11, v8
	ds_bpermute_b32 v14, v11, v0
	;; [unrolled: 1-line block ×3, first 2 shown]
	s_wait_dscnt 0x2
	v_add_f32_e32 v8, v8, v12
	s_wait_dscnt 0x0
	v_dual_add_f32 v0, v0, v14 :: v_dual_add_f32 v1, v1, v11
	v_cmp_gt_i32_e32 vcc_lo, 32, v15
	v_cndmask_b32_e32 v15, v10, v15, vcc_lo
	s_delay_alu instid0(VALU_DEP_1)
	v_lshlrev_b32_e32 v15, 2, v15
	ds_bpermute_b32 v11, v15, v8
	ds_bpermute_b32 v12, v15, v9
	ds_bpermute_b32 v13, v15, v0
	ds_bpermute_b32 v14, v15, v1
	s_wait_dscnt 0x3
	v_dual_add_f32 v8, v8, v11 :: v_dual_bitop2_b32 v15, 8, v10 bitop3:0x14
	s_delay_alu instid0(VALU_DEP_1)
	v_cmp_gt_i32_e32 vcc_lo, 32, v15
	s_wait_dscnt 0x2
	v_add_f32_e32 v9, v9, v12
	s_wait_dscnt 0x0
	v_dual_add_f32 v1, v1, v14 :: v_dual_add_f32 v0, v0, v13
	v_cndmask_b32_e32 v15, v10, v15, vcc_lo
	s_delay_alu instid0(VALU_DEP_1)
	v_lshlrev_b32_e32 v15, 2, v15
	ds_bpermute_b32 v11, v15, v8
	ds_bpermute_b32 v12, v15, v9
	;; [unrolled: 1-line block ×4, first 2 shown]
	s_wait_dscnt 0x3
	v_dual_add_f32 v8, v8, v11 :: v_dual_bitop2_b32 v15, 4, v10 bitop3:0x14
	s_delay_alu instid0(VALU_DEP_1) | instskip(SKIP_4) | instid1(VALU_DEP_2)
	v_cmp_gt_i32_e32 vcc_lo, 32, v15
	s_wait_dscnt 0x2
	v_dual_add_f32 v9, v9, v12 :: v_dual_cndmask_b32 v15, v10, v15, vcc_lo
	s_wait_dscnt 0x0
	v_dual_add_f32 v0, v0, v13 :: v_dual_add_f32 v1, v1, v14
	v_lshlrev_b32_e32 v15, 2, v15
	ds_bpermute_b32 v11, v15, v8
	ds_bpermute_b32 v12, v15, v9
	;; [unrolled: 1-line block ×4, first 2 shown]
	s_wait_dscnt 0x3
	v_dual_add_f32 v8, v8, v11 :: v_dual_bitop2_b32 v15, 2, v10 bitop3:0x14
	s_delay_alu instid0(VALU_DEP_1) | instskip(SKIP_4) | instid1(VALU_DEP_1)
	v_cmp_gt_i32_e32 vcc_lo, 32, v15
	s_wait_dscnt 0x1
	v_dual_add_f32 v9, v9, v12 :: v_dual_add_f32 v11, v0, v13
	s_wait_dscnt 0x0
	v_dual_add_f32 v12, v1, v14 :: v_dual_cndmask_b32 v15, v10, v15
	v_lshlrev_b32_e32 v15, 2, v15
	ds_bpermute_b32 v0, v15, v8
	ds_bpermute_b32 v1, v15, v9
	;; [unrolled: 1-line block ×4, first 2 shown]
	s_wait_dscnt 0x3
	v_dual_add_f32 v0, v8, v0 :: v_dual_bitop2_b32 v15, 1, v10 bitop3:0x14
	s_delay_alu instid0(VALU_DEP_1)
	v_cmp_gt_i32_e32 vcc_lo, 32, v15
	s_wait_dscnt 0x2
	v_dual_add_f32 v8, v9, v1 :: v_dual_cndmask_b32 v10, v10, v15, vcc_lo
	s_wait_dscnt 0x0
	v_dual_add_f32 v1, v11, v13 :: v_dual_add_f32 v9, v12, v14
	v_cmp_eq_u32_e32 vcc_lo, 63, v7
	s_delay_alu instid0(VALU_DEP_3)
	v_lshlrev_b32_e32 v15, 2, v10
	ds_bpermute_b32 v12, v15, v0
	ds_bpermute_b32 v13, v15, v8
	;; [unrolled: 1-line block ×4, first 2 shown]
	s_and_b32 exec_lo, exec_lo, vcc_lo
	s_cbranch_execz .LBB196_19
; %bb.15:
	s_load_b64 s[2:3], s[0:1], 0x38
	v_cmp_eq_f32_e32 vcc_lo, 0, v4
	s_wait_xcnt 0x0
	v_cmp_eq_f32_e64 s0, 0, v5
	s_wait_dscnt 0x3
	v_add_f32_e32 v0, v0, v12
	s_wait_dscnt 0x1
	v_dual_add_f32 v12, v8, v13 :: v_dual_add_f32 v8, v1, v10
	s_wait_dscnt 0x0
	v_add_f32_e32 v10, v9, v11
	s_and_b32 s0, vcc_lo, s0
	s_delay_alu instid0(SALU_CYCLE_1) | instskip(NEXT) | instid1(SALU_CYCLE_1)
	s_and_saveexec_b32 s1, s0
	s_xor_b32 s0, exec_lo, s1
	s_cbranch_execz .LBB196_17
; %bb.16:
	v_xor_b32_e32 v4, 0x80000000, v3
	v_dual_mov_b32 v5, v2 :: v_dual_lshlrev_b32 v6, 1, v6
	s_delay_alu instid0(VALU_DEP_1) | instskip(NEXT) | instid1(VALU_DEP_2)
	v_ashrrev_i32_e32 v7, 31, v6
	v_pk_mul_f32 v[12:13], v[12:13], v[4:5] op_sel_hi:[0,1]
	v_pk_mul_f32 v[4:5], v[10:11], v[4:5] op_sel_hi:[0,1]
                                        ; implicit-def: $vgpr10
	s_wait_kmcnt 0x0
	s_delay_alu instid0(VALU_DEP_3) | instskip(NEXT) | instid1(VALU_DEP_3)
	v_lshl_add_u64 v[6:7], v[6:7], 3, s[2:3]
	v_pk_fma_f32 v[0:1], v[2:3], v[0:1], v[12:13] op_sel_hi:[1,0,1]
	s_delay_alu instid0(VALU_DEP_3)
	v_pk_fma_f32 v[2:3], v[2:3], v[8:9], v[4:5] op_sel_hi:[1,0,1]
                                        ; implicit-def: $vgpr4_vgpr5
                                        ; implicit-def: $vgpr12
                                        ; implicit-def: $vgpr8
	global_store_b128 v[6:7], v[0:3], off
                                        ; implicit-def: $vgpr6
                                        ; implicit-def: $vgpr2_vgpr3
                                        ; implicit-def: $vgpr0
.LBB196_17:
	s_wait_xcnt 0x0
	s_and_not1_saveexec_b32 s0, s0
	s_cbranch_execz .LBB196_19
; %bb.18:
	v_dual_mov_b32 v19, v2 :: v_dual_lshlrev_b32 v6, 1, v6
	v_xor_b32_e32 v18, 0x80000000, v3
	s_delay_alu instid0(VALU_DEP_2) | instskip(NEXT) | instid1(VALU_DEP_2)
	v_ashrrev_i32_e32 v7, 31, v6
	v_pk_mul_f32 v[12:13], v[12:13], v[18:19] op_sel_hi:[0,1]
	v_pk_mul_f32 v[10:11], v[10:11], v[18:19] op_sel_hi:[0,1]
	s_delay_alu instid0(VALU_DEP_2) | instskip(NEXT) | instid1(VALU_DEP_2)
	v_pk_fma_f32 v[0:1], v[2:3], v[0:1], v[12:13] op_sel_hi:[1,0,1]
	v_pk_fma_f32 v[2:3], v[2:3], v[8:9], v[10:11] op_sel_hi:[1,0,1]
	v_mov_b32_e32 v9, v4
	s_wait_kmcnt 0x0
	v_lshl_add_u64 v[6:7], v[6:7], 3, s[2:3]
	v_xor_b32_e32 v8, 0x80000000, v5
	global_load_b128 v[14:17], v[6:7], off
	s_wait_loadcnt 0x0
	v_pk_fma_f32 v[0:1], v[4:5], v[14:15], v[0:1] op_sel_hi:[1,0,1]
	v_pk_fma_f32 v[2:3], v[4:5], v[16:17], v[2:3] op_sel_hi:[1,0,1]
	v_mov_b32_e32 v4, v17
	s_delay_alu instid0(VALU_DEP_3) | instskip(NEXT) | instid1(VALU_DEP_2)
	v_pk_fma_f32 v[0:1], v[8:9], v[14:15], v[0:1] op_sel:[0,1,0]
	v_pk_fma_f32 v[2:3], v[8:9], v[4:5], v[2:3] op_sel_hi:[1,0,1]
	global_store_b128 v[6:7], v[0:3], off
.LBB196_19:
	s_sendmsg sendmsg(MSG_DEALLOC_VGPRS)
	s_endpgm
	.section	.rodata,"a",@progbits
	.p2align	6, 0x0
	.amdhsa_kernel _ZN9rocsparseL19gebsrmvn_2xn_kernelILj128ELj10ELj64E21rocsparse_complex_numIfEEEvi20rocsparse_direction_NS_24const_host_device_scalarIT2_EEPKiS8_PKS5_SA_S6_PS5_21rocsparse_index_base_b
		.amdhsa_group_segment_fixed_size 0
		.amdhsa_private_segment_fixed_size 0
		.amdhsa_kernarg_size 72
		.amdhsa_user_sgpr_count 2
		.amdhsa_user_sgpr_dispatch_ptr 0
		.amdhsa_user_sgpr_queue_ptr 0
		.amdhsa_user_sgpr_kernarg_segment_ptr 1
		.amdhsa_user_sgpr_dispatch_id 0
		.amdhsa_user_sgpr_kernarg_preload_length 0
		.amdhsa_user_sgpr_kernarg_preload_offset 0
		.amdhsa_user_sgpr_private_segment_size 0
		.amdhsa_wavefront_size32 1
		.amdhsa_uses_dynamic_stack 0
		.amdhsa_enable_private_segment 0
		.amdhsa_system_sgpr_workgroup_id_x 1
		.amdhsa_system_sgpr_workgroup_id_y 0
		.amdhsa_system_sgpr_workgroup_id_z 0
		.amdhsa_system_sgpr_workgroup_info 0
		.amdhsa_system_vgpr_workitem_id 0
		.amdhsa_next_free_vgpr 80
		.amdhsa_next_free_sgpr 14
		.amdhsa_named_barrier_count 0
		.amdhsa_reserve_vcc 1
		.amdhsa_float_round_mode_32 0
		.amdhsa_float_round_mode_16_64 0
		.amdhsa_float_denorm_mode_32 3
		.amdhsa_float_denorm_mode_16_64 3
		.amdhsa_fp16_overflow 0
		.amdhsa_memory_ordered 1
		.amdhsa_forward_progress 1
		.amdhsa_inst_pref_size 27
		.amdhsa_round_robin_scheduling 0
		.amdhsa_exception_fp_ieee_invalid_op 0
		.amdhsa_exception_fp_denorm_src 0
		.amdhsa_exception_fp_ieee_div_zero 0
		.amdhsa_exception_fp_ieee_overflow 0
		.amdhsa_exception_fp_ieee_underflow 0
		.amdhsa_exception_fp_ieee_inexact 0
		.amdhsa_exception_int_div_zero 0
	.end_amdhsa_kernel
	.section	.text._ZN9rocsparseL19gebsrmvn_2xn_kernelILj128ELj10ELj64E21rocsparse_complex_numIfEEEvi20rocsparse_direction_NS_24const_host_device_scalarIT2_EEPKiS8_PKS5_SA_S6_PS5_21rocsparse_index_base_b,"axG",@progbits,_ZN9rocsparseL19gebsrmvn_2xn_kernelILj128ELj10ELj64E21rocsparse_complex_numIfEEEvi20rocsparse_direction_NS_24const_host_device_scalarIT2_EEPKiS8_PKS5_SA_S6_PS5_21rocsparse_index_base_b,comdat
.Lfunc_end196:
	.size	_ZN9rocsparseL19gebsrmvn_2xn_kernelILj128ELj10ELj64E21rocsparse_complex_numIfEEEvi20rocsparse_direction_NS_24const_host_device_scalarIT2_EEPKiS8_PKS5_SA_S6_PS5_21rocsparse_index_base_b, .Lfunc_end196-_ZN9rocsparseL19gebsrmvn_2xn_kernelILj128ELj10ELj64E21rocsparse_complex_numIfEEEvi20rocsparse_direction_NS_24const_host_device_scalarIT2_EEPKiS8_PKS5_SA_S6_PS5_21rocsparse_index_base_b
                                        ; -- End function
	.set _ZN9rocsparseL19gebsrmvn_2xn_kernelILj128ELj10ELj64E21rocsparse_complex_numIfEEEvi20rocsparse_direction_NS_24const_host_device_scalarIT2_EEPKiS8_PKS5_SA_S6_PS5_21rocsparse_index_base_b.num_vgpr, 80
	.set _ZN9rocsparseL19gebsrmvn_2xn_kernelILj128ELj10ELj64E21rocsparse_complex_numIfEEEvi20rocsparse_direction_NS_24const_host_device_scalarIT2_EEPKiS8_PKS5_SA_S6_PS5_21rocsparse_index_base_b.num_agpr, 0
	.set _ZN9rocsparseL19gebsrmvn_2xn_kernelILj128ELj10ELj64E21rocsparse_complex_numIfEEEvi20rocsparse_direction_NS_24const_host_device_scalarIT2_EEPKiS8_PKS5_SA_S6_PS5_21rocsparse_index_base_b.numbered_sgpr, 14
	.set _ZN9rocsparseL19gebsrmvn_2xn_kernelILj128ELj10ELj64E21rocsparse_complex_numIfEEEvi20rocsparse_direction_NS_24const_host_device_scalarIT2_EEPKiS8_PKS5_SA_S6_PS5_21rocsparse_index_base_b.num_named_barrier, 0
	.set _ZN9rocsparseL19gebsrmvn_2xn_kernelILj128ELj10ELj64E21rocsparse_complex_numIfEEEvi20rocsparse_direction_NS_24const_host_device_scalarIT2_EEPKiS8_PKS5_SA_S6_PS5_21rocsparse_index_base_b.private_seg_size, 0
	.set _ZN9rocsparseL19gebsrmvn_2xn_kernelILj128ELj10ELj64E21rocsparse_complex_numIfEEEvi20rocsparse_direction_NS_24const_host_device_scalarIT2_EEPKiS8_PKS5_SA_S6_PS5_21rocsparse_index_base_b.uses_vcc, 1
	.set _ZN9rocsparseL19gebsrmvn_2xn_kernelILj128ELj10ELj64E21rocsparse_complex_numIfEEEvi20rocsparse_direction_NS_24const_host_device_scalarIT2_EEPKiS8_PKS5_SA_S6_PS5_21rocsparse_index_base_b.uses_flat_scratch, 1
	.set _ZN9rocsparseL19gebsrmvn_2xn_kernelILj128ELj10ELj64E21rocsparse_complex_numIfEEEvi20rocsparse_direction_NS_24const_host_device_scalarIT2_EEPKiS8_PKS5_SA_S6_PS5_21rocsparse_index_base_b.has_dyn_sized_stack, 0
	.set _ZN9rocsparseL19gebsrmvn_2xn_kernelILj128ELj10ELj64E21rocsparse_complex_numIfEEEvi20rocsparse_direction_NS_24const_host_device_scalarIT2_EEPKiS8_PKS5_SA_S6_PS5_21rocsparse_index_base_b.has_recursion, 0
	.set _ZN9rocsparseL19gebsrmvn_2xn_kernelILj128ELj10ELj64E21rocsparse_complex_numIfEEEvi20rocsparse_direction_NS_24const_host_device_scalarIT2_EEPKiS8_PKS5_SA_S6_PS5_21rocsparse_index_base_b.has_indirect_call, 0
	.section	.AMDGPU.csdata,"",@progbits
; Kernel info:
; codeLenInByte = 3340
; TotalNumSgprs: 16
; NumVgprs: 80
; ScratchSize: 0
; MemoryBound: 0
; FloatMode: 240
; IeeeMode: 1
; LDSByteSize: 0 bytes/workgroup (compile time only)
; SGPRBlocks: 0
; VGPRBlocks: 4
; NumSGPRsForWavesPerEU: 16
; NumVGPRsForWavesPerEU: 80
; NamedBarCnt: 0
; Occupancy: 12
; WaveLimiterHint : 1
; COMPUTE_PGM_RSRC2:SCRATCH_EN: 0
; COMPUTE_PGM_RSRC2:USER_SGPR: 2
; COMPUTE_PGM_RSRC2:TRAP_HANDLER: 0
; COMPUTE_PGM_RSRC2:TGID_X_EN: 1
; COMPUTE_PGM_RSRC2:TGID_Y_EN: 0
; COMPUTE_PGM_RSRC2:TGID_Z_EN: 0
; COMPUTE_PGM_RSRC2:TIDIG_COMP_CNT: 0
	.section	.text._ZN9rocsparseL19gebsrmvn_2xn_kernelILj128ELj11ELj4E21rocsparse_complex_numIfEEEvi20rocsparse_direction_NS_24const_host_device_scalarIT2_EEPKiS8_PKS5_SA_S6_PS5_21rocsparse_index_base_b,"axG",@progbits,_ZN9rocsparseL19gebsrmvn_2xn_kernelILj128ELj11ELj4E21rocsparse_complex_numIfEEEvi20rocsparse_direction_NS_24const_host_device_scalarIT2_EEPKiS8_PKS5_SA_S6_PS5_21rocsparse_index_base_b,comdat
	.globl	_ZN9rocsparseL19gebsrmvn_2xn_kernelILj128ELj11ELj4E21rocsparse_complex_numIfEEEvi20rocsparse_direction_NS_24const_host_device_scalarIT2_EEPKiS8_PKS5_SA_S6_PS5_21rocsparse_index_base_b ; -- Begin function _ZN9rocsparseL19gebsrmvn_2xn_kernelILj128ELj11ELj4E21rocsparse_complex_numIfEEEvi20rocsparse_direction_NS_24const_host_device_scalarIT2_EEPKiS8_PKS5_SA_S6_PS5_21rocsparse_index_base_b
	.p2align	8
	.type	_ZN9rocsparseL19gebsrmvn_2xn_kernelILj128ELj11ELj4E21rocsparse_complex_numIfEEEvi20rocsparse_direction_NS_24const_host_device_scalarIT2_EEPKiS8_PKS5_SA_S6_PS5_21rocsparse_index_base_b,@function
_ZN9rocsparseL19gebsrmvn_2xn_kernelILj128ELj11ELj4E21rocsparse_complex_numIfEEEvi20rocsparse_direction_NS_24const_host_device_scalarIT2_EEPKiS8_PKS5_SA_S6_PS5_21rocsparse_index_base_b: ; @_ZN9rocsparseL19gebsrmvn_2xn_kernelILj128ELj11ELj4E21rocsparse_complex_numIfEEEvi20rocsparse_direction_NS_24const_host_device_scalarIT2_EEPKiS8_PKS5_SA_S6_PS5_21rocsparse_index_base_b
; %bb.0:
	s_clause 0x2
	s_load_b64 s[12:13], s[0:1], 0x40
	s_load_b64 s[2:3], s[0:1], 0x8
	;; [unrolled: 1-line block ×3, first 2 shown]
	v_mov_b32_e32 v1, 0
	s_add_nc_u64 s[6:7], s[0:1], 8
	s_add_nc_u64 s[8:9], s[0:1], 48
	s_wait_kmcnt 0x0
	s_bitcmp1_b32 s13, 0
	s_cselect_b32 s3, s7, s3
	s_cselect_b32 s2, s6, s2
	;; [unrolled: 1-line block ×4, first 2 shown]
	s_clause 0x1
	flat_load_b64 v[2:3], v1, s[2:3]
	flat_load_b64 v[4:5], v1, s[4:5]
	s_wait_loadcnt_dscnt 0x101
	v_cmp_eq_f32_e32 vcc_lo, 0, v2
	v_cmp_eq_f32_e64 s2, 0, v3
	s_wait_loadcnt_dscnt 0x0
	v_cmp_eq_f32_e64 s3, 1.0, v4
	v_cmp_eq_f32_e64 s4, 0, v5
	s_and_b32 s2, vcc_lo, s2
	s_and_b32 s3, s3, s4
	s_delay_alu instid0(SALU_CYCLE_1) | instskip(NEXT) | instid1(SALU_CYCLE_1)
	s_and_b32 s2, s2, s3
	s_xor_b32 s2, s2, -1
	s_delay_alu instid0(SALU_CYCLE_1)
	s_and_saveexec_b32 s3, s2
	s_cbranch_execz .LBB197_19
; %bb.1:
	s_load_b64 s[2:3], s[0:1], 0x0
	s_bfe_u32 s4, ttmp6, 0x4000c
	s_and_b32 s5, ttmp6, 15
	s_add_co_i32 s4, s4, 1
	s_getreg_b32 s6, hwreg(HW_REG_IB_STS2, 6, 4)
	s_mul_i32 s4, ttmp9, s4
	v_lshrrev_b32_e32 v1, 2, v0
	s_add_co_i32 s5, s5, s4
	s_cmp_eq_u32 s6, 0
	s_cselect_b32 s4, ttmp9, s5
	s_delay_alu instid0(VALU_DEP_1) | instid1(SALU_CYCLE_1)
	v_lshl_or_b32 v6, s4, 5, v1
	s_wait_kmcnt 0x0
	s_delay_alu instid0(VALU_DEP_1)
	v_cmp_gt_i32_e32 vcc_lo, s2, v6
	s_and_b32 exec_lo, exec_lo, vcc_lo
	s_cbranch_execz .LBB197_19
; %bb.2:
	s_load_b256 s[4:11], s[0:1], 0x10
	v_ashrrev_i32_e32 v7, 31, v6
	s_cmp_lg_u32 s3, 0
	s_wait_kmcnt 0x0
	s_delay_alu instid0(VALU_DEP_1)
	v_lshl_add_u64 v[8:9], v[6:7], 2, s[4:5]
	v_and_b32_e32 v7, 3, v0
	global_load_b64 v[8:9], v[8:9], off
	s_wait_loadcnt 0x0
	v_subrev_nc_u32_e32 v0, s12, v8
	v_subrev_nc_u32_e32 v14, s12, v9
	s_delay_alu instid0(VALU_DEP_2) | instskip(NEXT) | instid1(VALU_DEP_1)
	v_add_nc_u32_e32 v15, v0, v7
	v_cmp_lt_i32_e64 s2, v15, v14
	s_cbranch_scc0 .LBB197_8
; %bb.3:
	v_mov_b32_e32 v1, 0
	s_delay_alu instid0(VALU_DEP_1)
	v_dual_mov_b32 v0, v1 :: v_dual_mov_b32 v9, v1
	v_mov_b32_e32 v8, v1
	s_and_saveexec_b32 s3, s2
	s_cbranch_execz .LBB197_7
; %bb.4:
	v_mad_u32 v12, v15, 22, 20
	v_dual_mov_b32 v11, 0 :: v_dual_mov_b32 v16, v15
	v_mov_b32_e32 v1, 0
	s_mov_b32 s4, 0
	s_delay_alu instid0(VALU_DEP_2)
	v_dual_mov_b32 v0, v11 :: v_dual_mov_b32 v8, v11
	v_mov_b32_e32 v9, v11
.LBB197_5:                              ; =>This Inner Loop Header: Depth=1
	global_load_b32 v10, v16, s[6:7] scale_offset
	s_wait_xcnt 0x0
	v_add_nc_u32_e32 v16, 4, v16
	s_delay_alu instid0(VALU_DEP_1) | instskip(SKIP_3) | instid1(VALU_DEP_1)
	v_cmp_ge_i32_e32 vcc_lo, v16, v14
	s_or_b32 s4, vcc_lo, s4
	s_wait_loadcnt 0x0
	v_subrev_nc_u32_e32 v10, s12, v10
	v_mul_lo_u32 v17, v10, 11
	v_subrev_nc_u32_e32 v10, 20, v12
	s_delay_alu instid0(VALU_DEP_1)
	v_lshl_add_u64 v[22:23], v[10:11], 3, s[8:9]
	v_subrev_nc_u32_e32 v10, 18, v12
	global_load_b128 v[18:21], v[22:23], off
	global_load_b64 v[62:63], v17, s[10:11] scale_offset
	v_lshl_add_u64 v[26:27], v[10:11], 3, s[8:9]
	v_dual_add_nc_u32 v13, 1, v17 :: v_dual_add_nc_u32 v10, -16, v12
	global_load_b128 v[22:25], v[26:27], off
	global_load_b64 v[64:65], v13, s[10:11] scale_offset
	s_wait_xcnt 0x0
	v_add_nc_u32_e32 v13, 2, v17
	v_lshl_add_u64 v[30:31], v[10:11], 3, s[8:9]
	v_add_nc_u32_e32 v10, -14, v12
	global_load_b128 v[26:29], v[30:31], off
	global_load_b64 v[66:67], v13, s[10:11] scale_offset
	v_lshl_add_u64 v[34:35], v[10:11], 3, s[8:9]
	s_wait_xcnt 0x0
	v_dual_add_nc_u32 v13, 3, v17 :: v_dual_add_nc_u32 v10, -12, v12
	global_load_b128 v[30:33], v[34:35], off
	global_load_b64 v[68:69], v13, s[10:11] scale_offset
	s_wait_xcnt 0x0
	v_add_nc_u32_e32 v13, 4, v17
	v_lshl_add_u64 v[38:39], v[10:11], 3, s[8:9]
	v_add_nc_u32_e32 v10, -10, v12
	global_load_b128 v[34:37], v[38:39], off
	global_load_b64 v[70:71], v13, s[10:11] scale_offset
	v_lshl_add_u64 v[42:43], v[10:11], 3, s[8:9]
	s_wait_xcnt 0x0
	;; [unrolled: 11-line block ×4, first 2 shown]
	v_dual_mov_b32 v13, v11 :: v_dual_add_nc_u32 v10, 9, v17
	global_load_b128 v[54:57], v[58:59], off
	global_load_b64 v[80:81], v10, s[10:11] scale_offset
	s_wait_xcnt 0x0
	v_add_nc_u32_e32 v10, 10, v17
	v_lshl_add_u64 v[82:83], v[12:13], 3, s[8:9]
	global_load_b128 v[58:61], v[82:83], off
	global_load_b64 v[84:85], v10, s[10:11] scale_offset
	v_add_nc_u32_e32 v12, 0x58, v12
	s_wait_loadcnt 0x15
	s_wait_xcnt 0x1
	v_xor_b32_e32 v82, 0x80000000, v21
	v_mov_b32_e32 v83, v20
	s_wait_loadcnt 0x14
	v_pk_fma_f32 v[0:1], v[18:19], v[62:63], v[0:1] op_sel_hi:[1,0,1]
	v_pk_fma_f32 v[8:9], v[20:21], v[62:63], v[8:9] op_sel_hi:[1,0,1]
	s_delay_alu instid0(VALU_DEP_2) | instskip(NEXT) | instid1(VALU_DEP_2)
	v_pk_fma_f32 v[0:1], v[18:19], v[62:63], v[0:1] op_sel:[1,1,0] op_sel_hi:[0,1,1] neg_lo:[1,0,0]
	v_pk_fma_f32 v[8:9], v[82:83], v[62:63], v[8:9] op_sel:[0,1,0]
	s_wait_loadcnt 0x13
	v_xor_b32_e32 v18, 0x80000000, v25
	v_mov_b32_e32 v19, v24
	s_wait_loadcnt 0x12
	v_pk_fma_f32 v[0:1], v[22:23], v[64:65], v[0:1] op_sel_hi:[1,0,1]
	v_pk_fma_f32 v[8:9], v[24:25], v[64:65], v[8:9] op_sel_hi:[1,0,1]
	s_delay_alu instid0(VALU_DEP_2) | instskip(NEXT) | instid1(VALU_DEP_2)
	v_pk_fma_f32 v[0:1], v[22:23], v[64:65], v[0:1] op_sel:[1,1,0] op_sel_hi:[0,1,1] neg_lo:[1,0,0]
	v_pk_fma_f32 v[8:9], v[18:19], v[64:65], v[8:9] op_sel:[0,1,0]
	s_wait_loadcnt 0x11
	;; [unrolled: 9-line block ×10, first 2 shown]
	v_xor_b32_e32 v18, 0x80000000, v61
	v_mov_b32_e32 v19, v60
	s_wait_loadcnt 0x0
	v_pk_fma_f32 v[0:1], v[58:59], v[84:85], v[0:1] op_sel_hi:[1,0,1]
	v_pk_fma_f32 v[8:9], v[60:61], v[84:85], v[8:9] op_sel_hi:[1,0,1]
	s_delay_alu instid0(VALU_DEP_2) | instskip(NEXT) | instid1(VALU_DEP_2)
	v_pk_fma_f32 v[0:1], v[58:59], v[84:85], v[0:1] op_sel:[1,1,0] op_sel_hi:[0,1,1] neg_lo:[1,0,0]
	v_pk_fma_f32 v[8:9], v[18:19], v[84:85], v[8:9] op_sel:[0,1,0]
	s_and_not1_b32 exec_lo, exec_lo, s4
	s_cbranch_execnz .LBB197_5
; %bb.6:
	s_or_b32 exec_lo, exec_lo, s4
.LBB197_7:
	s_delay_alu instid0(SALU_CYCLE_1)
	s_or_b32 exec_lo, exec_lo, s3
	s_cbranch_execz .LBB197_9
	s_branch .LBB197_14
.LBB197_8:
                                        ; implicit-def: $vgpr1
                                        ; implicit-def: $vgpr9
.LBB197_9:
	v_mov_b32_e32 v1, 0
	s_delay_alu instid0(VALU_DEP_1)
	v_dual_mov_b32 v0, v1 :: v_dual_mov_b32 v9, v1
	v_mov_b32_e32 v8, v1
	s_and_saveexec_b32 s3, s2
	s_cbranch_execz .LBB197_13
; %bb.10:
	v_mad_u32 v12, v15, 22, 21
	v_dual_mov_b32 v11, 0 :: v_dual_mov_b32 v1, 0
	s_mov_b32 s2, 0
	s_delay_alu instid0(VALU_DEP_1)
	v_dual_mov_b32 v0, v11 :: v_dual_mov_b32 v8, v11
	v_mov_b32_e32 v9, v11
.LBB197_11:                             ; =>This Inner Loop Header: Depth=1
	global_load_b32 v10, v15, s[6:7] scale_offset
	v_dual_add_nc_u32 v26, -10, v12 :: v_dual_add_nc_u32 v30, -9, v12
	v_dual_add_nc_u32 v36, -8, v12 :: v_dual_add_nc_u32 v42, -7, v12
	;; [unrolled: 1-line block ×3, first 2 shown]
	s_wait_xcnt 0x0
	v_dual_add_nc_u32 v78, -1, v12 :: v_dual_add_nc_u32 v15, 4, v15
	s_delay_alu instid0(VALU_DEP_1) | instskip(SKIP_3) | instid1(VALU_DEP_1)
	v_cmp_ge_i32_e32 vcc_lo, v15, v14
	s_or_b32 s2, vcc_lo, s2
	s_wait_loadcnt 0x0
	v_subrev_nc_u32_e32 v10, s12, v10
	v_mul_lo_u32 v13, v10, 11
	v_subrev_nc_u32_e32 v10, 21, v12
	v_dual_add_nc_u32 v48, -6, v12 :: v_dual_add_nc_u32 v61, -4, v12
	v_add_nc_u32_e32 v72, -2, v12
	s_delay_alu instid0(VALU_DEP_3)
	v_lshl_add_u64 v[20:21], v[10:11], 3, s[8:9]
	s_clause 0x1
	global_load_b128 v[16:19], v[20:21], off
	global_load_b64 v[22:23], v26, s[8:9] scale_offset
	global_load_b64 v[24:25], v13, s[10:11] scale_offset
	v_subrev_nc_u32_e32 v10, 19, v12
	v_add_nc_u32_e32 v31, 1, v13
	s_clause 0x1
	global_load_b64 v[20:21], v10, s[8:9] scale_offset
	global_load_b64 v[26:27], v30, s[8:9] scale_offset
	global_load_b64 v[28:29], v31, s[10:11] scale_offset
	s_wait_xcnt 0x2
	v_subrev_nc_u32_e32 v10, 18, v12
	v_add_nc_u32_e32 v37, 2, v13
	s_clause 0x1
	global_load_b64 v[30:31], v10, s[8:9] scale_offset
	global_load_b64 v[32:33], v36, s[8:9] scale_offset
	global_load_b64 v[34:35], v37, s[10:11] scale_offset
	s_wait_xcnt 0x2
	;; [unrolled: 7-line block ×3, first 2 shown]
	v_dual_add_nc_u32 v10, -16, v12 :: v_dual_add_nc_u32 v49, 4, v13
	s_clause 0x1
	global_load_b64 v[42:43], v10, s[8:9] scale_offset
	global_load_b64 v[44:45], v48, s[8:9] scale_offset
	;; [unrolled: 1-line block ×3, first 2 shown]
	s_wait_xcnt 0x2
	v_dual_add_nc_u32 v10, -5, v12 :: v_dual_add_nc_u32 v52, 5, v13
	global_load_b64 v[48:49], v10, s[8:9] scale_offset
	global_load_b64 v[50:51], v52, s[10:11] scale_offset
	s_wait_xcnt 0x1
	v_dual_add_nc_u32 v10, -15, v12 :: v_dual_add_nc_u32 v62, 6, v13
	s_clause 0x2
	global_load_b64 v[52:53], v10, s[8:9] scale_offset
	global_load_b64 v[54:55], v60, s[8:9] scale_offset
	;; [unrolled: 1-line block ×4, first 2 shown]
	s_wait_xcnt 0x3
	v_dual_add_nc_u32 v10, -13, v12 :: v_dual_add_nc_u32 v67, 7, v13
	s_clause 0x1
	global_load_b64 v[60:61], v10, s[8:9] scale_offset
	global_load_b64 v[62:63], v66, s[8:9] scale_offset
	global_load_b64 v[64:65], v67, s[10:11] scale_offset
	s_wait_xcnt 0x2
	v_dual_add_nc_u32 v10, -12, v12 :: v_dual_add_nc_u32 v73, 8, v13
	s_clause 0x1
	global_load_b64 v[66:67], v10, s[8:9] scale_offset
	global_load_b64 v[68:69], v72, s[8:9] scale_offset
	global_load_b64 v[70:71], v73, s[10:11] scale_offset
	s_wait_xcnt 0x2
	v_dual_add_nc_u32 v10, -11, v12 :: v_dual_add_nc_u32 v79, 9, v13
	s_clause 0x1
	global_load_b64 v[72:73], v10, s[8:9] scale_offset
	global_load_b64 v[74:75], v78, s[8:9] scale_offset
	global_load_b64 v[76:77], v79, s[10:11] scale_offset
	s_wait_xcnt 0x2
	v_add_nc_u32_e32 v10, 10, v13
	global_load_b64 v[78:79], v12, s[8:9] scale_offset
	global_load_b64 v[80:81], v10, s[10:11] scale_offset
	s_wait_xcnt 0x1
	v_add_nc_u32_e32 v12, 0x58, v12
	s_wait_loadcnt 0x1d
	v_pk_fma_f32 v[0:1], v[16:17], v[24:25], v[0:1] op_sel_hi:[1,0,1]
	v_pk_fma_f32 v[8:9], v[22:23], v[24:25], v[8:9] op_sel_hi:[1,0,1]
	s_delay_alu instid0(VALU_DEP_2) | instskip(NEXT) | instid1(VALU_DEP_2)
	v_pk_fma_f32 v[0:1], v[16:17], v[24:25], v[0:1] op_sel:[1,1,0] op_sel_hi:[0,1,1] neg_lo:[1,0,0]
	v_pk_fma_f32 v[8:9], v[22:23], v[24:25], v[8:9] op_sel:[1,1,0] op_sel_hi:[0,1,1] neg_lo:[1,0,0]
	v_xor_b32_e32 v16, 0x80000000, v19
	v_mov_b32_e32 v17, v18
	s_wait_loadcnt 0x1a
	v_pk_fma_f32 v[0:1], v[18:19], v[28:29], v[0:1] op_sel_hi:[1,0,1]
	v_pk_fma_f32 v[8:9], v[26:27], v[28:29], v[8:9] op_sel_hi:[1,0,1]
	s_delay_alu instid0(VALU_DEP_2) | instskip(NEXT) | instid1(VALU_DEP_2)
	v_pk_fma_f32 v[0:1], v[16:17], v[28:29], v[0:1] op_sel:[0,1,0]
	v_pk_fma_f32 v[8:9], v[26:27], v[28:29], v[8:9] op_sel:[1,1,0] op_sel_hi:[0,1,1] neg_lo:[1,0,0]
	s_wait_loadcnt 0x17
	s_delay_alu instid0(VALU_DEP_2) | instskip(NEXT) | instid1(VALU_DEP_2)
	v_pk_fma_f32 v[0:1], v[20:21], v[34:35], v[0:1] op_sel_hi:[1,0,1]
	v_pk_fma_f32 v[8:9], v[32:33], v[34:35], v[8:9] op_sel_hi:[1,0,1]
	s_delay_alu instid0(VALU_DEP_2) | instskip(NEXT) | instid1(VALU_DEP_2)
	v_pk_fma_f32 v[0:1], v[20:21], v[34:35], v[0:1] op_sel:[1,1,0] op_sel_hi:[0,1,1] neg_lo:[1,0,0]
	v_pk_fma_f32 v[8:9], v[32:33], v[34:35], v[8:9] op_sel:[1,1,0] op_sel_hi:[0,1,1] neg_lo:[1,0,0]
	s_wait_loadcnt 0x14
	s_delay_alu instid0(VALU_DEP_2) | instskip(NEXT) | instid1(VALU_DEP_2)
	v_pk_fma_f32 v[0:1], v[30:31], v[40:41], v[0:1] op_sel_hi:[1,0,1]
	v_pk_fma_f32 v[8:9], v[38:39], v[40:41], v[8:9] op_sel_hi:[1,0,1]
	s_delay_alu instid0(VALU_DEP_2) | instskip(NEXT) | instid1(VALU_DEP_2)
	v_pk_fma_f32 v[0:1], v[30:31], v[40:41], v[0:1] op_sel:[1,1,0] op_sel_hi:[0,1,1] neg_lo:[1,0,0]
	;; [unrolled: 7-line block ×9, first 2 shown]
	v_pk_fma_f32 v[8:9], v[78:79], v[80:81], v[8:9] op_sel:[1,1,0] op_sel_hi:[0,1,1] neg_lo:[1,0,0]
	s_and_not1_b32 exec_lo, exec_lo, s2
	s_cbranch_execnz .LBB197_11
; %bb.12:
	s_or_b32 exec_lo, exec_lo, s2
.LBB197_13:
	s_delay_alu instid0(SALU_CYCLE_1)
	s_or_b32 exec_lo, exec_lo, s3
.LBB197_14:
	v_mbcnt_lo_u32_b32 v10, -1, 0
	s_delay_alu instid0(VALU_DEP_1) | instskip(SKIP_1) | instid1(VALU_DEP_1)
	v_xor_b32_e32 v15, 1, v10
	v_xor_b32_e32 v11, 2, v10
	v_cmp_gt_i32_e32 vcc_lo, 32, v11
	v_cndmask_b32_e32 v11, v10, v11, vcc_lo
	s_delay_alu instid0(VALU_DEP_4) | instskip(SKIP_2) | instid1(VALU_DEP_2)
	v_cmp_gt_i32_e32 vcc_lo, 32, v15
	v_cndmask_b32_e32 v10, v10, v15, vcc_lo
	v_cmp_eq_u32_e32 vcc_lo, 3, v7
	v_dual_lshlrev_b32 v15, 2, v10 :: v_dual_lshlrev_b32 v11, 2, v11
	ds_bpermute_b32 v12, v11, v0
	s_wait_dscnt 0x0
	v_add_f32_e32 v0, v0, v12
	ds_bpermute_b32 v13, v11, v1
	ds_bpermute_b32 v14, v11, v8
	;; [unrolled: 1-line block ×4, first 2 shown]
	s_wait_dscnt 0x2
	v_dual_add_f32 v10, v1, v13 :: v_dual_add_f32 v1, v8, v14
	s_wait_dscnt 0x1
	v_add_f32_e32 v9, v9, v11
	ds_bpermute_b32 v13, v15, v10
	ds_bpermute_b32 v8, v15, v1
	;; [unrolled: 1-line block ×3, first 2 shown]
	s_and_b32 exec_lo, exec_lo, vcc_lo
	s_cbranch_execz .LBB197_19
; %bb.15:
	s_load_b64 s[2:3], s[0:1], 0x38
	v_cmp_eq_f32_e32 vcc_lo, 0, v4
	s_wait_xcnt 0x0
	v_cmp_eq_f32_e64 s0, 0, v5
	s_wait_dscnt 0x2
	v_dual_add_f32 v0, v0, v12 :: v_dual_add_f32 v12, v10, v13
	s_wait_dscnt 0x1
	v_add_f32_e32 v8, v1, v8
	s_wait_dscnt 0x0
	v_add_f32_e32 v10, v9, v11
	s_and_b32 s0, vcc_lo, s0
	s_delay_alu instid0(SALU_CYCLE_1) | instskip(NEXT) | instid1(SALU_CYCLE_1)
	s_and_saveexec_b32 s1, s0
	s_xor_b32 s0, exec_lo, s1
	s_cbranch_execz .LBB197_17
; %bb.16:
	v_xor_b32_e32 v4, 0x80000000, v3
	v_dual_mov_b32 v5, v2 :: v_dual_lshlrev_b32 v6, 1, v6
	s_delay_alu instid0(VALU_DEP_1) | instskip(NEXT) | instid1(VALU_DEP_2)
	v_ashrrev_i32_e32 v7, 31, v6
	v_pk_mul_f32 v[12:13], v[12:13], v[4:5] op_sel_hi:[0,1]
	v_pk_mul_f32 v[4:5], v[10:11], v[4:5] op_sel_hi:[0,1]
                                        ; implicit-def: $vgpr10
	s_wait_kmcnt 0x0
	s_delay_alu instid0(VALU_DEP_3) | instskip(NEXT) | instid1(VALU_DEP_3)
	v_lshl_add_u64 v[6:7], v[6:7], 3, s[2:3]
	v_pk_fma_f32 v[0:1], v[2:3], v[0:1], v[12:13] op_sel_hi:[1,0,1]
	s_delay_alu instid0(VALU_DEP_3)
	v_pk_fma_f32 v[2:3], v[2:3], v[8:9], v[4:5] op_sel_hi:[1,0,1]
                                        ; implicit-def: $vgpr4_vgpr5
                                        ; implicit-def: $vgpr12
                                        ; implicit-def: $vgpr8
	global_store_b128 v[6:7], v[0:3], off
                                        ; implicit-def: $vgpr6
                                        ; implicit-def: $vgpr2_vgpr3
                                        ; implicit-def: $vgpr0
.LBB197_17:
	s_wait_xcnt 0x0
	s_and_not1_saveexec_b32 s0, s0
	s_cbranch_execz .LBB197_19
; %bb.18:
	v_dual_mov_b32 v19, v2 :: v_dual_lshlrev_b32 v6, 1, v6
	v_xor_b32_e32 v18, 0x80000000, v3
	s_delay_alu instid0(VALU_DEP_2) | instskip(NEXT) | instid1(VALU_DEP_2)
	v_ashrrev_i32_e32 v7, 31, v6
	v_pk_mul_f32 v[12:13], v[12:13], v[18:19] op_sel_hi:[0,1]
	v_pk_mul_f32 v[10:11], v[10:11], v[18:19] op_sel_hi:[0,1]
	s_delay_alu instid0(VALU_DEP_2) | instskip(NEXT) | instid1(VALU_DEP_2)
	v_pk_fma_f32 v[0:1], v[2:3], v[0:1], v[12:13] op_sel_hi:[1,0,1]
	v_pk_fma_f32 v[2:3], v[2:3], v[8:9], v[10:11] op_sel_hi:[1,0,1]
	v_mov_b32_e32 v9, v4
	s_wait_kmcnt 0x0
	v_lshl_add_u64 v[6:7], v[6:7], 3, s[2:3]
	v_xor_b32_e32 v8, 0x80000000, v5
	global_load_b128 v[14:17], v[6:7], off
	s_wait_loadcnt 0x0
	v_pk_fma_f32 v[0:1], v[4:5], v[14:15], v[0:1] op_sel_hi:[1,0,1]
	v_pk_fma_f32 v[2:3], v[4:5], v[16:17], v[2:3] op_sel_hi:[1,0,1]
	v_mov_b32_e32 v4, v17
	s_delay_alu instid0(VALU_DEP_3) | instskip(NEXT) | instid1(VALU_DEP_2)
	v_pk_fma_f32 v[0:1], v[8:9], v[14:15], v[0:1] op_sel:[0,1,0]
	v_pk_fma_f32 v[2:3], v[8:9], v[4:5], v[2:3] op_sel_hi:[1,0,1]
	global_store_b128 v[6:7], v[0:3], off
.LBB197_19:
	s_sendmsg sendmsg(MSG_DEALLOC_VGPRS)
	s_endpgm
	.section	.rodata,"a",@progbits
	.p2align	6, 0x0
	.amdhsa_kernel _ZN9rocsparseL19gebsrmvn_2xn_kernelILj128ELj11ELj4E21rocsparse_complex_numIfEEEvi20rocsparse_direction_NS_24const_host_device_scalarIT2_EEPKiS8_PKS5_SA_S6_PS5_21rocsparse_index_base_b
		.amdhsa_group_segment_fixed_size 0
		.amdhsa_private_segment_fixed_size 0
		.amdhsa_kernarg_size 72
		.amdhsa_user_sgpr_count 2
		.amdhsa_user_sgpr_dispatch_ptr 0
		.amdhsa_user_sgpr_queue_ptr 0
		.amdhsa_user_sgpr_kernarg_segment_ptr 1
		.amdhsa_user_sgpr_dispatch_id 0
		.amdhsa_user_sgpr_kernarg_preload_length 0
		.amdhsa_user_sgpr_kernarg_preload_offset 0
		.amdhsa_user_sgpr_private_segment_size 0
		.amdhsa_wavefront_size32 1
		.amdhsa_uses_dynamic_stack 0
		.amdhsa_enable_private_segment 0
		.amdhsa_system_sgpr_workgroup_id_x 1
		.amdhsa_system_sgpr_workgroup_id_y 0
		.amdhsa_system_sgpr_workgroup_id_z 0
		.amdhsa_system_sgpr_workgroup_info 0
		.amdhsa_system_vgpr_workitem_id 0
		.amdhsa_next_free_vgpr 86
		.amdhsa_next_free_sgpr 14
		.amdhsa_named_barrier_count 0
		.amdhsa_reserve_vcc 1
		.amdhsa_float_round_mode_32 0
		.amdhsa_float_round_mode_16_64 0
		.amdhsa_float_denorm_mode_32 3
		.amdhsa_float_denorm_mode_16_64 3
		.amdhsa_fp16_overflow 0
		.amdhsa_memory_ordered 1
		.amdhsa_forward_progress 1
		.amdhsa_inst_pref_size 27
		.amdhsa_round_robin_scheduling 0
		.amdhsa_exception_fp_ieee_invalid_op 0
		.amdhsa_exception_fp_denorm_src 0
		.amdhsa_exception_fp_ieee_div_zero 0
		.amdhsa_exception_fp_ieee_overflow 0
		.amdhsa_exception_fp_ieee_underflow 0
		.amdhsa_exception_fp_ieee_inexact 0
		.amdhsa_exception_int_div_zero 0
	.end_amdhsa_kernel
	.section	.text._ZN9rocsparseL19gebsrmvn_2xn_kernelILj128ELj11ELj4E21rocsparse_complex_numIfEEEvi20rocsparse_direction_NS_24const_host_device_scalarIT2_EEPKiS8_PKS5_SA_S6_PS5_21rocsparse_index_base_b,"axG",@progbits,_ZN9rocsparseL19gebsrmvn_2xn_kernelILj128ELj11ELj4E21rocsparse_complex_numIfEEEvi20rocsparse_direction_NS_24const_host_device_scalarIT2_EEPKiS8_PKS5_SA_S6_PS5_21rocsparse_index_base_b,comdat
.Lfunc_end197:
	.size	_ZN9rocsparseL19gebsrmvn_2xn_kernelILj128ELj11ELj4E21rocsparse_complex_numIfEEEvi20rocsparse_direction_NS_24const_host_device_scalarIT2_EEPKiS8_PKS5_SA_S6_PS5_21rocsparse_index_base_b, .Lfunc_end197-_ZN9rocsparseL19gebsrmvn_2xn_kernelILj128ELj11ELj4E21rocsparse_complex_numIfEEEvi20rocsparse_direction_NS_24const_host_device_scalarIT2_EEPKiS8_PKS5_SA_S6_PS5_21rocsparse_index_base_b
                                        ; -- End function
	.set _ZN9rocsparseL19gebsrmvn_2xn_kernelILj128ELj11ELj4E21rocsparse_complex_numIfEEEvi20rocsparse_direction_NS_24const_host_device_scalarIT2_EEPKiS8_PKS5_SA_S6_PS5_21rocsparse_index_base_b.num_vgpr, 86
	.set _ZN9rocsparseL19gebsrmvn_2xn_kernelILj128ELj11ELj4E21rocsparse_complex_numIfEEEvi20rocsparse_direction_NS_24const_host_device_scalarIT2_EEPKiS8_PKS5_SA_S6_PS5_21rocsparse_index_base_b.num_agpr, 0
	.set _ZN9rocsparseL19gebsrmvn_2xn_kernelILj128ELj11ELj4E21rocsparse_complex_numIfEEEvi20rocsparse_direction_NS_24const_host_device_scalarIT2_EEPKiS8_PKS5_SA_S6_PS5_21rocsparse_index_base_b.numbered_sgpr, 14
	.set _ZN9rocsparseL19gebsrmvn_2xn_kernelILj128ELj11ELj4E21rocsparse_complex_numIfEEEvi20rocsparse_direction_NS_24const_host_device_scalarIT2_EEPKiS8_PKS5_SA_S6_PS5_21rocsparse_index_base_b.num_named_barrier, 0
	.set _ZN9rocsparseL19gebsrmvn_2xn_kernelILj128ELj11ELj4E21rocsparse_complex_numIfEEEvi20rocsparse_direction_NS_24const_host_device_scalarIT2_EEPKiS8_PKS5_SA_S6_PS5_21rocsparse_index_base_b.private_seg_size, 0
	.set _ZN9rocsparseL19gebsrmvn_2xn_kernelILj128ELj11ELj4E21rocsparse_complex_numIfEEEvi20rocsparse_direction_NS_24const_host_device_scalarIT2_EEPKiS8_PKS5_SA_S6_PS5_21rocsparse_index_base_b.uses_vcc, 1
	.set _ZN9rocsparseL19gebsrmvn_2xn_kernelILj128ELj11ELj4E21rocsparse_complex_numIfEEEvi20rocsparse_direction_NS_24const_host_device_scalarIT2_EEPKiS8_PKS5_SA_S6_PS5_21rocsparse_index_base_b.uses_flat_scratch, 1
	.set _ZN9rocsparseL19gebsrmvn_2xn_kernelILj128ELj11ELj4E21rocsparse_complex_numIfEEEvi20rocsparse_direction_NS_24const_host_device_scalarIT2_EEPKiS8_PKS5_SA_S6_PS5_21rocsparse_index_base_b.has_dyn_sized_stack, 0
	.set _ZN9rocsparseL19gebsrmvn_2xn_kernelILj128ELj11ELj4E21rocsparse_complex_numIfEEEvi20rocsparse_direction_NS_24const_host_device_scalarIT2_EEPKiS8_PKS5_SA_S6_PS5_21rocsparse_index_base_b.has_recursion, 0
	.set _ZN9rocsparseL19gebsrmvn_2xn_kernelILj128ELj11ELj4E21rocsparse_complex_numIfEEEvi20rocsparse_direction_NS_24const_host_device_scalarIT2_EEPKiS8_PKS5_SA_S6_PS5_21rocsparse_index_base_b.has_indirect_call, 0
	.section	.AMDGPU.csdata,"",@progbits
; Kernel info:
; codeLenInByte = 3352
; TotalNumSgprs: 16
; NumVgprs: 86
; ScratchSize: 0
; MemoryBound: 0
; FloatMode: 240
; IeeeMode: 1
; LDSByteSize: 0 bytes/workgroup (compile time only)
; SGPRBlocks: 0
; VGPRBlocks: 5
; NumSGPRsForWavesPerEU: 16
; NumVGPRsForWavesPerEU: 86
; NamedBarCnt: 0
; Occupancy: 10
; WaveLimiterHint : 1
; COMPUTE_PGM_RSRC2:SCRATCH_EN: 0
; COMPUTE_PGM_RSRC2:USER_SGPR: 2
; COMPUTE_PGM_RSRC2:TRAP_HANDLER: 0
; COMPUTE_PGM_RSRC2:TGID_X_EN: 1
; COMPUTE_PGM_RSRC2:TGID_Y_EN: 0
; COMPUTE_PGM_RSRC2:TGID_Z_EN: 0
; COMPUTE_PGM_RSRC2:TIDIG_COMP_CNT: 0
	.section	.text._ZN9rocsparseL19gebsrmvn_2xn_kernelILj128ELj11ELj8E21rocsparse_complex_numIfEEEvi20rocsparse_direction_NS_24const_host_device_scalarIT2_EEPKiS8_PKS5_SA_S6_PS5_21rocsparse_index_base_b,"axG",@progbits,_ZN9rocsparseL19gebsrmvn_2xn_kernelILj128ELj11ELj8E21rocsparse_complex_numIfEEEvi20rocsparse_direction_NS_24const_host_device_scalarIT2_EEPKiS8_PKS5_SA_S6_PS5_21rocsparse_index_base_b,comdat
	.globl	_ZN9rocsparseL19gebsrmvn_2xn_kernelILj128ELj11ELj8E21rocsparse_complex_numIfEEEvi20rocsparse_direction_NS_24const_host_device_scalarIT2_EEPKiS8_PKS5_SA_S6_PS5_21rocsparse_index_base_b ; -- Begin function _ZN9rocsparseL19gebsrmvn_2xn_kernelILj128ELj11ELj8E21rocsparse_complex_numIfEEEvi20rocsparse_direction_NS_24const_host_device_scalarIT2_EEPKiS8_PKS5_SA_S6_PS5_21rocsparse_index_base_b
	.p2align	8
	.type	_ZN9rocsparseL19gebsrmvn_2xn_kernelILj128ELj11ELj8E21rocsparse_complex_numIfEEEvi20rocsparse_direction_NS_24const_host_device_scalarIT2_EEPKiS8_PKS5_SA_S6_PS5_21rocsparse_index_base_b,@function
_ZN9rocsparseL19gebsrmvn_2xn_kernelILj128ELj11ELj8E21rocsparse_complex_numIfEEEvi20rocsparse_direction_NS_24const_host_device_scalarIT2_EEPKiS8_PKS5_SA_S6_PS5_21rocsparse_index_base_b: ; @_ZN9rocsparseL19gebsrmvn_2xn_kernelILj128ELj11ELj8E21rocsparse_complex_numIfEEEvi20rocsparse_direction_NS_24const_host_device_scalarIT2_EEPKiS8_PKS5_SA_S6_PS5_21rocsparse_index_base_b
; %bb.0:
	s_clause 0x2
	s_load_b64 s[12:13], s[0:1], 0x40
	s_load_b64 s[2:3], s[0:1], 0x8
	;; [unrolled: 1-line block ×3, first 2 shown]
	v_mov_b32_e32 v1, 0
	s_add_nc_u64 s[6:7], s[0:1], 8
	s_add_nc_u64 s[8:9], s[0:1], 48
	s_wait_kmcnt 0x0
	s_bitcmp1_b32 s13, 0
	s_cselect_b32 s3, s7, s3
	s_cselect_b32 s2, s6, s2
	;; [unrolled: 1-line block ×4, first 2 shown]
	s_clause 0x1
	flat_load_b64 v[2:3], v1, s[2:3]
	flat_load_b64 v[4:5], v1, s[4:5]
	s_wait_loadcnt_dscnt 0x101
	v_cmp_eq_f32_e32 vcc_lo, 0, v2
	v_cmp_eq_f32_e64 s2, 0, v3
	s_wait_loadcnt_dscnt 0x0
	v_cmp_eq_f32_e64 s3, 1.0, v4
	v_cmp_eq_f32_e64 s4, 0, v5
	s_and_b32 s2, vcc_lo, s2
	s_and_b32 s3, s3, s4
	s_delay_alu instid0(SALU_CYCLE_1) | instskip(NEXT) | instid1(SALU_CYCLE_1)
	s_and_b32 s2, s2, s3
	s_xor_b32 s2, s2, -1
	s_delay_alu instid0(SALU_CYCLE_1)
	s_and_saveexec_b32 s3, s2
	s_cbranch_execz .LBB198_19
; %bb.1:
	s_load_b64 s[2:3], s[0:1], 0x0
	s_bfe_u32 s4, ttmp6, 0x4000c
	s_and_b32 s5, ttmp6, 15
	s_add_co_i32 s4, s4, 1
	s_getreg_b32 s6, hwreg(HW_REG_IB_STS2, 6, 4)
	s_mul_i32 s4, ttmp9, s4
	v_lshrrev_b32_e32 v1, 3, v0
	s_add_co_i32 s5, s5, s4
	s_cmp_eq_u32 s6, 0
	s_cselect_b32 s4, ttmp9, s5
	s_delay_alu instid0(VALU_DEP_1) | instid1(SALU_CYCLE_1)
	v_lshl_or_b32 v6, s4, 4, v1
	s_wait_kmcnt 0x0
	s_delay_alu instid0(VALU_DEP_1)
	v_cmp_gt_i32_e32 vcc_lo, s2, v6
	s_and_b32 exec_lo, exec_lo, vcc_lo
	s_cbranch_execz .LBB198_19
; %bb.2:
	s_load_b256 s[4:11], s[0:1], 0x10
	v_ashrrev_i32_e32 v7, 31, v6
	s_cmp_lg_u32 s3, 0
	s_wait_kmcnt 0x0
	s_delay_alu instid0(VALU_DEP_1)
	v_lshl_add_u64 v[8:9], v[6:7], 2, s[4:5]
	v_and_b32_e32 v7, 7, v0
	global_load_b64 v[8:9], v[8:9], off
	s_wait_loadcnt 0x0
	v_subrev_nc_u32_e32 v0, s12, v8
	v_subrev_nc_u32_e32 v14, s12, v9
	s_delay_alu instid0(VALU_DEP_2) | instskip(NEXT) | instid1(VALU_DEP_1)
	v_add_nc_u32_e32 v15, v0, v7
	v_cmp_lt_i32_e64 s2, v15, v14
	s_cbranch_scc0 .LBB198_8
; %bb.3:
	v_mov_b32_e32 v1, 0
	s_delay_alu instid0(VALU_DEP_1)
	v_dual_mov_b32 v0, v1 :: v_dual_mov_b32 v9, v1
	v_mov_b32_e32 v8, v1
	s_and_saveexec_b32 s3, s2
	s_cbranch_execz .LBB198_7
; %bb.4:
	v_mad_u32 v12, v15, 22, 20
	v_dual_mov_b32 v11, 0 :: v_dual_mov_b32 v16, v15
	v_mov_b32_e32 v1, 0
	s_mov_b32 s4, 0
	s_delay_alu instid0(VALU_DEP_2)
	v_dual_mov_b32 v0, v11 :: v_dual_mov_b32 v8, v11
	v_mov_b32_e32 v9, v11
.LBB198_5:                              ; =>This Inner Loop Header: Depth=1
	global_load_b32 v10, v16, s[6:7] scale_offset
	s_wait_xcnt 0x0
	v_add_nc_u32_e32 v16, 8, v16
	s_delay_alu instid0(VALU_DEP_1) | instskip(SKIP_3) | instid1(VALU_DEP_1)
	v_cmp_ge_i32_e32 vcc_lo, v16, v14
	s_or_b32 s4, vcc_lo, s4
	s_wait_loadcnt 0x0
	v_subrev_nc_u32_e32 v10, s12, v10
	v_mul_lo_u32 v17, v10, 11
	v_subrev_nc_u32_e32 v10, 20, v12
	s_delay_alu instid0(VALU_DEP_1)
	v_lshl_add_u64 v[22:23], v[10:11], 3, s[8:9]
	v_subrev_nc_u32_e32 v10, 18, v12
	global_load_b128 v[18:21], v[22:23], off
	global_load_b64 v[62:63], v17, s[10:11] scale_offset
	v_lshl_add_u64 v[26:27], v[10:11], 3, s[8:9]
	v_dual_add_nc_u32 v13, 1, v17 :: v_dual_add_nc_u32 v10, -16, v12
	global_load_b128 v[22:25], v[26:27], off
	global_load_b64 v[64:65], v13, s[10:11] scale_offset
	s_wait_xcnt 0x0
	v_add_nc_u32_e32 v13, 2, v17
	v_lshl_add_u64 v[30:31], v[10:11], 3, s[8:9]
	v_add_nc_u32_e32 v10, -14, v12
	global_load_b128 v[26:29], v[30:31], off
	global_load_b64 v[66:67], v13, s[10:11] scale_offset
	v_lshl_add_u64 v[34:35], v[10:11], 3, s[8:9]
	s_wait_xcnt 0x0
	v_dual_add_nc_u32 v13, 3, v17 :: v_dual_add_nc_u32 v10, -12, v12
	global_load_b128 v[30:33], v[34:35], off
	global_load_b64 v[68:69], v13, s[10:11] scale_offset
	s_wait_xcnt 0x0
	v_add_nc_u32_e32 v13, 4, v17
	v_lshl_add_u64 v[38:39], v[10:11], 3, s[8:9]
	v_add_nc_u32_e32 v10, -10, v12
	global_load_b128 v[34:37], v[38:39], off
	global_load_b64 v[70:71], v13, s[10:11] scale_offset
	v_lshl_add_u64 v[42:43], v[10:11], 3, s[8:9]
	s_wait_xcnt 0x0
	;; [unrolled: 11-line block ×4, first 2 shown]
	v_dual_mov_b32 v13, v11 :: v_dual_add_nc_u32 v10, 9, v17
	global_load_b128 v[54:57], v[58:59], off
	global_load_b64 v[80:81], v10, s[10:11] scale_offset
	s_wait_xcnt 0x0
	v_add_nc_u32_e32 v10, 10, v17
	v_lshl_add_u64 v[82:83], v[12:13], 3, s[8:9]
	global_load_b128 v[58:61], v[82:83], off
	global_load_b64 v[84:85], v10, s[10:11] scale_offset
	v_add_nc_u32_e32 v12, 0xb0, v12
	s_wait_loadcnt 0x15
	s_wait_xcnt 0x1
	v_xor_b32_e32 v82, 0x80000000, v21
	v_mov_b32_e32 v83, v20
	s_wait_loadcnt 0x14
	v_pk_fma_f32 v[0:1], v[18:19], v[62:63], v[0:1] op_sel_hi:[1,0,1]
	v_pk_fma_f32 v[8:9], v[20:21], v[62:63], v[8:9] op_sel_hi:[1,0,1]
	s_delay_alu instid0(VALU_DEP_2) | instskip(NEXT) | instid1(VALU_DEP_2)
	v_pk_fma_f32 v[0:1], v[18:19], v[62:63], v[0:1] op_sel:[1,1,0] op_sel_hi:[0,1,1] neg_lo:[1,0,0]
	v_pk_fma_f32 v[8:9], v[82:83], v[62:63], v[8:9] op_sel:[0,1,0]
	s_wait_loadcnt 0x13
	v_xor_b32_e32 v18, 0x80000000, v25
	v_mov_b32_e32 v19, v24
	s_wait_loadcnt 0x12
	v_pk_fma_f32 v[0:1], v[22:23], v[64:65], v[0:1] op_sel_hi:[1,0,1]
	v_pk_fma_f32 v[8:9], v[24:25], v[64:65], v[8:9] op_sel_hi:[1,0,1]
	s_delay_alu instid0(VALU_DEP_2) | instskip(NEXT) | instid1(VALU_DEP_2)
	v_pk_fma_f32 v[0:1], v[22:23], v[64:65], v[0:1] op_sel:[1,1,0] op_sel_hi:[0,1,1] neg_lo:[1,0,0]
	v_pk_fma_f32 v[8:9], v[18:19], v[64:65], v[8:9] op_sel:[0,1,0]
	s_wait_loadcnt 0x11
	;; [unrolled: 9-line block ×10, first 2 shown]
	v_xor_b32_e32 v18, 0x80000000, v61
	v_mov_b32_e32 v19, v60
	s_wait_loadcnt 0x0
	v_pk_fma_f32 v[0:1], v[58:59], v[84:85], v[0:1] op_sel_hi:[1,0,1]
	v_pk_fma_f32 v[8:9], v[60:61], v[84:85], v[8:9] op_sel_hi:[1,0,1]
	s_delay_alu instid0(VALU_DEP_2) | instskip(NEXT) | instid1(VALU_DEP_2)
	v_pk_fma_f32 v[0:1], v[58:59], v[84:85], v[0:1] op_sel:[1,1,0] op_sel_hi:[0,1,1] neg_lo:[1,0,0]
	v_pk_fma_f32 v[8:9], v[18:19], v[84:85], v[8:9] op_sel:[0,1,0]
	s_and_not1_b32 exec_lo, exec_lo, s4
	s_cbranch_execnz .LBB198_5
; %bb.6:
	s_or_b32 exec_lo, exec_lo, s4
.LBB198_7:
	s_delay_alu instid0(SALU_CYCLE_1)
	s_or_b32 exec_lo, exec_lo, s3
	s_cbranch_execz .LBB198_9
	s_branch .LBB198_14
.LBB198_8:
                                        ; implicit-def: $vgpr1
                                        ; implicit-def: $vgpr9
.LBB198_9:
	v_mov_b32_e32 v1, 0
	s_delay_alu instid0(VALU_DEP_1)
	v_dual_mov_b32 v0, v1 :: v_dual_mov_b32 v9, v1
	v_mov_b32_e32 v8, v1
	s_and_saveexec_b32 s3, s2
	s_cbranch_execz .LBB198_13
; %bb.10:
	v_mad_u32 v12, v15, 22, 21
	v_dual_mov_b32 v11, 0 :: v_dual_mov_b32 v1, 0
	s_mov_b32 s2, 0
	s_delay_alu instid0(VALU_DEP_1)
	v_dual_mov_b32 v0, v11 :: v_dual_mov_b32 v8, v11
	v_mov_b32_e32 v9, v11
.LBB198_11:                             ; =>This Inner Loop Header: Depth=1
	global_load_b32 v10, v15, s[6:7] scale_offset
	v_dual_add_nc_u32 v26, -10, v12 :: v_dual_add_nc_u32 v30, -9, v12
	v_dual_add_nc_u32 v36, -8, v12 :: v_dual_add_nc_u32 v42, -7, v12
	;; [unrolled: 1-line block ×3, first 2 shown]
	s_wait_xcnt 0x0
	v_dual_add_nc_u32 v78, -1, v12 :: v_dual_add_nc_u32 v15, 8, v15
	s_delay_alu instid0(VALU_DEP_1) | instskip(SKIP_3) | instid1(VALU_DEP_1)
	v_cmp_ge_i32_e32 vcc_lo, v15, v14
	s_or_b32 s2, vcc_lo, s2
	s_wait_loadcnt 0x0
	v_subrev_nc_u32_e32 v10, s12, v10
	v_mul_lo_u32 v13, v10, 11
	v_subrev_nc_u32_e32 v10, 21, v12
	v_dual_add_nc_u32 v48, -6, v12 :: v_dual_add_nc_u32 v61, -4, v12
	v_add_nc_u32_e32 v72, -2, v12
	s_delay_alu instid0(VALU_DEP_3)
	v_lshl_add_u64 v[20:21], v[10:11], 3, s[8:9]
	s_clause 0x1
	global_load_b128 v[16:19], v[20:21], off
	global_load_b64 v[22:23], v26, s[8:9] scale_offset
	global_load_b64 v[24:25], v13, s[10:11] scale_offset
	v_subrev_nc_u32_e32 v10, 19, v12
	v_add_nc_u32_e32 v31, 1, v13
	s_clause 0x1
	global_load_b64 v[20:21], v10, s[8:9] scale_offset
	global_load_b64 v[26:27], v30, s[8:9] scale_offset
	global_load_b64 v[28:29], v31, s[10:11] scale_offset
	s_wait_xcnt 0x2
	v_subrev_nc_u32_e32 v10, 18, v12
	v_add_nc_u32_e32 v37, 2, v13
	s_clause 0x1
	global_load_b64 v[30:31], v10, s[8:9] scale_offset
	global_load_b64 v[32:33], v36, s[8:9] scale_offset
	global_load_b64 v[34:35], v37, s[10:11] scale_offset
	s_wait_xcnt 0x2
	;; [unrolled: 7-line block ×3, first 2 shown]
	v_dual_add_nc_u32 v10, -16, v12 :: v_dual_add_nc_u32 v49, 4, v13
	s_clause 0x1
	global_load_b64 v[42:43], v10, s[8:9] scale_offset
	global_load_b64 v[44:45], v48, s[8:9] scale_offset
	;; [unrolled: 1-line block ×3, first 2 shown]
	s_wait_xcnt 0x2
	v_dual_add_nc_u32 v10, -5, v12 :: v_dual_add_nc_u32 v52, 5, v13
	global_load_b64 v[48:49], v10, s[8:9] scale_offset
	global_load_b64 v[50:51], v52, s[10:11] scale_offset
	s_wait_xcnt 0x1
	v_dual_add_nc_u32 v10, -15, v12 :: v_dual_add_nc_u32 v62, 6, v13
	s_clause 0x2
	global_load_b64 v[52:53], v10, s[8:9] scale_offset
	global_load_b64 v[54:55], v60, s[8:9] scale_offset
	;; [unrolled: 1-line block ×4, first 2 shown]
	s_wait_xcnt 0x3
	v_dual_add_nc_u32 v10, -13, v12 :: v_dual_add_nc_u32 v67, 7, v13
	s_clause 0x1
	global_load_b64 v[60:61], v10, s[8:9] scale_offset
	global_load_b64 v[62:63], v66, s[8:9] scale_offset
	global_load_b64 v[64:65], v67, s[10:11] scale_offset
	s_wait_xcnt 0x2
	v_dual_add_nc_u32 v10, -12, v12 :: v_dual_add_nc_u32 v73, 8, v13
	s_clause 0x1
	global_load_b64 v[66:67], v10, s[8:9] scale_offset
	global_load_b64 v[68:69], v72, s[8:9] scale_offset
	global_load_b64 v[70:71], v73, s[10:11] scale_offset
	;; [unrolled: 6-line block ×3, first 2 shown]
	s_wait_xcnt 0x2
	v_add_nc_u32_e32 v10, 10, v13
	global_load_b64 v[78:79], v12, s[8:9] scale_offset
	global_load_b64 v[80:81], v10, s[10:11] scale_offset
	s_wait_xcnt 0x1
	v_add_nc_u32_e32 v12, 0xb0, v12
	s_wait_loadcnt 0x1d
	v_pk_fma_f32 v[0:1], v[16:17], v[24:25], v[0:1] op_sel_hi:[1,0,1]
	v_pk_fma_f32 v[8:9], v[22:23], v[24:25], v[8:9] op_sel_hi:[1,0,1]
	s_delay_alu instid0(VALU_DEP_2) | instskip(NEXT) | instid1(VALU_DEP_2)
	v_pk_fma_f32 v[0:1], v[16:17], v[24:25], v[0:1] op_sel:[1,1,0] op_sel_hi:[0,1,1] neg_lo:[1,0,0]
	v_pk_fma_f32 v[8:9], v[22:23], v[24:25], v[8:9] op_sel:[1,1,0] op_sel_hi:[0,1,1] neg_lo:[1,0,0]
	v_xor_b32_e32 v16, 0x80000000, v19
	v_mov_b32_e32 v17, v18
	s_wait_loadcnt 0x1a
	v_pk_fma_f32 v[0:1], v[18:19], v[28:29], v[0:1] op_sel_hi:[1,0,1]
	v_pk_fma_f32 v[8:9], v[26:27], v[28:29], v[8:9] op_sel_hi:[1,0,1]
	s_delay_alu instid0(VALU_DEP_2) | instskip(NEXT) | instid1(VALU_DEP_2)
	v_pk_fma_f32 v[0:1], v[16:17], v[28:29], v[0:1] op_sel:[0,1,0]
	v_pk_fma_f32 v[8:9], v[26:27], v[28:29], v[8:9] op_sel:[1,1,0] op_sel_hi:[0,1,1] neg_lo:[1,0,0]
	s_wait_loadcnt 0x17
	s_delay_alu instid0(VALU_DEP_2) | instskip(NEXT) | instid1(VALU_DEP_2)
	v_pk_fma_f32 v[0:1], v[20:21], v[34:35], v[0:1] op_sel_hi:[1,0,1]
	v_pk_fma_f32 v[8:9], v[32:33], v[34:35], v[8:9] op_sel_hi:[1,0,1]
	s_delay_alu instid0(VALU_DEP_2) | instskip(NEXT) | instid1(VALU_DEP_2)
	v_pk_fma_f32 v[0:1], v[20:21], v[34:35], v[0:1] op_sel:[1,1,0] op_sel_hi:[0,1,1] neg_lo:[1,0,0]
	v_pk_fma_f32 v[8:9], v[32:33], v[34:35], v[8:9] op_sel:[1,1,0] op_sel_hi:[0,1,1] neg_lo:[1,0,0]
	s_wait_loadcnt 0x14
	s_delay_alu instid0(VALU_DEP_2) | instskip(NEXT) | instid1(VALU_DEP_2)
	v_pk_fma_f32 v[0:1], v[30:31], v[40:41], v[0:1] op_sel_hi:[1,0,1]
	v_pk_fma_f32 v[8:9], v[38:39], v[40:41], v[8:9] op_sel_hi:[1,0,1]
	s_delay_alu instid0(VALU_DEP_2) | instskip(NEXT) | instid1(VALU_DEP_2)
	v_pk_fma_f32 v[0:1], v[30:31], v[40:41], v[0:1] op_sel:[1,1,0] op_sel_hi:[0,1,1] neg_lo:[1,0,0]
	;; [unrolled: 7-line block ×9, first 2 shown]
	v_pk_fma_f32 v[8:9], v[78:79], v[80:81], v[8:9] op_sel:[1,1,0] op_sel_hi:[0,1,1] neg_lo:[1,0,0]
	s_and_not1_b32 exec_lo, exec_lo, s2
	s_cbranch_execnz .LBB198_11
; %bb.12:
	s_or_b32 exec_lo, exec_lo, s2
.LBB198_13:
	s_delay_alu instid0(SALU_CYCLE_1)
	s_or_b32 exec_lo, exec_lo, s3
.LBB198_14:
	v_mbcnt_lo_u32_b32 v10, -1, 0
	s_delay_alu instid0(VALU_DEP_1) | instskip(SKIP_1) | instid1(VALU_DEP_1)
	v_xor_b32_e32 v15, 2, v10
	v_xor_b32_e32 v11, 4, v10
	v_cmp_gt_i32_e32 vcc_lo, 32, v11
	v_cndmask_b32_e32 v11, v10, v11, vcc_lo
	s_delay_alu instid0(VALU_DEP_1)
	v_lshlrev_b32_e32 v11, 2, v11
	ds_bpermute_b32 v13, v11, v1
	s_wait_dscnt 0x0
	v_add_f32_e32 v1, v1, v13
	ds_bpermute_b32 v12, v11, v0
	ds_bpermute_b32 v14, v11, v8
	;; [unrolled: 1-line block ×3, first 2 shown]
	s_wait_dscnt 0x2
	v_add_f32_e32 v0, v0, v12
	s_wait_dscnt 0x0
	v_dual_add_f32 v12, v8, v14 :: v_dual_add_f32 v9, v9, v11
	v_cmp_gt_i32_e32 vcc_lo, 32, v15
	v_cndmask_b32_e32 v15, v10, v15, vcc_lo
	s_delay_alu instid0(VALU_DEP_1)
	v_lshlrev_b32_e32 v15, 2, v15
	ds_bpermute_b32 v8, v15, v0
	ds_bpermute_b32 v11, v15, v1
	;; [unrolled: 1-line block ×4, first 2 shown]
	s_wait_dscnt 0x3
	v_dual_add_f32 v0, v0, v8 :: v_dual_bitop2_b32 v15, 1, v10 bitop3:0x14
	s_delay_alu instid0(VALU_DEP_1)
	v_cmp_gt_i32_e32 vcc_lo, 32, v15
	s_wait_dscnt 0x1
	v_dual_add_f32 v8, v1, v11 :: v_dual_add_f32 v1, v12, v13
	s_wait_dscnt 0x0
	v_dual_add_f32 v9, v9, v14 :: v_dual_cndmask_b32 v10, v10, v15
	v_cmp_eq_u32_e32 vcc_lo, 7, v7
	s_delay_alu instid0(VALU_DEP_2)
	v_lshlrev_b32_e32 v15, 2, v10
	ds_bpermute_b32 v12, v15, v0
	ds_bpermute_b32 v13, v15, v8
	;; [unrolled: 1-line block ×4, first 2 shown]
	s_and_b32 exec_lo, exec_lo, vcc_lo
	s_cbranch_execz .LBB198_19
; %bb.15:
	s_load_b64 s[2:3], s[0:1], 0x38
	v_cmp_eq_f32_e32 vcc_lo, 0, v4
	s_wait_xcnt 0x0
	v_cmp_eq_f32_e64 s0, 0, v5
	s_wait_dscnt 0x3
	v_add_f32_e32 v0, v0, v12
	s_wait_dscnt 0x1
	v_dual_add_f32 v12, v8, v13 :: v_dual_add_f32 v8, v1, v10
	s_wait_dscnt 0x0
	v_add_f32_e32 v10, v9, v11
	s_and_b32 s0, vcc_lo, s0
	s_delay_alu instid0(SALU_CYCLE_1) | instskip(NEXT) | instid1(SALU_CYCLE_1)
	s_and_saveexec_b32 s1, s0
	s_xor_b32 s0, exec_lo, s1
	s_cbranch_execz .LBB198_17
; %bb.16:
	v_xor_b32_e32 v4, 0x80000000, v3
	v_dual_mov_b32 v5, v2 :: v_dual_lshlrev_b32 v6, 1, v6
	s_delay_alu instid0(VALU_DEP_1) | instskip(NEXT) | instid1(VALU_DEP_2)
	v_ashrrev_i32_e32 v7, 31, v6
	v_pk_mul_f32 v[12:13], v[12:13], v[4:5] op_sel_hi:[0,1]
	v_pk_mul_f32 v[4:5], v[10:11], v[4:5] op_sel_hi:[0,1]
                                        ; implicit-def: $vgpr10
	s_wait_kmcnt 0x0
	s_delay_alu instid0(VALU_DEP_3) | instskip(NEXT) | instid1(VALU_DEP_3)
	v_lshl_add_u64 v[6:7], v[6:7], 3, s[2:3]
	v_pk_fma_f32 v[0:1], v[2:3], v[0:1], v[12:13] op_sel_hi:[1,0,1]
	s_delay_alu instid0(VALU_DEP_3)
	v_pk_fma_f32 v[2:3], v[2:3], v[8:9], v[4:5] op_sel_hi:[1,0,1]
                                        ; implicit-def: $vgpr4_vgpr5
                                        ; implicit-def: $vgpr12
                                        ; implicit-def: $vgpr8
	global_store_b128 v[6:7], v[0:3], off
                                        ; implicit-def: $vgpr6
                                        ; implicit-def: $vgpr2_vgpr3
                                        ; implicit-def: $vgpr0
.LBB198_17:
	s_wait_xcnt 0x0
	s_and_not1_saveexec_b32 s0, s0
	s_cbranch_execz .LBB198_19
; %bb.18:
	v_dual_mov_b32 v19, v2 :: v_dual_lshlrev_b32 v6, 1, v6
	v_xor_b32_e32 v18, 0x80000000, v3
	s_delay_alu instid0(VALU_DEP_2) | instskip(NEXT) | instid1(VALU_DEP_2)
	v_ashrrev_i32_e32 v7, 31, v6
	v_pk_mul_f32 v[12:13], v[12:13], v[18:19] op_sel_hi:[0,1]
	v_pk_mul_f32 v[10:11], v[10:11], v[18:19] op_sel_hi:[0,1]
	s_delay_alu instid0(VALU_DEP_2) | instskip(NEXT) | instid1(VALU_DEP_2)
	v_pk_fma_f32 v[0:1], v[2:3], v[0:1], v[12:13] op_sel_hi:[1,0,1]
	v_pk_fma_f32 v[2:3], v[2:3], v[8:9], v[10:11] op_sel_hi:[1,0,1]
	v_mov_b32_e32 v9, v4
	s_wait_kmcnt 0x0
	v_lshl_add_u64 v[6:7], v[6:7], 3, s[2:3]
	v_xor_b32_e32 v8, 0x80000000, v5
	global_load_b128 v[14:17], v[6:7], off
	s_wait_loadcnt 0x0
	v_pk_fma_f32 v[0:1], v[4:5], v[14:15], v[0:1] op_sel_hi:[1,0,1]
	v_pk_fma_f32 v[2:3], v[4:5], v[16:17], v[2:3] op_sel_hi:[1,0,1]
	v_mov_b32_e32 v4, v17
	s_delay_alu instid0(VALU_DEP_3) | instskip(NEXT) | instid1(VALU_DEP_2)
	v_pk_fma_f32 v[0:1], v[8:9], v[14:15], v[0:1] op_sel:[0,1,0]
	v_pk_fma_f32 v[2:3], v[8:9], v[4:5], v[2:3] op_sel_hi:[1,0,1]
	global_store_b128 v[6:7], v[0:3], off
.LBB198_19:
	s_sendmsg sendmsg(MSG_DEALLOC_VGPRS)
	s_endpgm
	.section	.rodata,"a",@progbits
	.p2align	6, 0x0
	.amdhsa_kernel _ZN9rocsparseL19gebsrmvn_2xn_kernelILj128ELj11ELj8E21rocsparse_complex_numIfEEEvi20rocsparse_direction_NS_24const_host_device_scalarIT2_EEPKiS8_PKS5_SA_S6_PS5_21rocsparse_index_base_b
		.amdhsa_group_segment_fixed_size 0
		.amdhsa_private_segment_fixed_size 0
		.amdhsa_kernarg_size 72
		.amdhsa_user_sgpr_count 2
		.amdhsa_user_sgpr_dispatch_ptr 0
		.amdhsa_user_sgpr_queue_ptr 0
		.amdhsa_user_sgpr_kernarg_segment_ptr 1
		.amdhsa_user_sgpr_dispatch_id 0
		.amdhsa_user_sgpr_kernarg_preload_length 0
		.amdhsa_user_sgpr_kernarg_preload_offset 0
		.amdhsa_user_sgpr_private_segment_size 0
		.amdhsa_wavefront_size32 1
		.amdhsa_uses_dynamic_stack 0
		.amdhsa_enable_private_segment 0
		.amdhsa_system_sgpr_workgroup_id_x 1
		.amdhsa_system_sgpr_workgroup_id_y 0
		.amdhsa_system_sgpr_workgroup_id_z 0
		.amdhsa_system_sgpr_workgroup_info 0
		.amdhsa_system_vgpr_workitem_id 0
		.amdhsa_next_free_vgpr 86
		.amdhsa_next_free_sgpr 14
		.amdhsa_named_barrier_count 0
		.amdhsa_reserve_vcc 1
		.amdhsa_float_round_mode_32 0
		.amdhsa_float_round_mode_16_64 0
		.amdhsa_float_denorm_mode_32 3
		.amdhsa_float_denorm_mode_16_64 3
		.amdhsa_fp16_overflow 0
		.amdhsa_memory_ordered 1
		.amdhsa_forward_progress 1
		.amdhsa_inst_pref_size 27
		.amdhsa_round_robin_scheduling 0
		.amdhsa_exception_fp_ieee_invalid_op 0
		.amdhsa_exception_fp_denorm_src 0
		.amdhsa_exception_fp_ieee_div_zero 0
		.amdhsa_exception_fp_ieee_overflow 0
		.amdhsa_exception_fp_ieee_underflow 0
		.amdhsa_exception_fp_ieee_inexact 0
		.amdhsa_exception_int_div_zero 0
	.end_amdhsa_kernel
	.section	.text._ZN9rocsparseL19gebsrmvn_2xn_kernelILj128ELj11ELj8E21rocsparse_complex_numIfEEEvi20rocsparse_direction_NS_24const_host_device_scalarIT2_EEPKiS8_PKS5_SA_S6_PS5_21rocsparse_index_base_b,"axG",@progbits,_ZN9rocsparseL19gebsrmvn_2xn_kernelILj128ELj11ELj8E21rocsparse_complex_numIfEEEvi20rocsparse_direction_NS_24const_host_device_scalarIT2_EEPKiS8_PKS5_SA_S6_PS5_21rocsparse_index_base_b,comdat
.Lfunc_end198:
	.size	_ZN9rocsparseL19gebsrmvn_2xn_kernelILj128ELj11ELj8E21rocsparse_complex_numIfEEEvi20rocsparse_direction_NS_24const_host_device_scalarIT2_EEPKiS8_PKS5_SA_S6_PS5_21rocsparse_index_base_b, .Lfunc_end198-_ZN9rocsparseL19gebsrmvn_2xn_kernelILj128ELj11ELj8E21rocsparse_complex_numIfEEEvi20rocsparse_direction_NS_24const_host_device_scalarIT2_EEPKiS8_PKS5_SA_S6_PS5_21rocsparse_index_base_b
                                        ; -- End function
	.set _ZN9rocsparseL19gebsrmvn_2xn_kernelILj128ELj11ELj8E21rocsparse_complex_numIfEEEvi20rocsparse_direction_NS_24const_host_device_scalarIT2_EEPKiS8_PKS5_SA_S6_PS5_21rocsparse_index_base_b.num_vgpr, 86
	.set _ZN9rocsparseL19gebsrmvn_2xn_kernelILj128ELj11ELj8E21rocsparse_complex_numIfEEEvi20rocsparse_direction_NS_24const_host_device_scalarIT2_EEPKiS8_PKS5_SA_S6_PS5_21rocsparse_index_base_b.num_agpr, 0
	.set _ZN9rocsparseL19gebsrmvn_2xn_kernelILj128ELj11ELj8E21rocsparse_complex_numIfEEEvi20rocsparse_direction_NS_24const_host_device_scalarIT2_EEPKiS8_PKS5_SA_S6_PS5_21rocsparse_index_base_b.numbered_sgpr, 14
	.set _ZN9rocsparseL19gebsrmvn_2xn_kernelILj128ELj11ELj8E21rocsparse_complex_numIfEEEvi20rocsparse_direction_NS_24const_host_device_scalarIT2_EEPKiS8_PKS5_SA_S6_PS5_21rocsparse_index_base_b.num_named_barrier, 0
	.set _ZN9rocsparseL19gebsrmvn_2xn_kernelILj128ELj11ELj8E21rocsparse_complex_numIfEEEvi20rocsparse_direction_NS_24const_host_device_scalarIT2_EEPKiS8_PKS5_SA_S6_PS5_21rocsparse_index_base_b.private_seg_size, 0
	.set _ZN9rocsparseL19gebsrmvn_2xn_kernelILj128ELj11ELj8E21rocsparse_complex_numIfEEEvi20rocsparse_direction_NS_24const_host_device_scalarIT2_EEPKiS8_PKS5_SA_S6_PS5_21rocsparse_index_base_b.uses_vcc, 1
	.set _ZN9rocsparseL19gebsrmvn_2xn_kernelILj128ELj11ELj8E21rocsparse_complex_numIfEEEvi20rocsparse_direction_NS_24const_host_device_scalarIT2_EEPKiS8_PKS5_SA_S6_PS5_21rocsparse_index_base_b.uses_flat_scratch, 1
	.set _ZN9rocsparseL19gebsrmvn_2xn_kernelILj128ELj11ELj8E21rocsparse_complex_numIfEEEvi20rocsparse_direction_NS_24const_host_device_scalarIT2_EEPKiS8_PKS5_SA_S6_PS5_21rocsparse_index_base_b.has_dyn_sized_stack, 0
	.set _ZN9rocsparseL19gebsrmvn_2xn_kernelILj128ELj11ELj8E21rocsparse_complex_numIfEEEvi20rocsparse_direction_NS_24const_host_device_scalarIT2_EEPKiS8_PKS5_SA_S6_PS5_21rocsparse_index_base_b.has_recursion, 0
	.set _ZN9rocsparseL19gebsrmvn_2xn_kernelILj128ELj11ELj8E21rocsparse_complex_numIfEEEvi20rocsparse_direction_NS_24const_host_device_scalarIT2_EEPKiS8_PKS5_SA_S6_PS5_21rocsparse_index_base_b.has_indirect_call, 0
	.section	.AMDGPU.csdata,"",@progbits
; Kernel info:
; codeLenInByte = 3440
; TotalNumSgprs: 16
; NumVgprs: 86
; ScratchSize: 0
; MemoryBound: 0
; FloatMode: 240
; IeeeMode: 1
; LDSByteSize: 0 bytes/workgroup (compile time only)
; SGPRBlocks: 0
; VGPRBlocks: 5
; NumSGPRsForWavesPerEU: 16
; NumVGPRsForWavesPerEU: 86
; NamedBarCnt: 0
; Occupancy: 10
; WaveLimiterHint : 1
; COMPUTE_PGM_RSRC2:SCRATCH_EN: 0
; COMPUTE_PGM_RSRC2:USER_SGPR: 2
; COMPUTE_PGM_RSRC2:TRAP_HANDLER: 0
; COMPUTE_PGM_RSRC2:TGID_X_EN: 1
; COMPUTE_PGM_RSRC2:TGID_Y_EN: 0
; COMPUTE_PGM_RSRC2:TGID_Z_EN: 0
; COMPUTE_PGM_RSRC2:TIDIG_COMP_CNT: 0
	.section	.text._ZN9rocsparseL19gebsrmvn_2xn_kernelILj128ELj11ELj16E21rocsparse_complex_numIfEEEvi20rocsparse_direction_NS_24const_host_device_scalarIT2_EEPKiS8_PKS5_SA_S6_PS5_21rocsparse_index_base_b,"axG",@progbits,_ZN9rocsparseL19gebsrmvn_2xn_kernelILj128ELj11ELj16E21rocsparse_complex_numIfEEEvi20rocsparse_direction_NS_24const_host_device_scalarIT2_EEPKiS8_PKS5_SA_S6_PS5_21rocsparse_index_base_b,comdat
	.globl	_ZN9rocsparseL19gebsrmvn_2xn_kernelILj128ELj11ELj16E21rocsparse_complex_numIfEEEvi20rocsparse_direction_NS_24const_host_device_scalarIT2_EEPKiS8_PKS5_SA_S6_PS5_21rocsparse_index_base_b ; -- Begin function _ZN9rocsparseL19gebsrmvn_2xn_kernelILj128ELj11ELj16E21rocsparse_complex_numIfEEEvi20rocsparse_direction_NS_24const_host_device_scalarIT2_EEPKiS8_PKS5_SA_S6_PS5_21rocsparse_index_base_b
	.p2align	8
	.type	_ZN9rocsparseL19gebsrmvn_2xn_kernelILj128ELj11ELj16E21rocsparse_complex_numIfEEEvi20rocsparse_direction_NS_24const_host_device_scalarIT2_EEPKiS8_PKS5_SA_S6_PS5_21rocsparse_index_base_b,@function
_ZN9rocsparseL19gebsrmvn_2xn_kernelILj128ELj11ELj16E21rocsparse_complex_numIfEEEvi20rocsparse_direction_NS_24const_host_device_scalarIT2_EEPKiS8_PKS5_SA_S6_PS5_21rocsparse_index_base_b: ; @_ZN9rocsparseL19gebsrmvn_2xn_kernelILj128ELj11ELj16E21rocsparse_complex_numIfEEEvi20rocsparse_direction_NS_24const_host_device_scalarIT2_EEPKiS8_PKS5_SA_S6_PS5_21rocsparse_index_base_b
; %bb.0:
	s_clause 0x2
	s_load_b64 s[12:13], s[0:1], 0x40
	s_load_b64 s[2:3], s[0:1], 0x8
	;; [unrolled: 1-line block ×3, first 2 shown]
	v_mov_b32_e32 v1, 0
	s_add_nc_u64 s[6:7], s[0:1], 8
	s_add_nc_u64 s[8:9], s[0:1], 48
	s_wait_kmcnt 0x0
	s_bitcmp1_b32 s13, 0
	s_cselect_b32 s3, s7, s3
	s_cselect_b32 s2, s6, s2
	;; [unrolled: 1-line block ×4, first 2 shown]
	s_clause 0x1
	flat_load_b64 v[2:3], v1, s[2:3]
	flat_load_b64 v[4:5], v1, s[4:5]
	s_wait_loadcnt_dscnt 0x101
	v_cmp_eq_f32_e32 vcc_lo, 0, v2
	v_cmp_eq_f32_e64 s2, 0, v3
	s_wait_loadcnt_dscnt 0x0
	v_cmp_eq_f32_e64 s3, 1.0, v4
	v_cmp_eq_f32_e64 s4, 0, v5
	s_and_b32 s2, vcc_lo, s2
	s_and_b32 s3, s3, s4
	s_delay_alu instid0(SALU_CYCLE_1) | instskip(NEXT) | instid1(SALU_CYCLE_1)
	s_and_b32 s2, s2, s3
	s_xor_b32 s2, s2, -1
	s_delay_alu instid0(SALU_CYCLE_1)
	s_and_saveexec_b32 s3, s2
	s_cbranch_execz .LBB199_19
; %bb.1:
	s_load_b64 s[2:3], s[0:1], 0x0
	s_bfe_u32 s4, ttmp6, 0x4000c
	s_and_b32 s5, ttmp6, 15
	s_add_co_i32 s4, s4, 1
	s_getreg_b32 s6, hwreg(HW_REG_IB_STS2, 6, 4)
	s_mul_i32 s4, ttmp9, s4
	v_lshrrev_b32_e32 v1, 4, v0
	s_add_co_i32 s5, s5, s4
	s_cmp_eq_u32 s6, 0
	s_cselect_b32 s4, ttmp9, s5
	s_delay_alu instid0(VALU_DEP_1) | instid1(SALU_CYCLE_1)
	v_lshl_or_b32 v6, s4, 3, v1
	s_wait_kmcnt 0x0
	s_delay_alu instid0(VALU_DEP_1)
	v_cmp_gt_i32_e32 vcc_lo, s2, v6
	s_and_b32 exec_lo, exec_lo, vcc_lo
	s_cbranch_execz .LBB199_19
; %bb.2:
	s_load_b256 s[4:11], s[0:1], 0x10
	v_ashrrev_i32_e32 v7, 31, v6
	s_cmp_lg_u32 s3, 0
	s_wait_kmcnt 0x0
	s_delay_alu instid0(VALU_DEP_1)
	v_lshl_add_u64 v[8:9], v[6:7], 2, s[4:5]
	v_and_b32_e32 v7, 15, v0
	global_load_b64 v[8:9], v[8:9], off
	s_wait_loadcnt 0x0
	v_subrev_nc_u32_e32 v0, s12, v8
	v_subrev_nc_u32_e32 v14, s12, v9
	s_delay_alu instid0(VALU_DEP_2) | instskip(NEXT) | instid1(VALU_DEP_1)
	v_add_nc_u32_e32 v15, v0, v7
	v_cmp_lt_i32_e64 s2, v15, v14
	s_cbranch_scc0 .LBB199_8
; %bb.3:
	v_mov_b32_e32 v1, 0
	s_delay_alu instid0(VALU_DEP_1)
	v_dual_mov_b32 v0, v1 :: v_dual_mov_b32 v9, v1
	v_mov_b32_e32 v8, v1
	s_and_saveexec_b32 s3, s2
	s_cbranch_execz .LBB199_7
; %bb.4:
	v_mad_u32 v12, v15, 22, 20
	v_dual_mov_b32 v11, 0 :: v_dual_mov_b32 v16, v15
	v_mov_b32_e32 v1, 0
	s_mov_b32 s4, 0
	s_delay_alu instid0(VALU_DEP_2)
	v_dual_mov_b32 v0, v11 :: v_dual_mov_b32 v8, v11
	v_mov_b32_e32 v9, v11
.LBB199_5:                              ; =>This Inner Loop Header: Depth=1
	global_load_b32 v10, v16, s[6:7] scale_offset
	s_wait_xcnt 0x0
	v_add_nc_u32_e32 v16, 16, v16
	s_delay_alu instid0(VALU_DEP_1) | instskip(SKIP_3) | instid1(VALU_DEP_1)
	v_cmp_ge_i32_e32 vcc_lo, v16, v14
	s_or_b32 s4, vcc_lo, s4
	s_wait_loadcnt 0x0
	v_subrev_nc_u32_e32 v10, s12, v10
	v_mul_lo_u32 v17, v10, 11
	v_subrev_nc_u32_e32 v10, 20, v12
	s_delay_alu instid0(VALU_DEP_1)
	v_lshl_add_u64 v[22:23], v[10:11], 3, s[8:9]
	v_subrev_nc_u32_e32 v10, 18, v12
	global_load_b128 v[18:21], v[22:23], off
	global_load_b64 v[62:63], v17, s[10:11] scale_offset
	v_lshl_add_u64 v[26:27], v[10:11], 3, s[8:9]
	v_dual_add_nc_u32 v13, 1, v17 :: v_dual_add_nc_u32 v10, -16, v12
	global_load_b128 v[22:25], v[26:27], off
	global_load_b64 v[64:65], v13, s[10:11] scale_offset
	s_wait_xcnt 0x0
	v_add_nc_u32_e32 v13, 2, v17
	v_lshl_add_u64 v[30:31], v[10:11], 3, s[8:9]
	v_add_nc_u32_e32 v10, -14, v12
	global_load_b128 v[26:29], v[30:31], off
	global_load_b64 v[66:67], v13, s[10:11] scale_offset
	v_lshl_add_u64 v[34:35], v[10:11], 3, s[8:9]
	s_wait_xcnt 0x0
	v_dual_add_nc_u32 v13, 3, v17 :: v_dual_add_nc_u32 v10, -12, v12
	global_load_b128 v[30:33], v[34:35], off
	global_load_b64 v[68:69], v13, s[10:11] scale_offset
	s_wait_xcnt 0x0
	v_add_nc_u32_e32 v13, 4, v17
	v_lshl_add_u64 v[38:39], v[10:11], 3, s[8:9]
	v_add_nc_u32_e32 v10, -10, v12
	global_load_b128 v[34:37], v[38:39], off
	global_load_b64 v[70:71], v13, s[10:11] scale_offset
	v_lshl_add_u64 v[42:43], v[10:11], 3, s[8:9]
	s_wait_xcnt 0x0
	;; [unrolled: 11-line block ×4, first 2 shown]
	v_dual_mov_b32 v13, v11 :: v_dual_add_nc_u32 v10, 9, v17
	global_load_b128 v[54:57], v[58:59], off
	global_load_b64 v[80:81], v10, s[10:11] scale_offset
	s_wait_xcnt 0x0
	v_add_nc_u32_e32 v10, 10, v17
	v_lshl_add_u64 v[82:83], v[12:13], 3, s[8:9]
	global_load_b128 v[58:61], v[82:83], off
	global_load_b64 v[84:85], v10, s[10:11] scale_offset
	v_add_nc_u32_e32 v12, 0x160, v12
	s_wait_loadcnt 0x15
	s_wait_xcnt 0x1
	v_xor_b32_e32 v82, 0x80000000, v21
	v_mov_b32_e32 v83, v20
	s_wait_loadcnt 0x14
	v_pk_fma_f32 v[0:1], v[18:19], v[62:63], v[0:1] op_sel_hi:[1,0,1]
	v_pk_fma_f32 v[8:9], v[20:21], v[62:63], v[8:9] op_sel_hi:[1,0,1]
	s_delay_alu instid0(VALU_DEP_2) | instskip(NEXT) | instid1(VALU_DEP_2)
	v_pk_fma_f32 v[0:1], v[18:19], v[62:63], v[0:1] op_sel:[1,1,0] op_sel_hi:[0,1,1] neg_lo:[1,0,0]
	v_pk_fma_f32 v[8:9], v[82:83], v[62:63], v[8:9] op_sel:[0,1,0]
	s_wait_loadcnt 0x13
	v_xor_b32_e32 v18, 0x80000000, v25
	v_mov_b32_e32 v19, v24
	s_wait_loadcnt 0x12
	v_pk_fma_f32 v[0:1], v[22:23], v[64:65], v[0:1] op_sel_hi:[1,0,1]
	v_pk_fma_f32 v[8:9], v[24:25], v[64:65], v[8:9] op_sel_hi:[1,0,1]
	s_delay_alu instid0(VALU_DEP_2) | instskip(NEXT) | instid1(VALU_DEP_2)
	v_pk_fma_f32 v[0:1], v[22:23], v[64:65], v[0:1] op_sel:[1,1,0] op_sel_hi:[0,1,1] neg_lo:[1,0,0]
	v_pk_fma_f32 v[8:9], v[18:19], v[64:65], v[8:9] op_sel:[0,1,0]
	s_wait_loadcnt 0x11
	;; [unrolled: 9-line block ×10, first 2 shown]
	v_xor_b32_e32 v18, 0x80000000, v61
	v_mov_b32_e32 v19, v60
	s_wait_loadcnt 0x0
	v_pk_fma_f32 v[0:1], v[58:59], v[84:85], v[0:1] op_sel_hi:[1,0,1]
	v_pk_fma_f32 v[8:9], v[60:61], v[84:85], v[8:9] op_sel_hi:[1,0,1]
	s_delay_alu instid0(VALU_DEP_2) | instskip(NEXT) | instid1(VALU_DEP_2)
	v_pk_fma_f32 v[0:1], v[58:59], v[84:85], v[0:1] op_sel:[1,1,0] op_sel_hi:[0,1,1] neg_lo:[1,0,0]
	v_pk_fma_f32 v[8:9], v[18:19], v[84:85], v[8:9] op_sel:[0,1,0]
	s_and_not1_b32 exec_lo, exec_lo, s4
	s_cbranch_execnz .LBB199_5
; %bb.6:
	s_or_b32 exec_lo, exec_lo, s4
.LBB199_7:
	s_delay_alu instid0(SALU_CYCLE_1)
	s_or_b32 exec_lo, exec_lo, s3
	s_cbranch_execz .LBB199_9
	s_branch .LBB199_14
.LBB199_8:
                                        ; implicit-def: $vgpr1
                                        ; implicit-def: $vgpr9
.LBB199_9:
	v_mov_b32_e32 v1, 0
	s_delay_alu instid0(VALU_DEP_1)
	v_dual_mov_b32 v0, v1 :: v_dual_mov_b32 v9, v1
	v_mov_b32_e32 v8, v1
	s_and_saveexec_b32 s3, s2
	s_cbranch_execz .LBB199_13
; %bb.10:
	v_mad_u32 v12, v15, 22, 21
	v_dual_mov_b32 v11, 0 :: v_dual_mov_b32 v1, 0
	s_mov_b32 s2, 0
	s_delay_alu instid0(VALU_DEP_1)
	v_dual_mov_b32 v0, v11 :: v_dual_mov_b32 v8, v11
	v_mov_b32_e32 v9, v11
.LBB199_11:                             ; =>This Inner Loop Header: Depth=1
	global_load_b32 v10, v15, s[6:7] scale_offset
	v_dual_add_nc_u32 v26, -10, v12 :: v_dual_add_nc_u32 v30, -9, v12
	v_dual_add_nc_u32 v36, -8, v12 :: v_dual_add_nc_u32 v42, -7, v12
	;; [unrolled: 1-line block ×3, first 2 shown]
	s_wait_xcnt 0x0
	v_dual_add_nc_u32 v78, -1, v12 :: v_dual_add_nc_u32 v15, 16, v15
	s_delay_alu instid0(VALU_DEP_1) | instskip(SKIP_3) | instid1(VALU_DEP_1)
	v_cmp_ge_i32_e32 vcc_lo, v15, v14
	s_or_b32 s2, vcc_lo, s2
	s_wait_loadcnt 0x0
	v_subrev_nc_u32_e32 v10, s12, v10
	v_mul_lo_u32 v13, v10, 11
	v_subrev_nc_u32_e32 v10, 21, v12
	v_dual_add_nc_u32 v48, -6, v12 :: v_dual_add_nc_u32 v61, -4, v12
	v_add_nc_u32_e32 v72, -2, v12
	s_delay_alu instid0(VALU_DEP_3)
	v_lshl_add_u64 v[20:21], v[10:11], 3, s[8:9]
	s_clause 0x1
	global_load_b128 v[16:19], v[20:21], off
	global_load_b64 v[22:23], v26, s[8:9] scale_offset
	global_load_b64 v[24:25], v13, s[10:11] scale_offset
	v_subrev_nc_u32_e32 v10, 19, v12
	v_add_nc_u32_e32 v31, 1, v13
	s_clause 0x1
	global_load_b64 v[20:21], v10, s[8:9] scale_offset
	global_load_b64 v[26:27], v30, s[8:9] scale_offset
	global_load_b64 v[28:29], v31, s[10:11] scale_offset
	s_wait_xcnt 0x2
	v_subrev_nc_u32_e32 v10, 18, v12
	v_add_nc_u32_e32 v37, 2, v13
	s_clause 0x1
	global_load_b64 v[30:31], v10, s[8:9] scale_offset
	global_load_b64 v[32:33], v36, s[8:9] scale_offset
	global_load_b64 v[34:35], v37, s[10:11] scale_offset
	s_wait_xcnt 0x2
	;; [unrolled: 7-line block ×3, first 2 shown]
	v_dual_add_nc_u32 v10, -16, v12 :: v_dual_add_nc_u32 v49, 4, v13
	s_clause 0x1
	global_load_b64 v[42:43], v10, s[8:9] scale_offset
	global_load_b64 v[44:45], v48, s[8:9] scale_offset
	;; [unrolled: 1-line block ×3, first 2 shown]
	s_wait_xcnt 0x2
	v_dual_add_nc_u32 v10, -5, v12 :: v_dual_add_nc_u32 v52, 5, v13
	global_load_b64 v[48:49], v10, s[8:9] scale_offset
	global_load_b64 v[50:51], v52, s[10:11] scale_offset
	s_wait_xcnt 0x1
	v_dual_add_nc_u32 v10, -15, v12 :: v_dual_add_nc_u32 v62, 6, v13
	s_clause 0x2
	global_load_b64 v[52:53], v10, s[8:9] scale_offset
	global_load_b64 v[54:55], v60, s[8:9] scale_offset
	;; [unrolled: 1-line block ×4, first 2 shown]
	s_wait_xcnt 0x3
	v_dual_add_nc_u32 v10, -13, v12 :: v_dual_add_nc_u32 v67, 7, v13
	s_clause 0x1
	global_load_b64 v[60:61], v10, s[8:9] scale_offset
	global_load_b64 v[62:63], v66, s[8:9] scale_offset
	global_load_b64 v[64:65], v67, s[10:11] scale_offset
	s_wait_xcnt 0x2
	v_dual_add_nc_u32 v10, -12, v12 :: v_dual_add_nc_u32 v73, 8, v13
	s_clause 0x1
	global_load_b64 v[66:67], v10, s[8:9] scale_offset
	global_load_b64 v[68:69], v72, s[8:9] scale_offset
	global_load_b64 v[70:71], v73, s[10:11] scale_offset
	;; [unrolled: 6-line block ×3, first 2 shown]
	s_wait_xcnt 0x2
	v_add_nc_u32_e32 v10, 10, v13
	global_load_b64 v[78:79], v12, s[8:9] scale_offset
	global_load_b64 v[80:81], v10, s[10:11] scale_offset
	s_wait_xcnt 0x1
	v_add_nc_u32_e32 v12, 0x160, v12
	s_wait_loadcnt 0x1d
	v_pk_fma_f32 v[0:1], v[16:17], v[24:25], v[0:1] op_sel_hi:[1,0,1]
	v_pk_fma_f32 v[8:9], v[22:23], v[24:25], v[8:9] op_sel_hi:[1,0,1]
	s_delay_alu instid0(VALU_DEP_2) | instskip(NEXT) | instid1(VALU_DEP_2)
	v_pk_fma_f32 v[0:1], v[16:17], v[24:25], v[0:1] op_sel:[1,1,0] op_sel_hi:[0,1,1] neg_lo:[1,0,0]
	v_pk_fma_f32 v[8:9], v[22:23], v[24:25], v[8:9] op_sel:[1,1,0] op_sel_hi:[0,1,1] neg_lo:[1,0,0]
	v_xor_b32_e32 v16, 0x80000000, v19
	v_mov_b32_e32 v17, v18
	s_wait_loadcnt 0x1a
	v_pk_fma_f32 v[0:1], v[18:19], v[28:29], v[0:1] op_sel_hi:[1,0,1]
	v_pk_fma_f32 v[8:9], v[26:27], v[28:29], v[8:9] op_sel_hi:[1,0,1]
	s_delay_alu instid0(VALU_DEP_2) | instskip(NEXT) | instid1(VALU_DEP_2)
	v_pk_fma_f32 v[0:1], v[16:17], v[28:29], v[0:1] op_sel:[0,1,0]
	v_pk_fma_f32 v[8:9], v[26:27], v[28:29], v[8:9] op_sel:[1,1,0] op_sel_hi:[0,1,1] neg_lo:[1,0,0]
	s_wait_loadcnt 0x17
	s_delay_alu instid0(VALU_DEP_2) | instskip(NEXT) | instid1(VALU_DEP_2)
	v_pk_fma_f32 v[0:1], v[20:21], v[34:35], v[0:1] op_sel_hi:[1,0,1]
	v_pk_fma_f32 v[8:9], v[32:33], v[34:35], v[8:9] op_sel_hi:[1,0,1]
	s_delay_alu instid0(VALU_DEP_2) | instskip(NEXT) | instid1(VALU_DEP_2)
	v_pk_fma_f32 v[0:1], v[20:21], v[34:35], v[0:1] op_sel:[1,1,0] op_sel_hi:[0,1,1] neg_lo:[1,0,0]
	v_pk_fma_f32 v[8:9], v[32:33], v[34:35], v[8:9] op_sel:[1,1,0] op_sel_hi:[0,1,1] neg_lo:[1,0,0]
	s_wait_loadcnt 0x14
	s_delay_alu instid0(VALU_DEP_2) | instskip(NEXT) | instid1(VALU_DEP_2)
	v_pk_fma_f32 v[0:1], v[30:31], v[40:41], v[0:1] op_sel_hi:[1,0,1]
	v_pk_fma_f32 v[8:9], v[38:39], v[40:41], v[8:9] op_sel_hi:[1,0,1]
	s_delay_alu instid0(VALU_DEP_2) | instskip(NEXT) | instid1(VALU_DEP_2)
	v_pk_fma_f32 v[0:1], v[30:31], v[40:41], v[0:1] op_sel:[1,1,0] op_sel_hi:[0,1,1] neg_lo:[1,0,0]
	;; [unrolled: 7-line block ×9, first 2 shown]
	v_pk_fma_f32 v[8:9], v[78:79], v[80:81], v[8:9] op_sel:[1,1,0] op_sel_hi:[0,1,1] neg_lo:[1,0,0]
	s_and_not1_b32 exec_lo, exec_lo, s2
	s_cbranch_execnz .LBB199_11
; %bb.12:
	s_or_b32 exec_lo, exec_lo, s2
.LBB199_13:
	s_delay_alu instid0(SALU_CYCLE_1)
	s_or_b32 exec_lo, exec_lo, s3
.LBB199_14:
	v_mbcnt_lo_u32_b32 v10, -1, 0
	s_delay_alu instid0(VALU_DEP_1) | instskip(SKIP_1) | instid1(VALU_DEP_1)
	v_xor_b32_e32 v15, 4, v10
	v_xor_b32_e32 v11, 8, v10
	v_cmp_gt_i32_e32 vcc_lo, 32, v11
	v_cndmask_b32_e32 v11, v10, v11, vcc_lo
	s_delay_alu instid0(VALU_DEP_1)
	v_lshlrev_b32_e32 v11, 2, v11
	ds_bpermute_b32 v13, v11, v1
	s_wait_dscnt 0x0
	v_add_f32_e32 v1, v1, v13
	ds_bpermute_b32 v12, v11, v0
	ds_bpermute_b32 v14, v11, v8
	;; [unrolled: 1-line block ×3, first 2 shown]
	s_wait_dscnt 0x2
	v_add_f32_e32 v0, v0, v12
	s_wait_dscnt 0x0
	v_dual_add_f32 v8, v8, v14 :: v_dual_add_f32 v9, v9, v11
	v_cmp_gt_i32_e32 vcc_lo, 32, v15
	v_cndmask_b32_e32 v15, v10, v15, vcc_lo
	s_delay_alu instid0(VALU_DEP_1)
	v_lshlrev_b32_e32 v15, 2, v15
	ds_bpermute_b32 v11, v15, v0
	ds_bpermute_b32 v12, v15, v1
	;; [unrolled: 1-line block ×4, first 2 shown]
	s_wait_dscnt 0x3
	v_dual_add_f32 v0, v0, v11 :: v_dual_bitop2_b32 v15, 2, v10 bitop3:0x14
	s_delay_alu instid0(VALU_DEP_1)
	v_cmp_gt_i32_e32 vcc_lo, 32, v15
	s_wait_dscnt 0x2
	v_add_f32_e32 v1, v1, v12
	s_wait_dscnt 0x0
	v_dual_add_f32 v9, v9, v14 :: v_dual_add_f32 v11, v8, v13
	v_cndmask_b32_e32 v15, v10, v15, vcc_lo
	s_delay_alu instid0(VALU_DEP_1)
	v_lshlrev_b32_e32 v15, 2, v15
	ds_bpermute_b32 v8, v15, v0
	ds_bpermute_b32 v12, v15, v1
	;; [unrolled: 1-line block ×4, first 2 shown]
	s_wait_dscnt 0x3
	v_dual_add_f32 v0, v0, v8 :: v_dual_bitop2_b32 v15, 1, v10 bitop3:0x14
	s_delay_alu instid0(VALU_DEP_1)
	v_cmp_gt_i32_e32 vcc_lo, 32, v15
	s_wait_dscnt 0x2
	v_dual_add_f32 v8, v1, v12 :: v_dual_cndmask_b32 v10, v10, v15, vcc_lo
	s_wait_dscnt 0x0
	v_dual_add_f32 v1, v11, v13 :: v_dual_add_f32 v9, v9, v14
	v_cmp_eq_u32_e32 vcc_lo, 15, v7
	s_delay_alu instid0(VALU_DEP_3)
	v_lshlrev_b32_e32 v15, 2, v10
	ds_bpermute_b32 v12, v15, v0
	ds_bpermute_b32 v13, v15, v8
	;; [unrolled: 1-line block ×4, first 2 shown]
	s_and_b32 exec_lo, exec_lo, vcc_lo
	s_cbranch_execz .LBB199_19
; %bb.15:
	s_load_b64 s[2:3], s[0:1], 0x38
	v_cmp_eq_f32_e32 vcc_lo, 0, v4
	s_wait_xcnt 0x0
	v_cmp_eq_f32_e64 s0, 0, v5
	s_wait_dscnt 0x3
	v_add_f32_e32 v0, v0, v12
	s_wait_dscnt 0x1
	v_dual_add_f32 v12, v8, v13 :: v_dual_add_f32 v8, v1, v10
	s_wait_dscnt 0x0
	v_add_f32_e32 v10, v9, v11
	s_and_b32 s0, vcc_lo, s0
	s_delay_alu instid0(SALU_CYCLE_1) | instskip(NEXT) | instid1(SALU_CYCLE_1)
	s_and_saveexec_b32 s1, s0
	s_xor_b32 s0, exec_lo, s1
	s_cbranch_execz .LBB199_17
; %bb.16:
	v_xor_b32_e32 v4, 0x80000000, v3
	v_dual_mov_b32 v5, v2 :: v_dual_lshlrev_b32 v6, 1, v6
	s_delay_alu instid0(VALU_DEP_1) | instskip(NEXT) | instid1(VALU_DEP_2)
	v_ashrrev_i32_e32 v7, 31, v6
	v_pk_mul_f32 v[12:13], v[12:13], v[4:5] op_sel_hi:[0,1]
	v_pk_mul_f32 v[4:5], v[10:11], v[4:5] op_sel_hi:[0,1]
                                        ; implicit-def: $vgpr10
	s_wait_kmcnt 0x0
	s_delay_alu instid0(VALU_DEP_3) | instskip(NEXT) | instid1(VALU_DEP_3)
	v_lshl_add_u64 v[6:7], v[6:7], 3, s[2:3]
	v_pk_fma_f32 v[0:1], v[2:3], v[0:1], v[12:13] op_sel_hi:[1,0,1]
	s_delay_alu instid0(VALU_DEP_3)
	v_pk_fma_f32 v[2:3], v[2:3], v[8:9], v[4:5] op_sel_hi:[1,0,1]
                                        ; implicit-def: $vgpr4_vgpr5
                                        ; implicit-def: $vgpr12
                                        ; implicit-def: $vgpr8
	global_store_b128 v[6:7], v[0:3], off
                                        ; implicit-def: $vgpr6
                                        ; implicit-def: $vgpr2_vgpr3
                                        ; implicit-def: $vgpr0
.LBB199_17:
	s_wait_xcnt 0x0
	s_and_not1_saveexec_b32 s0, s0
	s_cbranch_execz .LBB199_19
; %bb.18:
	v_dual_mov_b32 v19, v2 :: v_dual_lshlrev_b32 v6, 1, v6
	v_xor_b32_e32 v18, 0x80000000, v3
	s_delay_alu instid0(VALU_DEP_2) | instskip(NEXT) | instid1(VALU_DEP_2)
	v_ashrrev_i32_e32 v7, 31, v6
	v_pk_mul_f32 v[12:13], v[12:13], v[18:19] op_sel_hi:[0,1]
	v_pk_mul_f32 v[10:11], v[10:11], v[18:19] op_sel_hi:[0,1]
	s_delay_alu instid0(VALU_DEP_2) | instskip(NEXT) | instid1(VALU_DEP_2)
	v_pk_fma_f32 v[0:1], v[2:3], v[0:1], v[12:13] op_sel_hi:[1,0,1]
	v_pk_fma_f32 v[2:3], v[2:3], v[8:9], v[10:11] op_sel_hi:[1,0,1]
	v_mov_b32_e32 v9, v4
	s_wait_kmcnt 0x0
	v_lshl_add_u64 v[6:7], v[6:7], 3, s[2:3]
	v_xor_b32_e32 v8, 0x80000000, v5
	global_load_b128 v[14:17], v[6:7], off
	s_wait_loadcnt 0x0
	v_pk_fma_f32 v[0:1], v[4:5], v[14:15], v[0:1] op_sel_hi:[1,0,1]
	v_pk_fma_f32 v[2:3], v[4:5], v[16:17], v[2:3] op_sel_hi:[1,0,1]
	v_mov_b32_e32 v4, v17
	s_delay_alu instid0(VALU_DEP_3) | instskip(NEXT) | instid1(VALU_DEP_2)
	v_pk_fma_f32 v[0:1], v[8:9], v[14:15], v[0:1] op_sel:[0,1,0]
	v_pk_fma_f32 v[2:3], v[8:9], v[4:5], v[2:3] op_sel_hi:[1,0,1]
	global_store_b128 v[6:7], v[0:3], off
.LBB199_19:
	s_sendmsg sendmsg(MSG_DEALLOC_VGPRS)
	s_endpgm
	.section	.rodata,"a",@progbits
	.p2align	6, 0x0
	.amdhsa_kernel _ZN9rocsparseL19gebsrmvn_2xn_kernelILj128ELj11ELj16E21rocsparse_complex_numIfEEEvi20rocsparse_direction_NS_24const_host_device_scalarIT2_EEPKiS8_PKS5_SA_S6_PS5_21rocsparse_index_base_b
		.amdhsa_group_segment_fixed_size 0
		.amdhsa_private_segment_fixed_size 0
		.amdhsa_kernarg_size 72
		.amdhsa_user_sgpr_count 2
		.amdhsa_user_sgpr_dispatch_ptr 0
		.amdhsa_user_sgpr_queue_ptr 0
		.amdhsa_user_sgpr_kernarg_segment_ptr 1
		.amdhsa_user_sgpr_dispatch_id 0
		.amdhsa_user_sgpr_kernarg_preload_length 0
		.amdhsa_user_sgpr_kernarg_preload_offset 0
		.amdhsa_user_sgpr_private_segment_size 0
		.amdhsa_wavefront_size32 1
		.amdhsa_uses_dynamic_stack 0
		.amdhsa_enable_private_segment 0
		.amdhsa_system_sgpr_workgroup_id_x 1
		.amdhsa_system_sgpr_workgroup_id_y 0
		.amdhsa_system_sgpr_workgroup_id_z 0
		.amdhsa_system_sgpr_workgroup_info 0
		.amdhsa_system_vgpr_workitem_id 0
		.amdhsa_next_free_vgpr 86
		.amdhsa_next_free_sgpr 14
		.amdhsa_named_barrier_count 0
		.amdhsa_reserve_vcc 1
		.amdhsa_float_round_mode_32 0
		.amdhsa_float_round_mode_16_64 0
		.amdhsa_float_denorm_mode_32 3
		.amdhsa_float_denorm_mode_16_64 3
		.amdhsa_fp16_overflow 0
		.amdhsa_memory_ordered 1
		.amdhsa_forward_progress 1
		.amdhsa_inst_pref_size 28
		.amdhsa_round_robin_scheduling 0
		.amdhsa_exception_fp_ieee_invalid_op 0
		.amdhsa_exception_fp_denorm_src 0
		.amdhsa_exception_fp_ieee_div_zero 0
		.amdhsa_exception_fp_ieee_overflow 0
		.amdhsa_exception_fp_ieee_underflow 0
		.amdhsa_exception_fp_ieee_inexact 0
		.amdhsa_exception_int_div_zero 0
	.end_amdhsa_kernel
	.section	.text._ZN9rocsparseL19gebsrmvn_2xn_kernelILj128ELj11ELj16E21rocsparse_complex_numIfEEEvi20rocsparse_direction_NS_24const_host_device_scalarIT2_EEPKiS8_PKS5_SA_S6_PS5_21rocsparse_index_base_b,"axG",@progbits,_ZN9rocsparseL19gebsrmvn_2xn_kernelILj128ELj11ELj16E21rocsparse_complex_numIfEEEvi20rocsparse_direction_NS_24const_host_device_scalarIT2_EEPKiS8_PKS5_SA_S6_PS5_21rocsparse_index_base_b,comdat
.Lfunc_end199:
	.size	_ZN9rocsparseL19gebsrmvn_2xn_kernelILj128ELj11ELj16E21rocsparse_complex_numIfEEEvi20rocsparse_direction_NS_24const_host_device_scalarIT2_EEPKiS8_PKS5_SA_S6_PS5_21rocsparse_index_base_b, .Lfunc_end199-_ZN9rocsparseL19gebsrmvn_2xn_kernelILj128ELj11ELj16E21rocsparse_complex_numIfEEEvi20rocsparse_direction_NS_24const_host_device_scalarIT2_EEPKiS8_PKS5_SA_S6_PS5_21rocsparse_index_base_b
                                        ; -- End function
	.set _ZN9rocsparseL19gebsrmvn_2xn_kernelILj128ELj11ELj16E21rocsparse_complex_numIfEEEvi20rocsparse_direction_NS_24const_host_device_scalarIT2_EEPKiS8_PKS5_SA_S6_PS5_21rocsparse_index_base_b.num_vgpr, 86
	.set _ZN9rocsparseL19gebsrmvn_2xn_kernelILj128ELj11ELj16E21rocsparse_complex_numIfEEEvi20rocsparse_direction_NS_24const_host_device_scalarIT2_EEPKiS8_PKS5_SA_S6_PS5_21rocsparse_index_base_b.num_agpr, 0
	.set _ZN9rocsparseL19gebsrmvn_2xn_kernelILj128ELj11ELj16E21rocsparse_complex_numIfEEEvi20rocsparse_direction_NS_24const_host_device_scalarIT2_EEPKiS8_PKS5_SA_S6_PS5_21rocsparse_index_base_b.numbered_sgpr, 14
	.set _ZN9rocsparseL19gebsrmvn_2xn_kernelILj128ELj11ELj16E21rocsparse_complex_numIfEEEvi20rocsparse_direction_NS_24const_host_device_scalarIT2_EEPKiS8_PKS5_SA_S6_PS5_21rocsparse_index_base_b.num_named_barrier, 0
	.set _ZN9rocsparseL19gebsrmvn_2xn_kernelILj128ELj11ELj16E21rocsparse_complex_numIfEEEvi20rocsparse_direction_NS_24const_host_device_scalarIT2_EEPKiS8_PKS5_SA_S6_PS5_21rocsparse_index_base_b.private_seg_size, 0
	.set _ZN9rocsparseL19gebsrmvn_2xn_kernelILj128ELj11ELj16E21rocsparse_complex_numIfEEEvi20rocsparse_direction_NS_24const_host_device_scalarIT2_EEPKiS8_PKS5_SA_S6_PS5_21rocsparse_index_base_b.uses_vcc, 1
	.set _ZN9rocsparseL19gebsrmvn_2xn_kernelILj128ELj11ELj16E21rocsparse_complex_numIfEEEvi20rocsparse_direction_NS_24const_host_device_scalarIT2_EEPKiS8_PKS5_SA_S6_PS5_21rocsparse_index_base_b.uses_flat_scratch, 1
	.set _ZN9rocsparseL19gebsrmvn_2xn_kernelILj128ELj11ELj16E21rocsparse_complex_numIfEEEvi20rocsparse_direction_NS_24const_host_device_scalarIT2_EEPKiS8_PKS5_SA_S6_PS5_21rocsparse_index_base_b.has_dyn_sized_stack, 0
	.set _ZN9rocsparseL19gebsrmvn_2xn_kernelILj128ELj11ELj16E21rocsparse_complex_numIfEEEvi20rocsparse_direction_NS_24const_host_device_scalarIT2_EEPKiS8_PKS5_SA_S6_PS5_21rocsparse_index_base_b.has_recursion, 0
	.set _ZN9rocsparseL19gebsrmvn_2xn_kernelILj128ELj11ELj16E21rocsparse_complex_numIfEEEvi20rocsparse_direction_NS_24const_host_device_scalarIT2_EEPKiS8_PKS5_SA_S6_PS5_21rocsparse_index_base_b.has_indirect_call, 0
	.section	.AMDGPU.csdata,"",@progbits
; Kernel info:
; codeLenInByte = 3540
; TotalNumSgprs: 16
; NumVgprs: 86
; ScratchSize: 0
; MemoryBound: 0
; FloatMode: 240
; IeeeMode: 1
; LDSByteSize: 0 bytes/workgroup (compile time only)
; SGPRBlocks: 0
; VGPRBlocks: 5
; NumSGPRsForWavesPerEU: 16
; NumVGPRsForWavesPerEU: 86
; NamedBarCnt: 0
; Occupancy: 10
; WaveLimiterHint : 1
; COMPUTE_PGM_RSRC2:SCRATCH_EN: 0
; COMPUTE_PGM_RSRC2:USER_SGPR: 2
; COMPUTE_PGM_RSRC2:TRAP_HANDLER: 0
; COMPUTE_PGM_RSRC2:TGID_X_EN: 1
; COMPUTE_PGM_RSRC2:TGID_Y_EN: 0
; COMPUTE_PGM_RSRC2:TGID_Z_EN: 0
; COMPUTE_PGM_RSRC2:TIDIG_COMP_CNT: 0
	.section	.text._ZN9rocsparseL19gebsrmvn_2xn_kernelILj128ELj11ELj32E21rocsparse_complex_numIfEEEvi20rocsparse_direction_NS_24const_host_device_scalarIT2_EEPKiS8_PKS5_SA_S6_PS5_21rocsparse_index_base_b,"axG",@progbits,_ZN9rocsparseL19gebsrmvn_2xn_kernelILj128ELj11ELj32E21rocsparse_complex_numIfEEEvi20rocsparse_direction_NS_24const_host_device_scalarIT2_EEPKiS8_PKS5_SA_S6_PS5_21rocsparse_index_base_b,comdat
	.globl	_ZN9rocsparseL19gebsrmvn_2xn_kernelILj128ELj11ELj32E21rocsparse_complex_numIfEEEvi20rocsparse_direction_NS_24const_host_device_scalarIT2_EEPKiS8_PKS5_SA_S6_PS5_21rocsparse_index_base_b ; -- Begin function _ZN9rocsparseL19gebsrmvn_2xn_kernelILj128ELj11ELj32E21rocsparse_complex_numIfEEEvi20rocsparse_direction_NS_24const_host_device_scalarIT2_EEPKiS8_PKS5_SA_S6_PS5_21rocsparse_index_base_b
	.p2align	8
	.type	_ZN9rocsparseL19gebsrmvn_2xn_kernelILj128ELj11ELj32E21rocsparse_complex_numIfEEEvi20rocsparse_direction_NS_24const_host_device_scalarIT2_EEPKiS8_PKS5_SA_S6_PS5_21rocsparse_index_base_b,@function
_ZN9rocsparseL19gebsrmvn_2xn_kernelILj128ELj11ELj32E21rocsparse_complex_numIfEEEvi20rocsparse_direction_NS_24const_host_device_scalarIT2_EEPKiS8_PKS5_SA_S6_PS5_21rocsparse_index_base_b: ; @_ZN9rocsparseL19gebsrmvn_2xn_kernelILj128ELj11ELj32E21rocsparse_complex_numIfEEEvi20rocsparse_direction_NS_24const_host_device_scalarIT2_EEPKiS8_PKS5_SA_S6_PS5_21rocsparse_index_base_b
; %bb.0:
	s_clause 0x2
	s_load_b64 s[12:13], s[0:1], 0x40
	s_load_b64 s[2:3], s[0:1], 0x8
	;; [unrolled: 1-line block ×3, first 2 shown]
	v_mov_b32_e32 v1, 0
	s_add_nc_u64 s[6:7], s[0:1], 8
	s_add_nc_u64 s[8:9], s[0:1], 48
	s_wait_kmcnt 0x0
	s_bitcmp1_b32 s13, 0
	s_cselect_b32 s3, s7, s3
	s_cselect_b32 s2, s6, s2
	;; [unrolled: 1-line block ×4, first 2 shown]
	s_clause 0x1
	flat_load_b64 v[2:3], v1, s[2:3]
	flat_load_b64 v[4:5], v1, s[4:5]
	s_wait_loadcnt_dscnt 0x101
	v_cmp_eq_f32_e32 vcc_lo, 0, v2
	v_cmp_eq_f32_e64 s2, 0, v3
	s_wait_loadcnt_dscnt 0x0
	v_cmp_eq_f32_e64 s3, 1.0, v4
	v_cmp_eq_f32_e64 s4, 0, v5
	s_and_b32 s2, vcc_lo, s2
	s_and_b32 s3, s3, s4
	s_delay_alu instid0(SALU_CYCLE_1) | instskip(NEXT) | instid1(SALU_CYCLE_1)
	s_and_b32 s2, s2, s3
	s_xor_b32 s2, s2, -1
	s_delay_alu instid0(SALU_CYCLE_1)
	s_and_saveexec_b32 s3, s2
	s_cbranch_execz .LBB200_19
; %bb.1:
	s_load_b64 s[2:3], s[0:1], 0x0
	s_bfe_u32 s4, ttmp6, 0x4000c
	s_and_b32 s5, ttmp6, 15
	s_add_co_i32 s4, s4, 1
	s_getreg_b32 s6, hwreg(HW_REG_IB_STS2, 6, 4)
	s_mul_i32 s4, ttmp9, s4
	v_lshrrev_b32_e32 v1, 5, v0
	s_add_co_i32 s5, s5, s4
	s_cmp_eq_u32 s6, 0
	s_cselect_b32 s4, ttmp9, s5
	s_delay_alu instid0(VALU_DEP_1) | instid1(SALU_CYCLE_1)
	v_lshl_or_b32 v6, s4, 2, v1
	s_wait_kmcnt 0x0
	s_delay_alu instid0(VALU_DEP_1)
	v_cmp_gt_i32_e32 vcc_lo, s2, v6
	s_and_b32 exec_lo, exec_lo, vcc_lo
	s_cbranch_execz .LBB200_19
; %bb.2:
	s_load_b256 s[4:11], s[0:1], 0x10
	v_ashrrev_i32_e32 v7, 31, v6
	s_cmp_lg_u32 s3, 0
	s_wait_kmcnt 0x0
	s_delay_alu instid0(VALU_DEP_1)
	v_lshl_add_u64 v[8:9], v[6:7], 2, s[4:5]
	v_and_b32_e32 v7, 31, v0
	global_load_b64 v[8:9], v[8:9], off
	s_wait_loadcnt 0x0
	v_subrev_nc_u32_e32 v0, s12, v8
	v_subrev_nc_u32_e32 v14, s12, v9
	s_delay_alu instid0(VALU_DEP_2) | instskip(NEXT) | instid1(VALU_DEP_1)
	v_add_nc_u32_e32 v15, v0, v7
	v_cmp_lt_i32_e64 s2, v15, v14
	s_cbranch_scc0 .LBB200_8
; %bb.3:
	v_mov_b32_e32 v1, 0
	s_delay_alu instid0(VALU_DEP_1)
	v_dual_mov_b32 v0, v1 :: v_dual_mov_b32 v9, v1
	v_mov_b32_e32 v8, v1
	s_and_saveexec_b32 s3, s2
	s_cbranch_execz .LBB200_7
; %bb.4:
	v_mad_u32 v12, v15, 22, 20
	v_dual_mov_b32 v11, 0 :: v_dual_mov_b32 v16, v15
	v_mov_b32_e32 v1, 0
	s_mov_b32 s4, 0
	s_delay_alu instid0(VALU_DEP_2)
	v_dual_mov_b32 v0, v11 :: v_dual_mov_b32 v8, v11
	v_mov_b32_e32 v9, v11
.LBB200_5:                              ; =>This Inner Loop Header: Depth=1
	global_load_b32 v10, v16, s[6:7] scale_offset
	s_wait_xcnt 0x0
	v_add_nc_u32_e32 v16, 32, v16
	s_delay_alu instid0(VALU_DEP_1) | instskip(SKIP_3) | instid1(VALU_DEP_1)
	v_cmp_ge_i32_e32 vcc_lo, v16, v14
	s_or_b32 s4, vcc_lo, s4
	s_wait_loadcnt 0x0
	v_subrev_nc_u32_e32 v10, s12, v10
	v_mul_lo_u32 v17, v10, 11
	v_subrev_nc_u32_e32 v10, 20, v12
	s_delay_alu instid0(VALU_DEP_1)
	v_lshl_add_u64 v[22:23], v[10:11], 3, s[8:9]
	v_subrev_nc_u32_e32 v10, 18, v12
	global_load_b128 v[18:21], v[22:23], off
	global_load_b64 v[62:63], v17, s[10:11] scale_offset
	v_lshl_add_u64 v[26:27], v[10:11], 3, s[8:9]
	v_dual_add_nc_u32 v13, 1, v17 :: v_dual_add_nc_u32 v10, -16, v12
	global_load_b128 v[22:25], v[26:27], off
	global_load_b64 v[64:65], v13, s[10:11] scale_offset
	s_wait_xcnt 0x0
	v_add_nc_u32_e32 v13, 2, v17
	v_lshl_add_u64 v[30:31], v[10:11], 3, s[8:9]
	v_add_nc_u32_e32 v10, -14, v12
	global_load_b128 v[26:29], v[30:31], off
	global_load_b64 v[66:67], v13, s[10:11] scale_offset
	v_lshl_add_u64 v[34:35], v[10:11], 3, s[8:9]
	s_wait_xcnt 0x0
	v_dual_add_nc_u32 v13, 3, v17 :: v_dual_add_nc_u32 v10, -12, v12
	global_load_b128 v[30:33], v[34:35], off
	global_load_b64 v[68:69], v13, s[10:11] scale_offset
	s_wait_xcnt 0x0
	v_add_nc_u32_e32 v13, 4, v17
	v_lshl_add_u64 v[38:39], v[10:11], 3, s[8:9]
	v_add_nc_u32_e32 v10, -10, v12
	global_load_b128 v[34:37], v[38:39], off
	global_load_b64 v[70:71], v13, s[10:11] scale_offset
	v_lshl_add_u64 v[42:43], v[10:11], 3, s[8:9]
	s_wait_xcnt 0x0
	;; [unrolled: 11-line block ×4, first 2 shown]
	v_dual_mov_b32 v13, v11 :: v_dual_add_nc_u32 v10, 9, v17
	global_load_b128 v[54:57], v[58:59], off
	global_load_b64 v[80:81], v10, s[10:11] scale_offset
	s_wait_xcnt 0x0
	v_add_nc_u32_e32 v10, 10, v17
	v_lshl_add_u64 v[82:83], v[12:13], 3, s[8:9]
	global_load_b128 v[58:61], v[82:83], off
	global_load_b64 v[84:85], v10, s[10:11] scale_offset
	v_add_nc_u32_e32 v12, 0x2c0, v12
	s_wait_loadcnt 0x15
	s_wait_xcnt 0x1
	v_xor_b32_e32 v82, 0x80000000, v21
	v_mov_b32_e32 v83, v20
	s_wait_loadcnt 0x14
	v_pk_fma_f32 v[0:1], v[18:19], v[62:63], v[0:1] op_sel_hi:[1,0,1]
	v_pk_fma_f32 v[8:9], v[20:21], v[62:63], v[8:9] op_sel_hi:[1,0,1]
	s_delay_alu instid0(VALU_DEP_2) | instskip(NEXT) | instid1(VALU_DEP_2)
	v_pk_fma_f32 v[0:1], v[18:19], v[62:63], v[0:1] op_sel:[1,1,0] op_sel_hi:[0,1,1] neg_lo:[1,0,0]
	v_pk_fma_f32 v[8:9], v[82:83], v[62:63], v[8:9] op_sel:[0,1,0]
	s_wait_loadcnt 0x13
	v_xor_b32_e32 v18, 0x80000000, v25
	v_mov_b32_e32 v19, v24
	s_wait_loadcnt 0x12
	v_pk_fma_f32 v[0:1], v[22:23], v[64:65], v[0:1] op_sel_hi:[1,0,1]
	v_pk_fma_f32 v[8:9], v[24:25], v[64:65], v[8:9] op_sel_hi:[1,0,1]
	s_delay_alu instid0(VALU_DEP_2) | instskip(NEXT) | instid1(VALU_DEP_2)
	v_pk_fma_f32 v[0:1], v[22:23], v[64:65], v[0:1] op_sel:[1,1,0] op_sel_hi:[0,1,1] neg_lo:[1,0,0]
	v_pk_fma_f32 v[8:9], v[18:19], v[64:65], v[8:9] op_sel:[0,1,0]
	s_wait_loadcnt 0x11
	;; [unrolled: 9-line block ×10, first 2 shown]
	v_xor_b32_e32 v18, 0x80000000, v61
	v_mov_b32_e32 v19, v60
	s_wait_loadcnt 0x0
	v_pk_fma_f32 v[0:1], v[58:59], v[84:85], v[0:1] op_sel_hi:[1,0,1]
	v_pk_fma_f32 v[8:9], v[60:61], v[84:85], v[8:9] op_sel_hi:[1,0,1]
	s_delay_alu instid0(VALU_DEP_2) | instskip(NEXT) | instid1(VALU_DEP_2)
	v_pk_fma_f32 v[0:1], v[58:59], v[84:85], v[0:1] op_sel:[1,1,0] op_sel_hi:[0,1,1] neg_lo:[1,0,0]
	v_pk_fma_f32 v[8:9], v[18:19], v[84:85], v[8:9] op_sel:[0,1,0]
	s_and_not1_b32 exec_lo, exec_lo, s4
	s_cbranch_execnz .LBB200_5
; %bb.6:
	s_or_b32 exec_lo, exec_lo, s4
.LBB200_7:
	s_delay_alu instid0(SALU_CYCLE_1)
	s_or_b32 exec_lo, exec_lo, s3
	s_cbranch_execz .LBB200_9
	s_branch .LBB200_14
.LBB200_8:
                                        ; implicit-def: $vgpr1
                                        ; implicit-def: $vgpr9
.LBB200_9:
	v_mov_b32_e32 v1, 0
	s_delay_alu instid0(VALU_DEP_1)
	v_dual_mov_b32 v0, v1 :: v_dual_mov_b32 v9, v1
	v_mov_b32_e32 v8, v1
	s_and_saveexec_b32 s3, s2
	s_cbranch_execz .LBB200_13
; %bb.10:
	v_mad_u32 v12, v15, 22, 21
	v_dual_mov_b32 v11, 0 :: v_dual_mov_b32 v1, 0
	s_mov_b32 s2, 0
	s_delay_alu instid0(VALU_DEP_1)
	v_dual_mov_b32 v0, v11 :: v_dual_mov_b32 v8, v11
	v_mov_b32_e32 v9, v11
.LBB200_11:                             ; =>This Inner Loop Header: Depth=1
	global_load_b32 v10, v15, s[6:7] scale_offset
	v_dual_add_nc_u32 v26, -10, v12 :: v_dual_add_nc_u32 v30, -9, v12
	v_dual_add_nc_u32 v36, -8, v12 :: v_dual_add_nc_u32 v42, -7, v12
	;; [unrolled: 1-line block ×3, first 2 shown]
	s_wait_xcnt 0x0
	v_dual_add_nc_u32 v78, -1, v12 :: v_dual_add_nc_u32 v15, 32, v15
	s_delay_alu instid0(VALU_DEP_1) | instskip(SKIP_3) | instid1(VALU_DEP_1)
	v_cmp_ge_i32_e32 vcc_lo, v15, v14
	s_or_b32 s2, vcc_lo, s2
	s_wait_loadcnt 0x0
	v_subrev_nc_u32_e32 v10, s12, v10
	v_mul_lo_u32 v13, v10, 11
	v_subrev_nc_u32_e32 v10, 21, v12
	v_dual_add_nc_u32 v48, -6, v12 :: v_dual_add_nc_u32 v61, -4, v12
	v_add_nc_u32_e32 v72, -2, v12
	s_delay_alu instid0(VALU_DEP_3)
	v_lshl_add_u64 v[20:21], v[10:11], 3, s[8:9]
	s_clause 0x1
	global_load_b128 v[16:19], v[20:21], off
	global_load_b64 v[22:23], v26, s[8:9] scale_offset
	global_load_b64 v[24:25], v13, s[10:11] scale_offset
	v_subrev_nc_u32_e32 v10, 19, v12
	v_add_nc_u32_e32 v31, 1, v13
	s_clause 0x1
	global_load_b64 v[20:21], v10, s[8:9] scale_offset
	global_load_b64 v[26:27], v30, s[8:9] scale_offset
	global_load_b64 v[28:29], v31, s[10:11] scale_offset
	s_wait_xcnt 0x2
	v_subrev_nc_u32_e32 v10, 18, v12
	v_add_nc_u32_e32 v37, 2, v13
	s_clause 0x1
	global_load_b64 v[30:31], v10, s[8:9] scale_offset
	global_load_b64 v[32:33], v36, s[8:9] scale_offset
	global_load_b64 v[34:35], v37, s[10:11] scale_offset
	s_wait_xcnt 0x2
	;; [unrolled: 7-line block ×3, first 2 shown]
	v_dual_add_nc_u32 v10, -16, v12 :: v_dual_add_nc_u32 v49, 4, v13
	s_clause 0x1
	global_load_b64 v[42:43], v10, s[8:9] scale_offset
	global_load_b64 v[44:45], v48, s[8:9] scale_offset
	;; [unrolled: 1-line block ×3, first 2 shown]
	s_wait_xcnt 0x2
	v_dual_add_nc_u32 v10, -5, v12 :: v_dual_add_nc_u32 v52, 5, v13
	global_load_b64 v[48:49], v10, s[8:9] scale_offset
	global_load_b64 v[50:51], v52, s[10:11] scale_offset
	s_wait_xcnt 0x1
	v_dual_add_nc_u32 v10, -15, v12 :: v_dual_add_nc_u32 v62, 6, v13
	s_clause 0x2
	global_load_b64 v[52:53], v10, s[8:9] scale_offset
	global_load_b64 v[54:55], v60, s[8:9] scale_offset
	;; [unrolled: 1-line block ×4, first 2 shown]
	s_wait_xcnt 0x3
	v_dual_add_nc_u32 v10, -13, v12 :: v_dual_add_nc_u32 v67, 7, v13
	s_clause 0x1
	global_load_b64 v[60:61], v10, s[8:9] scale_offset
	global_load_b64 v[62:63], v66, s[8:9] scale_offset
	global_load_b64 v[64:65], v67, s[10:11] scale_offset
	s_wait_xcnt 0x2
	v_dual_add_nc_u32 v10, -12, v12 :: v_dual_add_nc_u32 v73, 8, v13
	s_clause 0x1
	global_load_b64 v[66:67], v10, s[8:9] scale_offset
	global_load_b64 v[68:69], v72, s[8:9] scale_offset
	global_load_b64 v[70:71], v73, s[10:11] scale_offset
	;; [unrolled: 6-line block ×3, first 2 shown]
	s_wait_xcnt 0x2
	v_add_nc_u32_e32 v10, 10, v13
	global_load_b64 v[78:79], v12, s[8:9] scale_offset
	global_load_b64 v[80:81], v10, s[10:11] scale_offset
	s_wait_xcnt 0x1
	v_add_nc_u32_e32 v12, 0x2c0, v12
	s_wait_loadcnt 0x1d
	v_pk_fma_f32 v[0:1], v[16:17], v[24:25], v[0:1] op_sel_hi:[1,0,1]
	v_pk_fma_f32 v[8:9], v[22:23], v[24:25], v[8:9] op_sel_hi:[1,0,1]
	s_delay_alu instid0(VALU_DEP_2) | instskip(NEXT) | instid1(VALU_DEP_2)
	v_pk_fma_f32 v[0:1], v[16:17], v[24:25], v[0:1] op_sel:[1,1,0] op_sel_hi:[0,1,1] neg_lo:[1,0,0]
	v_pk_fma_f32 v[8:9], v[22:23], v[24:25], v[8:9] op_sel:[1,1,0] op_sel_hi:[0,1,1] neg_lo:[1,0,0]
	v_xor_b32_e32 v16, 0x80000000, v19
	v_mov_b32_e32 v17, v18
	s_wait_loadcnt 0x1a
	v_pk_fma_f32 v[0:1], v[18:19], v[28:29], v[0:1] op_sel_hi:[1,0,1]
	v_pk_fma_f32 v[8:9], v[26:27], v[28:29], v[8:9] op_sel_hi:[1,0,1]
	s_delay_alu instid0(VALU_DEP_2) | instskip(NEXT) | instid1(VALU_DEP_2)
	v_pk_fma_f32 v[0:1], v[16:17], v[28:29], v[0:1] op_sel:[0,1,0]
	v_pk_fma_f32 v[8:9], v[26:27], v[28:29], v[8:9] op_sel:[1,1,0] op_sel_hi:[0,1,1] neg_lo:[1,0,0]
	s_wait_loadcnt 0x17
	s_delay_alu instid0(VALU_DEP_2) | instskip(NEXT) | instid1(VALU_DEP_2)
	v_pk_fma_f32 v[0:1], v[20:21], v[34:35], v[0:1] op_sel_hi:[1,0,1]
	v_pk_fma_f32 v[8:9], v[32:33], v[34:35], v[8:9] op_sel_hi:[1,0,1]
	s_delay_alu instid0(VALU_DEP_2) | instskip(NEXT) | instid1(VALU_DEP_2)
	v_pk_fma_f32 v[0:1], v[20:21], v[34:35], v[0:1] op_sel:[1,1,0] op_sel_hi:[0,1,1] neg_lo:[1,0,0]
	v_pk_fma_f32 v[8:9], v[32:33], v[34:35], v[8:9] op_sel:[1,1,0] op_sel_hi:[0,1,1] neg_lo:[1,0,0]
	s_wait_loadcnt 0x14
	s_delay_alu instid0(VALU_DEP_2) | instskip(NEXT) | instid1(VALU_DEP_2)
	v_pk_fma_f32 v[0:1], v[30:31], v[40:41], v[0:1] op_sel_hi:[1,0,1]
	v_pk_fma_f32 v[8:9], v[38:39], v[40:41], v[8:9] op_sel_hi:[1,0,1]
	s_delay_alu instid0(VALU_DEP_2) | instskip(NEXT) | instid1(VALU_DEP_2)
	v_pk_fma_f32 v[0:1], v[30:31], v[40:41], v[0:1] op_sel:[1,1,0] op_sel_hi:[0,1,1] neg_lo:[1,0,0]
	;; [unrolled: 7-line block ×9, first 2 shown]
	v_pk_fma_f32 v[8:9], v[78:79], v[80:81], v[8:9] op_sel:[1,1,0] op_sel_hi:[0,1,1] neg_lo:[1,0,0]
	s_and_not1_b32 exec_lo, exec_lo, s2
	s_cbranch_execnz .LBB200_11
; %bb.12:
	s_or_b32 exec_lo, exec_lo, s2
.LBB200_13:
	s_delay_alu instid0(SALU_CYCLE_1)
	s_or_b32 exec_lo, exec_lo, s3
.LBB200_14:
	v_mbcnt_lo_u32_b32 v10, -1, 0
	s_delay_alu instid0(VALU_DEP_1) | instskip(SKIP_1) | instid1(VALU_DEP_1)
	v_xor_b32_e32 v15, 8, v10
	v_xor_b32_e32 v11, 16, v10
	v_cmp_gt_i32_e32 vcc_lo, 32, v11
	v_cndmask_b32_e32 v11, v10, v11, vcc_lo
	s_delay_alu instid0(VALU_DEP_1)
	v_lshlrev_b32_e32 v11, 2, v11
	ds_bpermute_b32 v13, v11, v1
	s_wait_dscnt 0x0
	v_add_f32_e32 v1, v1, v13
	ds_bpermute_b32 v12, v11, v0
	ds_bpermute_b32 v14, v11, v8
	;; [unrolled: 1-line block ×3, first 2 shown]
	s_wait_dscnt 0x2
	v_add_f32_e32 v0, v0, v12
	s_wait_dscnt 0x0
	v_dual_add_f32 v8, v8, v14 :: v_dual_add_f32 v9, v9, v11
	v_cmp_gt_i32_e32 vcc_lo, 32, v15
	v_cndmask_b32_e32 v15, v10, v15, vcc_lo
	s_delay_alu instid0(VALU_DEP_1)
	v_lshlrev_b32_e32 v15, 2, v15
	ds_bpermute_b32 v11, v15, v0
	ds_bpermute_b32 v12, v15, v1
	;; [unrolled: 1-line block ×4, first 2 shown]
	s_wait_dscnt 0x3
	v_dual_add_f32 v0, v0, v11 :: v_dual_bitop2_b32 v15, 4, v10 bitop3:0x14
	s_delay_alu instid0(VALU_DEP_1)
	v_cmp_gt_i32_e32 vcc_lo, 32, v15
	s_wait_dscnt 0x2
	v_add_f32_e32 v1, v1, v12
	s_wait_dscnt 0x0
	v_dual_add_f32 v9, v9, v14 :: v_dual_add_f32 v8, v8, v13
	v_cndmask_b32_e32 v15, v10, v15, vcc_lo
	s_delay_alu instid0(VALU_DEP_1)
	v_lshlrev_b32_e32 v15, 2, v15
	ds_bpermute_b32 v11, v15, v0
	ds_bpermute_b32 v12, v15, v1
	;; [unrolled: 1-line block ×4, first 2 shown]
	s_wait_dscnt 0x3
	v_dual_add_f32 v0, v0, v11 :: v_dual_bitop2_b32 v15, 2, v10 bitop3:0x14
	s_delay_alu instid0(VALU_DEP_1) | instskip(SKIP_4) | instid1(VALU_DEP_2)
	v_cmp_gt_i32_e32 vcc_lo, 32, v15
	s_wait_dscnt 0x2
	v_dual_add_f32 v1, v1, v12 :: v_dual_cndmask_b32 v15, v10, v15, vcc_lo
	s_wait_dscnt 0x0
	v_dual_add_f32 v11, v8, v13 :: v_dual_add_f32 v9, v9, v14
	v_lshlrev_b32_e32 v15, 2, v15
	ds_bpermute_b32 v8, v15, v0
	ds_bpermute_b32 v12, v15, v1
	;; [unrolled: 1-line block ×4, first 2 shown]
	s_wait_dscnt 0x3
	v_dual_add_f32 v0, v0, v8 :: v_dual_bitop2_b32 v15, 1, v10 bitop3:0x14
	s_delay_alu instid0(VALU_DEP_1)
	v_cmp_gt_i32_e32 vcc_lo, 32, v15
	s_wait_dscnt 0x1
	v_dual_add_f32 v8, v1, v12 :: v_dual_add_f32 v1, v11, v13
	s_wait_dscnt 0x0
	v_dual_add_f32 v9, v9, v14 :: v_dual_cndmask_b32 v10, v10, v15
	v_cmp_eq_u32_e32 vcc_lo, 31, v7
	s_delay_alu instid0(VALU_DEP_2)
	v_lshlrev_b32_e32 v15, 2, v10
	ds_bpermute_b32 v12, v15, v0
	ds_bpermute_b32 v13, v15, v8
	;; [unrolled: 1-line block ×4, first 2 shown]
	s_and_b32 exec_lo, exec_lo, vcc_lo
	s_cbranch_execz .LBB200_19
; %bb.15:
	s_load_b64 s[2:3], s[0:1], 0x38
	v_cmp_eq_f32_e32 vcc_lo, 0, v4
	s_wait_xcnt 0x0
	v_cmp_eq_f32_e64 s0, 0, v5
	s_wait_dscnt 0x3
	v_add_f32_e32 v0, v0, v12
	s_wait_dscnt 0x1
	v_dual_add_f32 v12, v8, v13 :: v_dual_add_f32 v8, v1, v10
	s_wait_dscnt 0x0
	v_add_f32_e32 v10, v9, v11
	s_and_b32 s0, vcc_lo, s0
	s_delay_alu instid0(SALU_CYCLE_1) | instskip(NEXT) | instid1(SALU_CYCLE_1)
	s_and_saveexec_b32 s1, s0
	s_xor_b32 s0, exec_lo, s1
	s_cbranch_execz .LBB200_17
; %bb.16:
	v_xor_b32_e32 v4, 0x80000000, v3
	v_dual_mov_b32 v5, v2 :: v_dual_lshlrev_b32 v6, 1, v6
	s_delay_alu instid0(VALU_DEP_1) | instskip(NEXT) | instid1(VALU_DEP_2)
	v_ashrrev_i32_e32 v7, 31, v6
	v_pk_mul_f32 v[12:13], v[12:13], v[4:5] op_sel_hi:[0,1]
	v_pk_mul_f32 v[4:5], v[10:11], v[4:5] op_sel_hi:[0,1]
                                        ; implicit-def: $vgpr10
	s_wait_kmcnt 0x0
	s_delay_alu instid0(VALU_DEP_3) | instskip(NEXT) | instid1(VALU_DEP_3)
	v_lshl_add_u64 v[6:7], v[6:7], 3, s[2:3]
	v_pk_fma_f32 v[0:1], v[2:3], v[0:1], v[12:13] op_sel_hi:[1,0,1]
	s_delay_alu instid0(VALU_DEP_3)
	v_pk_fma_f32 v[2:3], v[2:3], v[8:9], v[4:5] op_sel_hi:[1,0,1]
                                        ; implicit-def: $vgpr4_vgpr5
                                        ; implicit-def: $vgpr12
                                        ; implicit-def: $vgpr8
	global_store_b128 v[6:7], v[0:3], off
                                        ; implicit-def: $vgpr6
                                        ; implicit-def: $vgpr2_vgpr3
                                        ; implicit-def: $vgpr0
.LBB200_17:
	s_wait_xcnt 0x0
	s_and_not1_saveexec_b32 s0, s0
	s_cbranch_execz .LBB200_19
; %bb.18:
	v_dual_mov_b32 v19, v2 :: v_dual_lshlrev_b32 v6, 1, v6
	v_xor_b32_e32 v18, 0x80000000, v3
	s_delay_alu instid0(VALU_DEP_2) | instskip(NEXT) | instid1(VALU_DEP_2)
	v_ashrrev_i32_e32 v7, 31, v6
	v_pk_mul_f32 v[12:13], v[12:13], v[18:19] op_sel_hi:[0,1]
	v_pk_mul_f32 v[10:11], v[10:11], v[18:19] op_sel_hi:[0,1]
	s_delay_alu instid0(VALU_DEP_2) | instskip(NEXT) | instid1(VALU_DEP_2)
	v_pk_fma_f32 v[0:1], v[2:3], v[0:1], v[12:13] op_sel_hi:[1,0,1]
	v_pk_fma_f32 v[2:3], v[2:3], v[8:9], v[10:11] op_sel_hi:[1,0,1]
	v_mov_b32_e32 v9, v4
	s_wait_kmcnt 0x0
	v_lshl_add_u64 v[6:7], v[6:7], 3, s[2:3]
	v_xor_b32_e32 v8, 0x80000000, v5
	global_load_b128 v[14:17], v[6:7], off
	s_wait_loadcnt 0x0
	v_pk_fma_f32 v[0:1], v[4:5], v[14:15], v[0:1] op_sel_hi:[1,0,1]
	v_pk_fma_f32 v[2:3], v[4:5], v[16:17], v[2:3] op_sel_hi:[1,0,1]
	v_mov_b32_e32 v4, v17
	s_delay_alu instid0(VALU_DEP_3) | instskip(NEXT) | instid1(VALU_DEP_2)
	v_pk_fma_f32 v[0:1], v[8:9], v[14:15], v[0:1] op_sel:[0,1,0]
	v_pk_fma_f32 v[2:3], v[8:9], v[4:5], v[2:3] op_sel_hi:[1,0,1]
	global_store_b128 v[6:7], v[0:3], off
.LBB200_19:
	s_sendmsg sendmsg(MSG_DEALLOC_VGPRS)
	s_endpgm
	.section	.rodata,"a",@progbits
	.p2align	6, 0x0
	.amdhsa_kernel _ZN9rocsparseL19gebsrmvn_2xn_kernelILj128ELj11ELj32E21rocsparse_complex_numIfEEEvi20rocsparse_direction_NS_24const_host_device_scalarIT2_EEPKiS8_PKS5_SA_S6_PS5_21rocsparse_index_base_b
		.amdhsa_group_segment_fixed_size 0
		.amdhsa_private_segment_fixed_size 0
		.amdhsa_kernarg_size 72
		.amdhsa_user_sgpr_count 2
		.amdhsa_user_sgpr_dispatch_ptr 0
		.amdhsa_user_sgpr_queue_ptr 0
		.amdhsa_user_sgpr_kernarg_segment_ptr 1
		.amdhsa_user_sgpr_dispatch_id 0
		.amdhsa_user_sgpr_kernarg_preload_length 0
		.amdhsa_user_sgpr_kernarg_preload_offset 0
		.amdhsa_user_sgpr_private_segment_size 0
		.amdhsa_wavefront_size32 1
		.amdhsa_uses_dynamic_stack 0
		.amdhsa_enable_private_segment 0
		.amdhsa_system_sgpr_workgroup_id_x 1
		.amdhsa_system_sgpr_workgroup_id_y 0
		.amdhsa_system_sgpr_workgroup_id_z 0
		.amdhsa_system_sgpr_workgroup_info 0
		.amdhsa_system_vgpr_workitem_id 0
		.amdhsa_next_free_vgpr 86
		.amdhsa_next_free_sgpr 14
		.amdhsa_named_barrier_count 0
		.amdhsa_reserve_vcc 1
		.amdhsa_float_round_mode_32 0
		.amdhsa_float_round_mode_16_64 0
		.amdhsa_float_denorm_mode_32 3
		.amdhsa_float_denorm_mode_16_64 3
		.amdhsa_fp16_overflow 0
		.amdhsa_memory_ordered 1
		.amdhsa_forward_progress 1
		.amdhsa_inst_pref_size 29
		.amdhsa_round_robin_scheduling 0
		.amdhsa_exception_fp_ieee_invalid_op 0
		.amdhsa_exception_fp_denorm_src 0
		.amdhsa_exception_fp_ieee_div_zero 0
		.amdhsa_exception_fp_ieee_overflow 0
		.amdhsa_exception_fp_ieee_underflow 0
		.amdhsa_exception_fp_ieee_inexact 0
		.amdhsa_exception_int_div_zero 0
	.end_amdhsa_kernel
	.section	.text._ZN9rocsparseL19gebsrmvn_2xn_kernelILj128ELj11ELj32E21rocsparse_complex_numIfEEEvi20rocsparse_direction_NS_24const_host_device_scalarIT2_EEPKiS8_PKS5_SA_S6_PS5_21rocsparse_index_base_b,"axG",@progbits,_ZN9rocsparseL19gebsrmvn_2xn_kernelILj128ELj11ELj32E21rocsparse_complex_numIfEEEvi20rocsparse_direction_NS_24const_host_device_scalarIT2_EEPKiS8_PKS5_SA_S6_PS5_21rocsparse_index_base_b,comdat
.Lfunc_end200:
	.size	_ZN9rocsparseL19gebsrmvn_2xn_kernelILj128ELj11ELj32E21rocsparse_complex_numIfEEEvi20rocsparse_direction_NS_24const_host_device_scalarIT2_EEPKiS8_PKS5_SA_S6_PS5_21rocsparse_index_base_b, .Lfunc_end200-_ZN9rocsparseL19gebsrmvn_2xn_kernelILj128ELj11ELj32E21rocsparse_complex_numIfEEEvi20rocsparse_direction_NS_24const_host_device_scalarIT2_EEPKiS8_PKS5_SA_S6_PS5_21rocsparse_index_base_b
                                        ; -- End function
	.set _ZN9rocsparseL19gebsrmvn_2xn_kernelILj128ELj11ELj32E21rocsparse_complex_numIfEEEvi20rocsparse_direction_NS_24const_host_device_scalarIT2_EEPKiS8_PKS5_SA_S6_PS5_21rocsparse_index_base_b.num_vgpr, 86
	.set _ZN9rocsparseL19gebsrmvn_2xn_kernelILj128ELj11ELj32E21rocsparse_complex_numIfEEEvi20rocsparse_direction_NS_24const_host_device_scalarIT2_EEPKiS8_PKS5_SA_S6_PS5_21rocsparse_index_base_b.num_agpr, 0
	.set _ZN9rocsparseL19gebsrmvn_2xn_kernelILj128ELj11ELj32E21rocsparse_complex_numIfEEEvi20rocsparse_direction_NS_24const_host_device_scalarIT2_EEPKiS8_PKS5_SA_S6_PS5_21rocsparse_index_base_b.numbered_sgpr, 14
	.set _ZN9rocsparseL19gebsrmvn_2xn_kernelILj128ELj11ELj32E21rocsparse_complex_numIfEEEvi20rocsparse_direction_NS_24const_host_device_scalarIT2_EEPKiS8_PKS5_SA_S6_PS5_21rocsparse_index_base_b.num_named_barrier, 0
	.set _ZN9rocsparseL19gebsrmvn_2xn_kernelILj128ELj11ELj32E21rocsparse_complex_numIfEEEvi20rocsparse_direction_NS_24const_host_device_scalarIT2_EEPKiS8_PKS5_SA_S6_PS5_21rocsparse_index_base_b.private_seg_size, 0
	.set _ZN9rocsparseL19gebsrmvn_2xn_kernelILj128ELj11ELj32E21rocsparse_complex_numIfEEEvi20rocsparse_direction_NS_24const_host_device_scalarIT2_EEPKiS8_PKS5_SA_S6_PS5_21rocsparse_index_base_b.uses_vcc, 1
	.set _ZN9rocsparseL19gebsrmvn_2xn_kernelILj128ELj11ELj32E21rocsparse_complex_numIfEEEvi20rocsparse_direction_NS_24const_host_device_scalarIT2_EEPKiS8_PKS5_SA_S6_PS5_21rocsparse_index_base_b.uses_flat_scratch, 1
	.set _ZN9rocsparseL19gebsrmvn_2xn_kernelILj128ELj11ELj32E21rocsparse_complex_numIfEEEvi20rocsparse_direction_NS_24const_host_device_scalarIT2_EEPKiS8_PKS5_SA_S6_PS5_21rocsparse_index_base_b.has_dyn_sized_stack, 0
	.set _ZN9rocsparseL19gebsrmvn_2xn_kernelILj128ELj11ELj32E21rocsparse_complex_numIfEEEvi20rocsparse_direction_NS_24const_host_device_scalarIT2_EEPKiS8_PKS5_SA_S6_PS5_21rocsparse_index_base_b.has_recursion, 0
	.set _ZN9rocsparseL19gebsrmvn_2xn_kernelILj128ELj11ELj32E21rocsparse_complex_numIfEEEvi20rocsparse_direction_NS_24const_host_device_scalarIT2_EEPKiS8_PKS5_SA_S6_PS5_21rocsparse_index_base_b.has_indirect_call, 0
	.section	.AMDGPU.csdata,"",@progbits
; Kernel info:
; codeLenInByte = 3620
; TotalNumSgprs: 16
; NumVgprs: 86
; ScratchSize: 0
; MemoryBound: 0
; FloatMode: 240
; IeeeMode: 1
; LDSByteSize: 0 bytes/workgroup (compile time only)
; SGPRBlocks: 0
; VGPRBlocks: 5
; NumSGPRsForWavesPerEU: 16
; NumVGPRsForWavesPerEU: 86
; NamedBarCnt: 0
; Occupancy: 10
; WaveLimiterHint : 1
; COMPUTE_PGM_RSRC2:SCRATCH_EN: 0
; COMPUTE_PGM_RSRC2:USER_SGPR: 2
; COMPUTE_PGM_RSRC2:TRAP_HANDLER: 0
; COMPUTE_PGM_RSRC2:TGID_X_EN: 1
; COMPUTE_PGM_RSRC2:TGID_Y_EN: 0
; COMPUTE_PGM_RSRC2:TGID_Z_EN: 0
; COMPUTE_PGM_RSRC2:TIDIG_COMP_CNT: 0
	.section	.text._ZN9rocsparseL19gebsrmvn_2xn_kernelILj128ELj11ELj64E21rocsparse_complex_numIfEEEvi20rocsparse_direction_NS_24const_host_device_scalarIT2_EEPKiS8_PKS5_SA_S6_PS5_21rocsparse_index_base_b,"axG",@progbits,_ZN9rocsparseL19gebsrmvn_2xn_kernelILj128ELj11ELj64E21rocsparse_complex_numIfEEEvi20rocsparse_direction_NS_24const_host_device_scalarIT2_EEPKiS8_PKS5_SA_S6_PS5_21rocsparse_index_base_b,comdat
	.globl	_ZN9rocsparseL19gebsrmvn_2xn_kernelILj128ELj11ELj64E21rocsparse_complex_numIfEEEvi20rocsparse_direction_NS_24const_host_device_scalarIT2_EEPKiS8_PKS5_SA_S6_PS5_21rocsparse_index_base_b ; -- Begin function _ZN9rocsparseL19gebsrmvn_2xn_kernelILj128ELj11ELj64E21rocsparse_complex_numIfEEEvi20rocsparse_direction_NS_24const_host_device_scalarIT2_EEPKiS8_PKS5_SA_S6_PS5_21rocsparse_index_base_b
	.p2align	8
	.type	_ZN9rocsparseL19gebsrmvn_2xn_kernelILj128ELj11ELj64E21rocsparse_complex_numIfEEEvi20rocsparse_direction_NS_24const_host_device_scalarIT2_EEPKiS8_PKS5_SA_S6_PS5_21rocsparse_index_base_b,@function
_ZN9rocsparseL19gebsrmvn_2xn_kernelILj128ELj11ELj64E21rocsparse_complex_numIfEEEvi20rocsparse_direction_NS_24const_host_device_scalarIT2_EEPKiS8_PKS5_SA_S6_PS5_21rocsparse_index_base_b: ; @_ZN9rocsparseL19gebsrmvn_2xn_kernelILj128ELj11ELj64E21rocsparse_complex_numIfEEEvi20rocsparse_direction_NS_24const_host_device_scalarIT2_EEPKiS8_PKS5_SA_S6_PS5_21rocsparse_index_base_b
; %bb.0:
	s_clause 0x2
	s_load_b64 s[12:13], s[0:1], 0x40
	s_load_b64 s[2:3], s[0:1], 0x8
	;; [unrolled: 1-line block ×3, first 2 shown]
	v_mov_b32_e32 v1, 0
	s_add_nc_u64 s[6:7], s[0:1], 8
	s_add_nc_u64 s[8:9], s[0:1], 48
	s_wait_kmcnt 0x0
	s_bitcmp1_b32 s13, 0
	s_cselect_b32 s3, s7, s3
	s_cselect_b32 s2, s6, s2
	;; [unrolled: 1-line block ×4, first 2 shown]
	s_clause 0x1
	flat_load_b64 v[2:3], v1, s[2:3]
	flat_load_b64 v[4:5], v1, s[4:5]
	s_wait_loadcnt_dscnt 0x101
	v_cmp_eq_f32_e32 vcc_lo, 0, v2
	v_cmp_eq_f32_e64 s2, 0, v3
	s_wait_loadcnt_dscnt 0x0
	v_cmp_eq_f32_e64 s3, 1.0, v4
	v_cmp_eq_f32_e64 s4, 0, v5
	s_and_b32 s2, vcc_lo, s2
	s_and_b32 s3, s3, s4
	s_delay_alu instid0(SALU_CYCLE_1) | instskip(NEXT) | instid1(SALU_CYCLE_1)
	s_and_b32 s2, s2, s3
	s_xor_b32 s2, s2, -1
	s_delay_alu instid0(SALU_CYCLE_1)
	s_and_saveexec_b32 s3, s2
	s_cbranch_execz .LBB201_19
; %bb.1:
	s_load_b64 s[2:3], s[0:1], 0x0
	s_bfe_u32 s4, ttmp6, 0x4000c
	s_and_b32 s5, ttmp6, 15
	s_add_co_i32 s4, s4, 1
	s_getreg_b32 s6, hwreg(HW_REG_IB_STS2, 6, 4)
	s_mul_i32 s4, ttmp9, s4
	v_lshrrev_b32_e32 v1, 6, v0
	s_add_co_i32 s5, s5, s4
	s_cmp_eq_u32 s6, 0
	s_cselect_b32 s4, ttmp9, s5
	s_delay_alu instid0(VALU_DEP_1) | instid1(SALU_CYCLE_1)
	v_lshl_or_b32 v6, s4, 1, v1
	s_wait_kmcnt 0x0
	s_delay_alu instid0(VALU_DEP_1)
	v_cmp_gt_i32_e32 vcc_lo, s2, v6
	s_and_b32 exec_lo, exec_lo, vcc_lo
	s_cbranch_execz .LBB201_19
; %bb.2:
	s_load_b256 s[4:11], s[0:1], 0x10
	v_ashrrev_i32_e32 v7, 31, v6
	s_cmp_lg_u32 s3, 0
	s_wait_kmcnt 0x0
	s_delay_alu instid0(VALU_DEP_1)
	v_lshl_add_u64 v[8:9], v[6:7], 2, s[4:5]
	v_and_b32_e32 v7, 63, v0
	global_load_b64 v[8:9], v[8:9], off
	s_wait_loadcnt 0x0
	v_subrev_nc_u32_e32 v0, s12, v8
	v_subrev_nc_u32_e32 v14, s12, v9
	s_delay_alu instid0(VALU_DEP_2) | instskip(NEXT) | instid1(VALU_DEP_1)
	v_add_nc_u32_e32 v15, v0, v7
	v_cmp_lt_i32_e64 s2, v15, v14
	s_cbranch_scc0 .LBB201_8
; %bb.3:
	v_mov_b32_e32 v1, 0
	s_delay_alu instid0(VALU_DEP_1)
	v_dual_mov_b32 v0, v1 :: v_dual_mov_b32 v9, v1
	v_mov_b32_e32 v8, v1
	s_and_saveexec_b32 s3, s2
	s_cbranch_execz .LBB201_7
; %bb.4:
	v_mad_u32 v12, v15, 22, 20
	v_dual_mov_b32 v11, 0 :: v_dual_mov_b32 v16, v15
	v_mov_b32_e32 v1, 0
	s_mov_b32 s4, 0
	s_delay_alu instid0(VALU_DEP_2)
	v_dual_mov_b32 v0, v11 :: v_dual_mov_b32 v8, v11
	v_mov_b32_e32 v9, v11
.LBB201_5:                              ; =>This Inner Loop Header: Depth=1
	global_load_b32 v10, v16, s[6:7] scale_offset
	s_wait_xcnt 0x0
	v_add_nc_u32_e32 v16, 64, v16
	s_delay_alu instid0(VALU_DEP_1) | instskip(SKIP_3) | instid1(VALU_DEP_1)
	v_cmp_ge_i32_e32 vcc_lo, v16, v14
	s_or_b32 s4, vcc_lo, s4
	s_wait_loadcnt 0x0
	v_subrev_nc_u32_e32 v10, s12, v10
	v_mul_lo_u32 v17, v10, 11
	v_subrev_nc_u32_e32 v10, 20, v12
	s_delay_alu instid0(VALU_DEP_1)
	v_lshl_add_u64 v[22:23], v[10:11], 3, s[8:9]
	v_subrev_nc_u32_e32 v10, 18, v12
	global_load_b128 v[18:21], v[22:23], off
	global_load_b64 v[62:63], v17, s[10:11] scale_offset
	v_lshl_add_u64 v[26:27], v[10:11], 3, s[8:9]
	v_dual_add_nc_u32 v13, 1, v17 :: v_dual_add_nc_u32 v10, -16, v12
	global_load_b128 v[22:25], v[26:27], off
	global_load_b64 v[64:65], v13, s[10:11] scale_offset
	s_wait_xcnt 0x0
	v_add_nc_u32_e32 v13, 2, v17
	v_lshl_add_u64 v[30:31], v[10:11], 3, s[8:9]
	v_add_nc_u32_e32 v10, -14, v12
	global_load_b128 v[26:29], v[30:31], off
	global_load_b64 v[66:67], v13, s[10:11] scale_offset
	v_lshl_add_u64 v[34:35], v[10:11], 3, s[8:9]
	s_wait_xcnt 0x0
	v_dual_add_nc_u32 v13, 3, v17 :: v_dual_add_nc_u32 v10, -12, v12
	global_load_b128 v[30:33], v[34:35], off
	global_load_b64 v[68:69], v13, s[10:11] scale_offset
	s_wait_xcnt 0x0
	v_add_nc_u32_e32 v13, 4, v17
	v_lshl_add_u64 v[38:39], v[10:11], 3, s[8:9]
	v_add_nc_u32_e32 v10, -10, v12
	global_load_b128 v[34:37], v[38:39], off
	global_load_b64 v[70:71], v13, s[10:11] scale_offset
	v_lshl_add_u64 v[42:43], v[10:11], 3, s[8:9]
	s_wait_xcnt 0x0
	;; [unrolled: 11-line block ×4, first 2 shown]
	v_dual_mov_b32 v13, v11 :: v_dual_add_nc_u32 v10, 9, v17
	global_load_b128 v[54:57], v[58:59], off
	global_load_b64 v[80:81], v10, s[10:11] scale_offset
	s_wait_xcnt 0x0
	v_add_nc_u32_e32 v10, 10, v17
	v_lshl_add_u64 v[82:83], v[12:13], 3, s[8:9]
	global_load_b128 v[58:61], v[82:83], off
	global_load_b64 v[84:85], v10, s[10:11] scale_offset
	v_add_nc_u32_e32 v12, 0x580, v12
	s_wait_loadcnt 0x15
	s_wait_xcnt 0x1
	v_xor_b32_e32 v82, 0x80000000, v21
	v_mov_b32_e32 v83, v20
	s_wait_loadcnt 0x14
	v_pk_fma_f32 v[0:1], v[18:19], v[62:63], v[0:1] op_sel_hi:[1,0,1]
	v_pk_fma_f32 v[8:9], v[20:21], v[62:63], v[8:9] op_sel_hi:[1,0,1]
	s_delay_alu instid0(VALU_DEP_2) | instskip(NEXT) | instid1(VALU_DEP_2)
	v_pk_fma_f32 v[0:1], v[18:19], v[62:63], v[0:1] op_sel:[1,1,0] op_sel_hi:[0,1,1] neg_lo:[1,0,0]
	v_pk_fma_f32 v[8:9], v[82:83], v[62:63], v[8:9] op_sel:[0,1,0]
	s_wait_loadcnt 0x13
	v_xor_b32_e32 v18, 0x80000000, v25
	v_mov_b32_e32 v19, v24
	s_wait_loadcnt 0x12
	v_pk_fma_f32 v[0:1], v[22:23], v[64:65], v[0:1] op_sel_hi:[1,0,1]
	v_pk_fma_f32 v[8:9], v[24:25], v[64:65], v[8:9] op_sel_hi:[1,0,1]
	s_delay_alu instid0(VALU_DEP_2) | instskip(NEXT) | instid1(VALU_DEP_2)
	v_pk_fma_f32 v[0:1], v[22:23], v[64:65], v[0:1] op_sel:[1,1,0] op_sel_hi:[0,1,1] neg_lo:[1,0,0]
	v_pk_fma_f32 v[8:9], v[18:19], v[64:65], v[8:9] op_sel:[0,1,0]
	s_wait_loadcnt 0x11
	;; [unrolled: 9-line block ×10, first 2 shown]
	v_xor_b32_e32 v18, 0x80000000, v61
	v_mov_b32_e32 v19, v60
	s_wait_loadcnt 0x0
	v_pk_fma_f32 v[0:1], v[58:59], v[84:85], v[0:1] op_sel_hi:[1,0,1]
	v_pk_fma_f32 v[8:9], v[60:61], v[84:85], v[8:9] op_sel_hi:[1,0,1]
	s_delay_alu instid0(VALU_DEP_2) | instskip(NEXT) | instid1(VALU_DEP_2)
	v_pk_fma_f32 v[0:1], v[58:59], v[84:85], v[0:1] op_sel:[1,1,0] op_sel_hi:[0,1,1] neg_lo:[1,0,0]
	v_pk_fma_f32 v[8:9], v[18:19], v[84:85], v[8:9] op_sel:[0,1,0]
	s_and_not1_b32 exec_lo, exec_lo, s4
	s_cbranch_execnz .LBB201_5
; %bb.6:
	s_or_b32 exec_lo, exec_lo, s4
.LBB201_7:
	s_delay_alu instid0(SALU_CYCLE_1)
	s_or_b32 exec_lo, exec_lo, s3
	s_cbranch_execz .LBB201_9
	s_branch .LBB201_14
.LBB201_8:
                                        ; implicit-def: $vgpr1
                                        ; implicit-def: $vgpr9
.LBB201_9:
	v_mov_b32_e32 v1, 0
	s_delay_alu instid0(VALU_DEP_1)
	v_dual_mov_b32 v0, v1 :: v_dual_mov_b32 v9, v1
	v_mov_b32_e32 v8, v1
	s_and_saveexec_b32 s3, s2
	s_cbranch_execz .LBB201_13
; %bb.10:
	v_mad_u32 v12, v15, 22, 21
	v_dual_mov_b32 v11, 0 :: v_dual_mov_b32 v1, 0
	s_mov_b32 s2, 0
	s_delay_alu instid0(VALU_DEP_1)
	v_dual_mov_b32 v0, v11 :: v_dual_mov_b32 v8, v11
	v_mov_b32_e32 v9, v11
.LBB201_11:                             ; =>This Inner Loop Header: Depth=1
	global_load_b32 v10, v15, s[6:7] scale_offset
	v_dual_add_nc_u32 v26, -10, v12 :: v_dual_add_nc_u32 v30, -9, v12
	v_dual_add_nc_u32 v36, -8, v12 :: v_dual_add_nc_u32 v42, -7, v12
	;; [unrolled: 1-line block ×3, first 2 shown]
	s_wait_xcnt 0x0
	v_dual_add_nc_u32 v78, -1, v12 :: v_dual_add_nc_u32 v15, 64, v15
	s_delay_alu instid0(VALU_DEP_1) | instskip(SKIP_3) | instid1(VALU_DEP_1)
	v_cmp_ge_i32_e32 vcc_lo, v15, v14
	s_or_b32 s2, vcc_lo, s2
	s_wait_loadcnt 0x0
	v_subrev_nc_u32_e32 v10, s12, v10
	v_mul_lo_u32 v13, v10, 11
	v_subrev_nc_u32_e32 v10, 21, v12
	v_dual_add_nc_u32 v48, -6, v12 :: v_dual_add_nc_u32 v61, -4, v12
	v_add_nc_u32_e32 v72, -2, v12
	s_delay_alu instid0(VALU_DEP_3)
	v_lshl_add_u64 v[20:21], v[10:11], 3, s[8:9]
	s_clause 0x1
	global_load_b128 v[16:19], v[20:21], off
	global_load_b64 v[22:23], v26, s[8:9] scale_offset
	global_load_b64 v[24:25], v13, s[10:11] scale_offset
	v_subrev_nc_u32_e32 v10, 19, v12
	v_add_nc_u32_e32 v31, 1, v13
	s_clause 0x1
	global_load_b64 v[20:21], v10, s[8:9] scale_offset
	global_load_b64 v[26:27], v30, s[8:9] scale_offset
	global_load_b64 v[28:29], v31, s[10:11] scale_offset
	s_wait_xcnt 0x2
	v_subrev_nc_u32_e32 v10, 18, v12
	v_add_nc_u32_e32 v37, 2, v13
	s_clause 0x1
	global_load_b64 v[30:31], v10, s[8:9] scale_offset
	global_load_b64 v[32:33], v36, s[8:9] scale_offset
	global_load_b64 v[34:35], v37, s[10:11] scale_offset
	s_wait_xcnt 0x2
	v_subrev_nc_u32_e32 v10, 17, v12
	v_add_nc_u32_e32 v43, 3, v13
	s_clause 0x1
	global_load_b64 v[36:37], v10, s[8:9] scale_offset
	global_load_b64 v[38:39], v42, s[8:9] scale_offset
	global_load_b64 v[40:41], v43, s[10:11] scale_offset
	s_wait_xcnt 0x2
	v_dual_add_nc_u32 v10, -16, v12 :: v_dual_add_nc_u32 v49, 4, v13
	s_clause 0x1
	global_load_b64 v[42:43], v10, s[8:9] scale_offset
	global_load_b64 v[44:45], v48, s[8:9] scale_offset
	;; [unrolled: 1-line block ×3, first 2 shown]
	s_wait_xcnt 0x2
	v_dual_add_nc_u32 v10, -5, v12 :: v_dual_add_nc_u32 v52, 5, v13
	global_load_b64 v[48:49], v10, s[8:9] scale_offset
	global_load_b64 v[50:51], v52, s[10:11] scale_offset
	s_wait_xcnt 0x1
	v_dual_add_nc_u32 v10, -15, v12 :: v_dual_add_nc_u32 v62, 6, v13
	s_clause 0x2
	global_load_b64 v[52:53], v10, s[8:9] scale_offset
	global_load_b64 v[54:55], v60, s[8:9] scale_offset
	;; [unrolled: 1-line block ×4, first 2 shown]
	s_wait_xcnt 0x3
	v_dual_add_nc_u32 v10, -13, v12 :: v_dual_add_nc_u32 v67, 7, v13
	s_clause 0x1
	global_load_b64 v[60:61], v10, s[8:9] scale_offset
	global_load_b64 v[62:63], v66, s[8:9] scale_offset
	global_load_b64 v[64:65], v67, s[10:11] scale_offset
	s_wait_xcnt 0x2
	v_dual_add_nc_u32 v10, -12, v12 :: v_dual_add_nc_u32 v73, 8, v13
	s_clause 0x1
	global_load_b64 v[66:67], v10, s[8:9] scale_offset
	global_load_b64 v[68:69], v72, s[8:9] scale_offset
	global_load_b64 v[70:71], v73, s[10:11] scale_offset
	;; [unrolled: 6-line block ×3, first 2 shown]
	s_wait_xcnt 0x2
	v_add_nc_u32_e32 v10, 10, v13
	global_load_b64 v[78:79], v12, s[8:9] scale_offset
	global_load_b64 v[80:81], v10, s[10:11] scale_offset
	s_wait_xcnt 0x1
	v_add_nc_u32_e32 v12, 0x580, v12
	s_wait_loadcnt 0x1d
	v_pk_fma_f32 v[0:1], v[16:17], v[24:25], v[0:1] op_sel_hi:[1,0,1]
	v_pk_fma_f32 v[8:9], v[22:23], v[24:25], v[8:9] op_sel_hi:[1,0,1]
	s_delay_alu instid0(VALU_DEP_2) | instskip(NEXT) | instid1(VALU_DEP_2)
	v_pk_fma_f32 v[0:1], v[16:17], v[24:25], v[0:1] op_sel:[1,1,0] op_sel_hi:[0,1,1] neg_lo:[1,0,0]
	v_pk_fma_f32 v[8:9], v[22:23], v[24:25], v[8:9] op_sel:[1,1,0] op_sel_hi:[0,1,1] neg_lo:[1,0,0]
	v_xor_b32_e32 v16, 0x80000000, v19
	v_mov_b32_e32 v17, v18
	s_wait_loadcnt 0x1a
	v_pk_fma_f32 v[0:1], v[18:19], v[28:29], v[0:1] op_sel_hi:[1,0,1]
	v_pk_fma_f32 v[8:9], v[26:27], v[28:29], v[8:9] op_sel_hi:[1,0,1]
	s_delay_alu instid0(VALU_DEP_2) | instskip(NEXT) | instid1(VALU_DEP_2)
	v_pk_fma_f32 v[0:1], v[16:17], v[28:29], v[0:1] op_sel:[0,1,0]
	v_pk_fma_f32 v[8:9], v[26:27], v[28:29], v[8:9] op_sel:[1,1,0] op_sel_hi:[0,1,1] neg_lo:[1,0,0]
	s_wait_loadcnt 0x17
	s_delay_alu instid0(VALU_DEP_2) | instskip(NEXT) | instid1(VALU_DEP_2)
	v_pk_fma_f32 v[0:1], v[20:21], v[34:35], v[0:1] op_sel_hi:[1,0,1]
	v_pk_fma_f32 v[8:9], v[32:33], v[34:35], v[8:9] op_sel_hi:[1,0,1]
	s_delay_alu instid0(VALU_DEP_2) | instskip(NEXT) | instid1(VALU_DEP_2)
	v_pk_fma_f32 v[0:1], v[20:21], v[34:35], v[0:1] op_sel:[1,1,0] op_sel_hi:[0,1,1] neg_lo:[1,0,0]
	v_pk_fma_f32 v[8:9], v[32:33], v[34:35], v[8:9] op_sel:[1,1,0] op_sel_hi:[0,1,1] neg_lo:[1,0,0]
	s_wait_loadcnt 0x14
	s_delay_alu instid0(VALU_DEP_2) | instskip(NEXT) | instid1(VALU_DEP_2)
	v_pk_fma_f32 v[0:1], v[30:31], v[40:41], v[0:1] op_sel_hi:[1,0,1]
	v_pk_fma_f32 v[8:9], v[38:39], v[40:41], v[8:9] op_sel_hi:[1,0,1]
	s_delay_alu instid0(VALU_DEP_2) | instskip(NEXT) | instid1(VALU_DEP_2)
	v_pk_fma_f32 v[0:1], v[30:31], v[40:41], v[0:1] op_sel:[1,1,0] op_sel_hi:[0,1,1] neg_lo:[1,0,0]
	;; [unrolled: 7-line block ×9, first 2 shown]
	v_pk_fma_f32 v[8:9], v[78:79], v[80:81], v[8:9] op_sel:[1,1,0] op_sel_hi:[0,1,1] neg_lo:[1,0,0]
	s_and_not1_b32 exec_lo, exec_lo, s2
	s_cbranch_execnz .LBB201_11
; %bb.12:
	s_or_b32 exec_lo, exec_lo, s2
.LBB201_13:
	s_delay_alu instid0(SALU_CYCLE_1)
	s_or_b32 exec_lo, exec_lo, s3
.LBB201_14:
	v_mbcnt_lo_u32_b32 v10, -1, 0
	s_delay_alu instid0(VALU_DEP_1) | instskip(SKIP_1) | instid1(VALU_DEP_1)
	v_xor_b32_e32 v15, 16, v10
	v_or_b32_e32 v11, 32, v10
	v_cmp_gt_i32_e32 vcc_lo, 32, v11
	v_cndmask_b32_e32 v11, v10, v11, vcc_lo
	s_delay_alu instid0(VALU_DEP_1)
	v_lshlrev_b32_e32 v11, 2, v11
	ds_bpermute_b32 v13, v11, v1
	s_wait_dscnt 0x0
	v_add_f32_e32 v1, v1, v13
	ds_bpermute_b32 v12, v11, v0
	ds_bpermute_b32 v14, v11, v8
	ds_bpermute_b32 v11, v11, v9
	s_wait_dscnt 0x2
	v_add_f32_e32 v0, v0, v12
	s_wait_dscnt 0x0
	v_dual_add_f32 v8, v8, v14 :: v_dual_add_f32 v9, v9, v11
	v_cmp_gt_i32_e32 vcc_lo, 32, v15
	v_cndmask_b32_e32 v15, v10, v15, vcc_lo
	s_delay_alu instid0(VALU_DEP_1)
	v_lshlrev_b32_e32 v15, 2, v15
	ds_bpermute_b32 v11, v15, v0
	ds_bpermute_b32 v12, v15, v1
	;; [unrolled: 1-line block ×4, first 2 shown]
	s_wait_dscnt 0x3
	v_dual_add_f32 v0, v0, v11 :: v_dual_bitop2_b32 v15, 8, v10 bitop3:0x14
	s_delay_alu instid0(VALU_DEP_1)
	v_cmp_gt_i32_e32 vcc_lo, 32, v15
	s_wait_dscnt 0x2
	v_add_f32_e32 v1, v1, v12
	s_wait_dscnt 0x0
	v_dual_add_f32 v9, v9, v14 :: v_dual_add_f32 v8, v8, v13
	v_cndmask_b32_e32 v15, v10, v15, vcc_lo
	s_delay_alu instid0(VALU_DEP_1)
	v_lshlrev_b32_e32 v15, 2, v15
	ds_bpermute_b32 v11, v15, v0
	ds_bpermute_b32 v12, v15, v1
	;; [unrolled: 1-line block ×4, first 2 shown]
	s_wait_dscnt 0x3
	v_dual_add_f32 v0, v0, v11 :: v_dual_bitop2_b32 v15, 4, v10 bitop3:0x14
	s_delay_alu instid0(VALU_DEP_1) | instskip(SKIP_4) | instid1(VALU_DEP_2)
	v_cmp_gt_i32_e32 vcc_lo, 32, v15
	s_wait_dscnt 0x2
	v_dual_add_f32 v1, v1, v12 :: v_dual_cndmask_b32 v15, v10, v15, vcc_lo
	s_wait_dscnt 0x0
	v_dual_add_f32 v8, v8, v13 :: v_dual_add_f32 v9, v9, v14
	v_lshlrev_b32_e32 v15, 2, v15
	ds_bpermute_b32 v11, v15, v0
	ds_bpermute_b32 v12, v15, v1
	;; [unrolled: 1-line block ×4, first 2 shown]
	s_wait_dscnt 0x3
	v_dual_add_f32 v0, v0, v11 :: v_dual_bitop2_b32 v15, 2, v10 bitop3:0x14
	s_delay_alu instid0(VALU_DEP_1) | instskip(SKIP_4) | instid1(VALU_DEP_1)
	v_cmp_gt_i32_e32 vcc_lo, 32, v15
	s_wait_dscnt 0x1
	v_dual_add_f32 v1, v1, v12 :: v_dual_add_f32 v11, v8, v13
	s_wait_dscnt 0x0
	v_dual_add_f32 v9, v9, v14 :: v_dual_cndmask_b32 v15, v10, v15, vcc_lo
	v_lshlrev_b32_e32 v15, 2, v15
	ds_bpermute_b32 v8, v15, v0
	ds_bpermute_b32 v12, v15, v1
	;; [unrolled: 1-line block ×4, first 2 shown]
	s_wait_dscnt 0x3
	v_dual_add_f32 v0, v0, v8 :: v_dual_bitop2_b32 v15, 1, v10 bitop3:0x14
	s_delay_alu instid0(VALU_DEP_1)
	v_cmp_gt_i32_e32 vcc_lo, 32, v15
	s_wait_dscnt 0x2
	v_dual_add_f32 v8, v1, v12 :: v_dual_cndmask_b32 v10, v10, v15, vcc_lo
	s_wait_dscnt 0x0
	v_dual_add_f32 v1, v11, v13 :: v_dual_add_f32 v9, v9, v14
	v_cmp_eq_u32_e32 vcc_lo, 63, v7
	s_delay_alu instid0(VALU_DEP_3)
	v_lshlrev_b32_e32 v15, 2, v10
	ds_bpermute_b32 v12, v15, v0
	ds_bpermute_b32 v13, v15, v8
	;; [unrolled: 1-line block ×4, first 2 shown]
	s_and_b32 exec_lo, exec_lo, vcc_lo
	s_cbranch_execz .LBB201_19
; %bb.15:
	s_load_b64 s[2:3], s[0:1], 0x38
	v_cmp_eq_f32_e32 vcc_lo, 0, v4
	s_wait_xcnt 0x0
	v_cmp_eq_f32_e64 s0, 0, v5
	s_wait_dscnt 0x3
	v_add_f32_e32 v0, v0, v12
	s_wait_dscnt 0x1
	v_dual_add_f32 v12, v8, v13 :: v_dual_add_f32 v8, v1, v10
	s_wait_dscnt 0x0
	v_add_f32_e32 v10, v9, v11
	s_and_b32 s0, vcc_lo, s0
	s_delay_alu instid0(SALU_CYCLE_1) | instskip(NEXT) | instid1(SALU_CYCLE_1)
	s_and_saveexec_b32 s1, s0
	s_xor_b32 s0, exec_lo, s1
	s_cbranch_execz .LBB201_17
; %bb.16:
	v_xor_b32_e32 v4, 0x80000000, v3
	v_dual_mov_b32 v5, v2 :: v_dual_lshlrev_b32 v6, 1, v6
	s_delay_alu instid0(VALU_DEP_1) | instskip(NEXT) | instid1(VALU_DEP_2)
	v_ashrrev_i32_e32 v7, 31, v6
	v_pk_mul_f32 v[12:13], v[12:13], v[4:5] op_sel_hi:[0,1]
	v_pk_mul_f32 v[4:5], v[10:11], v[4:5] op_sel_hi:[0,1]
                                        ; implicit-def: $vgpr10
	s_wait_kmcnt 0x0
	s_delay_alu instid0(VALU_DEP_3) | instskip(NEXT) | instid1(VALU_DEP_3)
	v_lshl_add_u64 v[6:7], v[6:7], 3, s[2:3]
	v_pk_fma_f32 v[0:1], v[2:3], v[0:1], v[12:13] op_sel_hi:[1,0,1]
	s_delay_alu instid0(VALU_DEP_3)
	v_pk_fma_f32 v[2:3], v[2:3], v[8:9], v[4:5] op_sel_hi:[1,0,1]
                                        ; implicit-def: $vgpr4_vgpr5
                                        ; implicit-def: $vgpr12
                                        ; implicit-def: $vgpr8
	global_store_b128 v[6:7], v[0:3], off
                                        ; implicit-def: $vgpr6
                                        ; implicit-def: $vgpr2_vgpr3
                                        ; implicit-def: $vgpr0
.LBB201_17:
	s_wait_xcnt 0x0
	s_and_not1_saveexec_b32 s0, s0
	s_cbranch_execz .LBB201_19
; %bb.18:
	v_dual_mov_b32 v19, v2 :: v_dual_lshlrev_b32 v6, 1, v6
	v_xor_b32_e32 v18, 0x80000000, v3
	s_delay_alu instid0(VALU_DEP_2) | instskip(NEXT) | instid1(VALU_DEP_2)
	v_ashrrev_i32_e32 v7, 31, v6
	v_pk_mul_f32 v[12:13], v[12:13], v[18:19] op_sel_hi:[0,1]
	v_pk_mul_f32 v[10:11], v[10:11], v[18:19] op_sel_hi:[0,1]
	s_delay_alu instid0(VALU_DEP_2) | instskip(NEXT) | instid1(VALU_DEP_2)
	v_pk_fma_f32 v[0:1], v[2:3], v[0:1], v[12:13] op_sel_hi:[1,0,1]
	v_pk_fma_f32 v[2:3], v[2:3], v[8:9], v[10:11] op_sel_hi:[1,0,1]
	v_mov_b32_e32 v9, v4
	s_wait_kmcnt 0x0
	v_lshl_add_u64 v[6:7], v[6:7], 3, s[2:3]
	v_xor_b32_e32 v8, 0x80000000, v5
	global_load_b128 v[14:17], v[6:7], off
	s_wait_loadcnt 0x0
	v_pk_fma_f32 v[0:1], v[4:5], v[14:15], v[0:1] op_sel_hi:[1,0,1]
	v_pk_fma_f32 v[2:3], v[4:5], v[16:17], v[2:3] op_sel_hi:[1,0,1]
	v_mov_b32_e32 v4, v17
	s_delay_alu instid0(VALU_DEP_3) | instskip(NEXT) | instid1(VALU_DEP_2)
	v_pk_fma_f32 v[0:1], v[8:9], v[14:15], v[0:1] op_sel:[0,1,0]
	v_pk_fma_f32 v[2:3], v[8:9], v[4:5], v[2:3] op_sel_hi:[1,0,1]
	global_store_b128 v[6:7], v[0:3], off
.LBB201_19:
	s_sendmsg sendmsg(MSG_DEALLOC_VGPRS)
	s_endpgm
	.section	.rodata,"a",@progbits
	.p2align	6, 0x0
	.amdhsa_kernel _ZN9rocsparseL19gebsrmvn_2xn_kernelILj128ELj11ELj64E21rocsparse_complex_numIfEEEvi20rocsparse_direction_NS_24const_host_device_scalarIT2_EEPKiS8_PKS5_SA_S6_PS5_21rocsparse_index_base_b
		.amdhsa_group_segment_fixed_size 0
		.amdhsa_private_segment_fixed_size 0
		.amdhsa_kernarg_size 72
		.amdhsa_user_sgpr_count 2
		.amdhsa_user_sgpr_dispatch_ptr 0
		.amdhsa_user_sgpr_queue_ptr 0
		.amdhsa_user_sgpr_kernarg_segment_ptr 1
		.amdhsa_user_sgpr_dispatch_id 0
		.amdhsa_user_sgpr_kernarg_preload_length 0
		.amdhsa_user_sgpr_kernarg_preload_offset 0
		.amdhsa_user_sgpr_private_segment_size 0
		.amdhsa_wavefront_size32 1
		.amdhsa_uses_dynamic_stack 0
		.amdhsa_enable_private_segment 0
		.amdhsa_system_sgpr_workgroup_id_x 1
		.amdhsa_system_sgpr_workgroup_id_y 0
		.amdhsa_system_sgpr_workgroup_id_z 0
		.amdhsa_system_sgpr_workgroup_info 0
		.amdhsa_system_vgpr_workitem_id 0
		.amdhsa_next_free_vgpr 86
		.amdhsa_next_free_sgpr 14
		.amdhsa_named_barrier_count 0
		.amdhsa_reserve_vcc 1
		.amdhsa_float_round_mode_32 0
		.amdhsa_float_round_mode_16_64 0
		.amdhsa_float_denorm_mode_32 3
		.amdhsa_float_denorm_mode_16_64 3
		.amdhsa_fp16_overflow 0
		.amdhsa_memory_ordered 1
		.amdhsa_forward_progress 1
		.amdhsa_inst_pref_size 30
		.amdhsa_round_robin_scheduling 0
		.amdhsa_exception_fp_ieee_invalid_op 0
		.amdhsa_exception_fp_denorm_src 0
		.amdhsa_exception_fp_ieee_div_zero 0
		.amdhsa_exception_fp_ieee_overflow 0
		.amdhsa_exception_fp_ieee_underflow 0
		.amdhsa_exception_fp_ieee_inexact 0
		.amdhsa_exception_int_div_zero 0
	.end_amdhsa_kernel
	.section	.text._ZN9rocsparseL19gebsrmvn_2xn_kernelILj128ELj11ELj64E21rocsparse_complex_numIfEEEvi20rocsparse_direction_NS_24const_host_device_scalarIT2_EEPKiS8_PKS5_SA_S6_PS5_21rocsparse_index_base_b,"axG",@progbits,_ZN9rocsparseL19gebsrmvn_2xn_kernelILj128ELj11ELj64E21rocsparse_complex_numIfEEEvi20rocsparse_direction_NS_24const_host_device_scalarIT2_EEPKiS8_PKS5_SA_S6_PS5_21rocsparse_index_base_b,comdat
.Lfunc_end201:
	.size	_ZN9rocsparseL19gebsrmvn_2xn_kernelILj128ELj11ELj64E21rocsparse_complex_numIfEEEvi20rocsparse_direction_NS_24const_host_device_scalarIT2_EEPKiS8_PKS5_SA_S6_PS5_21rocsparse_index_base_b, .Lfunc_end201-_ZN9rocsparseL19gebsrmvn_2xn_kernelILj128ELj11ELj64E21rocsparse_complex_numIfEEEvi20rocsparse_direction_NS_24const_host_device_scalarIT2_EEPKiS8_PKS5_SA_S6_PS5_21rocsparse_index_base_b
                                        ; -- End function
	.set _ZN9rocsparseL19gebsrmvn_2xn_kernelILj128ELj11ELj64E21rocsparse_complex_numIfEEEvi20rocsparse_direction_NS_24const_host_device_scalarIT2_EEPKiS8_PKS5_SA_S6_PS5_21rocsparse_index_base_b.num_vgpr, 86
	.set _ZN9rocsparseL19gebsrmvn_2xn_kernelILj128ELj11ELj64E21rocsparse_complex_numIfEEEvi20rocsparse_direction_NS_24const_host_device_scalarIT2_EEPKiS8_PKS5_SA_S6_PS5_21rocsparse_index_base_b.num_agpr, 0
	.set _ZN9rocsparseL19gebsrmvn_2xn_kernelILj128ELj11ELj64E21rocsparse_complex_numIfEEEvi20rocsparse_direction_NS_24const_host_device_scalarIT2_EEPKiS8_PKS5_SA_S6_PS5_21rocsparse_index_base_b.numbered_sgpr, 14
	.set _ZN9rocsparseL19gebsrmvn_2xn_kernelILj128ELj11ELj64E21rocsparse_complex_numIfEEEvi20rocsparse_direction_NS_24const_host_device_scalarIT2_EEPKiS8_PKS5_SA_S6_PS5_21rocsparse_index_base_b.num_named_barrier, 0
	.set _ZN9rocsparseL19gebsrmvn_2xn_kernelILj128ELj11ELj64E21rocsparse_complex_numIfEEEvi20rocsparse_direction_NS_24const_host_device_scalarIT2_EEPKiS8_PKS5_SA_S6_PS5_21rocsparse_index_base_b.private_seg_size, 0
	.set _ZN9rocsparseL19gebsrmvn_2xn_kernelILj128ELj11ELj64E21rocsparse_complex_numIfEEEvi20rocsparse_direction_NS_24const_host_device_scalarIT2_EEPKiS8_PKS5_SA_S6_PS5_21rocsparse_index_base_b.uses_vcc, 1
	.set _ZN9rocsparseL19gebsrmvn_2xn_kernelILj128ELj11ELj64E21rocsparse_complex_numIfEEEvi20rocsparse_direction_NS_24const_host_device_scalarIT2_EEPKiS8_PKS5_SA_S6_PS5_21rocsparse_index_base_b.uses_flat_scratch, 1
	.set _ZN9rocsparseL19gebsrmvn_2xn_kernelILj128ELj11ELj64E21rocsparse_complex_numIfEEEvi20rocsparse_direction_NS_24const_host_device_scalarIT2_EEPKiS8_PKS5_SA_S6_PS5_21rocsparse_index_base_b.has_dyn_sized_stack, 0
	.set _ZN9rocsparseL19gebsrmvn_2xn_kernelILj128ELj11ELj64E21rocsparse_complex_numIfEEEvi20rocsparse_direction_NS_24const_host_device_scalarIT2_EEPKiS8_PKS5_SA_S6_PS5_21rocsparse_index_base_b.has_recursion, 0
	.set _ZN9rocsparseL19gebsrmvn_2xn_kernelILj128ELj11ELj64E21rocsparse_complex_numIfEEEvi20rocsparse_direction_NS_24const_host_device_scalarIT2_EEPKiS8_PKS5_SA_S6_PS5_21rocsparse_index_base_b.has_indirect_call, 0
	.section	.AMDGPU.csdata,"",@progbits
; Kernel info:
; codeLenInByte = 3716
; TotalNumSgprs: 16
; NumVgprs: 86
; ScratchSize: 0
; MemoryBound: 0
; FloatMode: 240
; IeeeMode: 1
; LDSByteSize: 0 bytes/workgroup (compile time only)
; SGPRBlocks: 0
; VGPRBlocks: 5
; NumSGPRsForWavesPerEU: 16
; NumVGPRsForWavesPerEU: 86
; NamedBarCnt: 0
; Occupancy: 10
; WaveLimiterHint : 1
; COMPUTE_PGM_RSRC2:SCRATCH_EN: 0
; COMPUTE_PGM_RSRC2:USER_SGPR: 2
; COMPUTE_PGM_RSRC2:TRAP_HANDLER: 0
; COMPUTE_PGM_RSRC2:TGID_X_EN: 1
; COMPUTE_PGM_RSRC2:TGID_Y_EN: 0
; COMPUTE_PGM_RSRC2:TGID_Z_EN: 0
; COMPUTE_PGM_RSRC2:TIDIG_COMP_CNT: 0
	.section	.text._ZN9rocsparseL19gebsrmvn_2xn_kernelILj128ELj12ELj4E21rocsparse_complex_numIfEEEvi20rocsparse_direction_NS_24const_host_device_scalarIT2_EEPKiS8_PKS5_SA_S6_PS5_21rocsparse_index_base_b,"axG",@progbits,_ZN9rocsparseL19gebsrmvn_2xn_kernelILj128ELj12ELj4E21rocsparse_complex_numIfEEEvi20rocsparse_direction_NS_24const_host_device_scalarIT2_EEPKiS8_PKS5_SA_S6_PS5_21rocsparse_index_base_b,comdat
	.globl	_ZN9rocsparseL19gebsrmvn_2xn_kernelILj128ELj12ELj4E21rocsparse_complex_numIfEEEvi20rocsparse_direction_NS_24const_host_device_scalarIT2_EEPKiS8_PKS5_SA_S6_PS5_21rocsparse_index_base_b ; -- Begin function _ZN9rocsparseL19gebsrmvn_2xn_kernelILj128ELj12ELj4E21rocsparse_complex_numIfEEEvi20rocsparse_direction_NS_24const_host_device_scalarIT2_EEPKiS8_PKS5_SA_S6_PS5_21rocsparse_index_base_b
	.p2align	8
	.type	_ZN9rocsparseL19gebsrmvn_2xn_kernelILj128ELj12ELj4E21rocsparse_complex_numIfEEEvi20rocsparse_direction_NS_24const_host_device_scalarIT2_EEPKiS8_PKS5_SA_S6_PS5_21rocsparse_index_base_b,@function
_ZN9rocsparseL19gebsrmvn_2xn_kernelILj128ELj12ELj4E21rocsparse_complex_numIfEEEvi20rocsparse_direction_NS_24const_host_device_scalarIT2_EEPKiS8_PKS5_SA_S6_PS5_21rocsparse_index_base_b: ; @_ZN9rocsparseL19gebsrmvn_2xn_kernelILj128ELj12ELj4E21rocsparse_complex_numIfEEEvi20rocsparse_direction_NS_24const_host_device_scalarIT2_EEPKiS8_PKS5_SA_S6_PS5_21rocsparse_index_base_b
; %bb.0:
	s_clause 0x2
	s_load_b64 s[12:13], s[0:1], 0x40
	s_load_b64 s[2:3], s[0:1], 0x8
	;; [unrolled: 1-line block ×3, first 2 shown]
	v_mov_b32_e32 v1, 0
	s_add_nc_u64 s[6:7], s[0:1], 8
	s_add_nc_u64 s[8:9], s[0:1], 48
	s_wait_kmcnt 0x0
	s_bitcmp1_b32 s13, 0
	s_cselect_b32 s3, s7, s3
	s_cselect_b32 s2, s6, s2
	;; [unrolled: 1-line block ×4, first 2 shown]
	s_clause 0x1
	flat_load_b64 v[2:3], v1, s[2:3]
	flat_load_b64 v[4:5], v1, s[4:5]
	s_wait_loadcnt_dscnt 0x101
	v_cmp_eq_f32_e32 vcc_lo, 0, v2
	v_cmp_eq_f32_e64 s2, 0, v3
	s_wait_loadcnt_dscnt 0x0
	v_cmp_eq_f32_e64 s3, 1.0, v4
	v_cmp_eq_f32_e64 s4, 0, v5
	s_and_b32 s2, vcc_lo, s2
	s_and_b32 s3, s3, s4
	s_delay_alu instid0(SALU_CYCLE_1) | instskip(NEXT) | instid1(SALU_CYCLE_1)
	s_and_b32 s2, s2, s3
	s_xor_b32 s2, s2, -1
	s_delay_alu instid0(SALU_CYCLE_1)
	s_and_saveexec_b32 s3, s2
	s_cbranch_execz .LBB202_19
; %bb.1:
	s_load_b64 s[2:3], s[0:1], 0x0
	s_bfe_u32 s4, ttmp6, 0x4000c
	s_and_b32 s5, ttmp6, 15
	s_add_co_i32 s4, s4, 1
	s_getreg_b32 s6, hwreg(HW_REG_IB_STS2, 6, 4)
	s_mul_i32 s4, ttmp9, s4
	v_lshrrev_b32_e32 v1, 2, v0
	s_add_co_i32 s5, s5, s4
	s_cmp_eq_u32 s6, 0
	s_cselect_b32 s4, ttmp9, s5
	s_delay_alu instid0(VALU_DEP_1) | instid1(SALU_CYCLE_1)
	v_lshl_or_b32 v6, s4, 5, v1
	s_wait_kmcnt 0x0
	s_delay_alu instid0(VALU_DEP_1)
	v_cmp_gt_i32_e32 vcc_lo, s2, v6
	s_and_b32 exec_lo, exec_lo, vcc_lo
	s_cbranch_execz .LBB202_19
; %bb.2:
	s_load_b256 s[4:11], s[0:1], 0x10
	v_ashrrev_i32_e32 v7, 31, v6
	s_cmp_lg_u32 s3, 0
	s_wait_kmcnt 0x0
	s_delay_alu instid0(VALU_DEP_1)
	v_lshl_add_u64 v[8:9], v[6:7], 2, s[4:5]
	v_and_b32_e32 v7, 3, v0
	global_load_b64 v[8:9], v[8:9], off
	s_wait_loadcnt 0x0
	v_subrev_nc_u32_e32 v0, s12, v8
	v_subrev_nc_u32_e32 v14, s12, v9
	s_delay_alu instid0(VALU_DEP_2) | instskip(NEXT) | instid1(VALU_DEP_1)
	v_add_nc_u32_e32 v15, v0, v7
	v_cmp_lt_i32_e64 s2, v15, v14
	s_cbranch_scc0 .LBB202_8
; %bb.3:
	v_mov_b32_e32 v9, 0
	s_delay_alu instid0(VALU_DEP_1)
	v_dual_mov_b32 v8, v9 :: v_dual_mov_b32 v1, v9
	v_mov_b32_e32 v0, v9
	s_and_saveexec_b32 s3, s2
	s_cbranch_execz .LBB202_7
; %bb.4:
	v_mad_u32 v12, v15, 24, 22
	v_dual_mov_b32 v11, 0 :: v_dual_mov_b32 v16, v15
	s_mov_b32 s4, 0
	s_delay_alu instid0(VALU_DEP_1)
	v_dual_mov_b32 v0, v11 :: v_dual_mov_b32 v1, v11
	v_dual_mov_b32 v8, v11 :: v_dual_mov_b32 v9, v11
.LBB202_5:                              ; =>This Inner Loop Header: Depth=1
	global_load_b32 v10, v16, s[6:7] scale_offset
	v_dual_mov_b32 v67, v11 :: v_dual_mov_b32 v13, v11
	s_wait_xcnt 0x0
	v_add_nc_u32_e32 v16, 4, v16
	s_delay_alu instid0(VALU_DEP_1) | instskip(SKIP_3) | instid1(VALU_DEP_1)
	v_cmp_ge_i32_e32 vcc_lo, v16, v14
	s_or_b32 s4, vcc_lo, s4
	s_wait_loadcnt 0x0
	v_subrev_nc_u32_e32 v10, s12, v10
	v_mul_lo_u32 v66, v10, 12
	v_subrev_nc_u32_e32 v10, 22, v12
	s_delay_alu instid0(VALU_DEP_1) | instskip(SKIP_1) | instid1(VALU_DEP_4)
	v_lshl_add_u64 v[38:39], v[10:11], 3, s[8:9]
	v_add_nc_u32_e32 v10, -14, v12
	v_lshl_add_u64 v[40:41], v[66:67], 3, s[10:11]
	global_load_b128 v[18:21], v[38:39], off
	global_load_b128 v[22:25], v[40:41], off
	s_clause 0x1
	global_load_b128 v[26:29], v[38:39], off offset:16
	global_load_b128 v[30:33], v[38:39], off offset:32
	;; [unrolled: 1-line block ×4, first 2 shown]
	v_lshl_add_u64 v[42:43], v[10:11], 3, s[8:9]
	v_add_nc_u32_e32 v10, 4, v66
	global_load_b128 v[42:45], v[42:43], off
	v_lshl_add_u64 v[58:59], v[10:11], 3, s[10:11]
	v_add_nc_u32_e32 v10, -12, v12
	global_load_b128 v[46:49], v[58:59], off
	s_wait_loadcnt 0x7
	v_mov_b32_e32 v91, v20
	v_lshl_add_u64 v[60:61], v[10:11], 3, s[8:9]
	v_add_nc_u32_e32 v10, -10, v12
	s_wait_loadcnt 0x6
	v_pk_fma_f32 v[8:9], v[18:19], v[22:23], v[8:9] op_sel_hi:[1,0,1]
	global_load_b128 v[50:53], v[60:61], off
	global_load_b128 v[54:57], v[58:59], off offset:16
	v_xor_b32_e32 v90, 0x80000000, v21
	v_pk_fma_f32 v[8:9], v[18:19], v[22:23], v[8:9] op_sel:[1,1,0] op_sel_hi:[0,1,1] neg_lo:[1,0,0]
	s_wait_loadcnt 0x7
	v_mov_b32_e32 v19, v28
	s_wait_xcnt 0x0
	v_lshl_add_u64 v[58:59], v[10:11], 3, s[8:9]
	v_add_nc_u32_e32 v10, -8, v12
	v_pk_fma_f32 v[0:1], v[20:21], v[22:23], v[0:1] op_sel_hi:[1,0,1]
	v_xor_b32_e32 v18, 0x80000000, v29
	v_pk_fma_f32 v[8:9], v[26:27], v[24:25], v[8:9] op_sel_hi:[1,0,1]
	global_load_b128 v[58:61], v[58:59], off
	v_lshl_add_u64 v[62:63], v[10:11], 3, s[8:9]
	v_add_nc_u32_e32 v10, -6, v12
	v_pk_fma_f32 v[0:1], v[90:91], v[22:23], v[0:1] op_sel:[0,1,0]
	global_load_b128 v[62:65], v[62:63], off
	v_lshl_add_u64 v[74:75], v[10:11], 3, s[8:9]
	v_add_nc_u32_e32 v10, 8, v66
	v_pk_fma_f32 v[0:1], v[28:29], v[24:25], v[0:1] op_sel_hi:[1,0,1]
	s_delay_alu instid0(VALU_DEP_2)
	v_lshl_add_u64 v[86:87], v[10:11], 3, s[10:11]
	v_add_nc_u32_e32 v10, -4, v12
	global_load_b128 v[66:69], v[74:75], off
	global_load_b128 v[70:73], v[86:87], off
	s_wait_xcnt 0x1
	v_lshl_add_u64 v[74:75], v[10:11], 3, s[8:9]
	v_add_nc_u32_e32 v10, -2, v12
	global_load_b128 v[74:77], v[74:75], off
	v_lshl_add_u64 v[88:89], v[10:11], 3, s[8:9]
	global_load_b128 v[78:81], v[86:87], off offset:16
	global_load_b128 v[82:85], v[88:89], off
	s_wait_xcnt 0x1
	v_lshl_add_u64 v[86:87], v[12:13], 3, s[8:9]
	v_mov_b32_e32 v10, v25
	v_add_nc_u32_e32 v12, 0x60, v12
	global_load_b128 v[86:89], v[86:87], off
	v_pk_fma_f32 v[8:9], v[26:27], v[10:11], v[8:9] op_sel:[1,0,0] op_sel_hi:[0,0,1] neg_lo:[1,0,0]
	v_pk_fma_f32 v[0:1], v[18:19], v[10:11], v[0:1] op_sel_hi:[1,0,1]
	s_wait_loadcnt 0xe
	v_xor_b32_e32 v18, 0x80000000, v33
	s_wait_loadcnt 0xd
	v_dual_mov_b32 v19, v32 :: v_dual_mov_b32 v10, v37
	v_pk_fma_f32 v[8:9], v[30:31], v[34:35], v[8:9] op_sel_hi:[1,0,1]
	v_pk_fma_f32 v[0:1], v[32:33], v[34:35], v[0:1] op_sel_hi:[1,0,1]
	s_delay_alu instid0(VALU_DEP_2) | instskip(NEXT) | instid1(VALU_DEP_2)
	v_pk_fma_f32 v[8:9], v[30:31], v[34:35], v[8:9] op_sel:[1,1,0] op_sel_hi:[0,1,1] neg_lo:[1,0,0]
	v_pk_fma_f32 v[0:1], v[18:19], v[34:35], v[0:1] op_sel:[0,1,0]
	s_wait_loadcnt 0xc
	v_xor_b32_e32 v18, 0x80000000, v41
	v_mov_b32_e32 v19, v40
	v_pk_fma_f32 v[8:9], v[38:39], v[36:37], v[8:9] op_sel_hi:[1,0,1]
	v_pk_fma_f32 v[0:1], v[40:41], v[36:37], v[0:1] op_sel_hi:[1,0,1]
	s_delay_alu instid0(VALU_DEP_2) | instskip(NEXT) | instid1(VALU_DEP_2)
	v_pk_fma_f32 v[8:9], v[38:39], v[10:11], v[8:9] op_sel:[1,0,0] op_sel_hi:[0,0,1] neg_lo:[1,0,0]
	v_pk_fma_f32 v[0:1], v[18:19], v[10:11], v[0:1] op_sel_hi:[1,0,1]
	s_wait_loadcnt 0xb
	v_xor_b32_e32 v18, 0x80000000, v45
	s_wait_loadcnt 0xa
	v_dual_mov_b32 v19, v44 :: v_dual_mov_b32 v10, v49
	v_pk_fma_f32 v[8:9], v[42:43], v[46:47], v[8:9] op_sel_hi:[1,0,1]
	v_pk_fma_f32 v[0:1], v[44:45], v[46:47], v[0:1] op_sel_hi:[1,0,1]
	s_delay_alu instid0(VALU_DEP_2) | instskip(NEXT) | instid1(VALU_DEP_2)
	v_pk_fma_f32 v[8:9], v[42:43], v[46:47], v[8:9] op_sel:[1,1,0] op_sel_hi:[0,1,1] neg_lo:[1,0,0]
	v_pk_fma_f32 v[0:1], v[18:19], v[46:47], v[0:1] op_sel:[0,1,0]
	s_wait_loadcnt 0x9
	v_xor_b32_e32 v18, 0x80000000, v53
	v_mov_b32_e32 v19, v52
	v_pk_fma_f32 v[8:9], v[50:51], v[48:49], v[8:9] op_sel_hi:[1,0,1]
	v_pk_fma_f32 v[0:1], v[52:53], v[48:49], v[0:1] op_sel_hi:[1,0,1]
	s_delay_alu instid0(VALU_DEP_2) | instskip(NEXT) | instid1(VALU_DEP_2)
	v_pk_fma_f32 v[8:9], v[50:51], v[10:11], v[8:9] op_sel:[1,0,0] op_sel_hi:[0,0,1] neg_lo:[1,0,0]
	v_pk_fma_f32 v[0:1], v[18:19], v[10:11], v[0:1] op_sel_hi:[1,0,1]
	s_wait_loadcnt 0x8
	v_mov_b32_e32 v10, v57
	s_wait_loadcnt 0x7
	v_xor_b32_e32 v18, 0x80000000, v61
	v_mov_b32_e32 v19, v60
	v_pk_fma_f32 v[8:9], v[58:59], v[54:55], v[8:9] op_sel_hi:[1,0,1]
	v_pk_fma_f32 v[0:1], v[60:61], v[54:55], v[0:1] op_sel_hi:[1,0,1]
	s_delay_alu instid0(VALU_DEP_2) | instskip(NEXT) | instid1(VALU_DEP_2)
	v_pk_fma_f32 v[8:9], v[58:59], v[54:55], v[8:9] op_sel:[1,1,0] op_sel_hi:[0,1,1] neg_lo:[1,0,0]
	v_pk_fma_f32 v[0:1], v[18:19], v[54:55], v[0:1] op_sel:[0,1,0]
	s_wait_loadcnt 0x6
	v_xor_b32_e32 v18, 0x80000000, v65
	v_mov_b32_e32 v19, v64
	v_pk_fma_f32 v[8:9], v[62:63], v[56:57], v[8:9] op_sel_hi:[1,0,1]
	v_pk_fma_f32 v[0:1], v[64:65], v[56:57], v[0:1] op_sel_hi:[1,0,1]
	s_delay_alu instid0(VALU_DEP_2) | instskip(NEXT) | instid1(VALU_DEP_2)
	v_pk_fma_f32 v[8:9], v[62:63], v[10:11], v[8:9] op_sel:[1,0,0] op_sel_hi:[0,0,1] neg_lo:[1,0,0]
	v_pk_fma_f32 v[0:1], v[18:19], v[10:11], v[0:1] op_sel_hi:[1,0,1]
	s_wait_loadcnt 0x5
	v_xor_b32_e32 v18, 0x80000000, v69
	s_wait_loadcnt 0x4
	v_dual_mov_b32 v19, v68 :: v_dual_mov_b32 v10, v73
	v_pk_fma_f32 v[8:9], v[66:67], v[70:71], v[8:9] op_sel_hi:[1,0,1]
	v_pk_fma_f32 v[0:1], v[68:69], v[70:71], v[0:1] op_sel_hi:[1,0,1]
	s_delay_alu instid0(VALU_DEP_2) | instskip(NEXT) | instid1(VALU_DEP_2)
	v_pk_fma_f32 v[8:9], v[66:67], v[70:71], v[8:9] op_sel:[1,1,0] op_sel_hi:[0,1,1] neg_lo:[1,0,0]
	v_pk_fma_f32 v[0:1], v[18:19], v[70:71], v[0:1] op_sel:[0,1,0]
	s_wait_loadcnt 0x3
	v_xor_b32_e32 v18, 0x80000000, v77
	v_mov_b32_e32 v19, v76
	v_pk_fma_f32 v[8:9], v[74:75], v[72:73], v[8:9] op_sel_hi:[1,0,1]
	v_pk_fma_f32 v[0:1], v[76:77], v[72:73], v[0:1] op_sel_hi:[1,0,1]
	s_delay_alu instid0(VALU_DEP_2) | instskip(NEXT) | instid1(VALU_DEP_2)
	v_pk_fma_f32 v[8:9], v[74:75], v[10:11], v[8:9] op_sel:[1,0,0] op_sel_hi:[0,0,1] neg_lo:[1,0,0]
	v_pk_fma_f32 v[0:1], v[18:19], v[10:11], v[0:1] op_sel_hi:[1,0,1]
	s_wait_loadcnt 0x1
	v_xor_b32_e32 v18, 0x80000000, v85
	v_dual_mov_b32 v19, v84 :: v_dual_mov_b32 v10, v81
	v_pk_fma_f32 v[8:9], v[82:83], v[78:79], v[8:9] op_sel_hi:[1,0,1]
	v_pk_fma_f32 v[0:1], v[84:85], v[78:79], v[0:1] op_sel_hi:[1,0,1]
	s_delay_alu instid0(VALU_DEP_2) | instskip(NEXT) | instid1(VALU_DEP_2)
	v_pk_fma_f32 v[8:9], v[82:83], v[78:79], v[8:9] op_sel:[1,1,0] op_sel_hi:[0,1,1] neg_lo:[1,0,0]
	v_pk_fma_f32 v[0:1], v[18:19], v[78:79], v[0:1] op_sel:[0,1,0]
	s_wait_loadcnt 0x0
	v_xor_b32_e32 v18, 0x80000000, v89
	v_mov_b32_e32 v19, v88
	v_pk_fma_f32 v[8:9], v[86:87], v[80:81], v[8:9] op_sel_hi:[1,0,1]
	v_pk_fma_f32 v[0:1], v[88:89], v[80:81], v[0:1] op_sel_hi:[1,0,1]
	s_delay_alu instid0(VALU_DEP_2) | instskip(NEXT) | instid1(VALU_DEP_2)
	v_pk_fma_f32 v[8:9], v[86:87], v[10:11], v[8:9] op_sel:[1,0,0] op_sel_hi:[0,0,1] neg_lo:[1,0,0]
	v_pk_fma_f32 v[0:1], v[18:19], v[10:11], v[0:1] op_sel_hi:[1,0,1]
	s_and_not1_b32 exec_lo, exec_lo, s4
	s_cbranch_execnz .LBB202_5
; %bb.6:
	s_or_b32 exec_lo, exec_lo, s4
.LBB202_7:
	s_delay_alu instid0(SALU_CYCLE_1)
	s_or_b32 exec_lo, exec_lo, s3
	s_cbranch_execz .LBB202_9
	s_branch .LBB202_14
.LBB202_8:
                                        ; implicit-def: $vgpr9
                                        ; implicit-def: $vgpr1
.LBB202_9:
	v_mov_b32_e32 v9, 0
	s_delay_alu instid0(VALU_DEP_1)
	v_dual_mov_b32 v8, v9 :: v_dual_mov_b32 v1, v9
	v_mov_b32_e32 v0, v9
	s_and_saveexec_b32 s3, s2
	s_cbranch_execz .LBB202_13
; %bb.10:
	v_mad_u32 v12, v15, 24, 23
	v_mov_b32_e32 v11, 0
	s_mov_b32 s2, 0
	s_delay_alu instid0(VALU_DEP_1)
	v_dual_mov_b32 v0, v11 :: v_dual_mov_b32 v1, v11
	v_dual_mov_b32 v8, v11 :: v_dual_mov_b32 v9, v11
.LBB202_11:                             ; =>This Inner Loop Header: Depth=1
	global_load_b32 v13, v15, s[6:7] scale_offset
	v_subrev_nc_u32_e32 v10, 23, v12
	v_dual_mov_b32 v49, v11 :: v_dual_add_nc_u32 v20, -11, v12
	v_dual_add_nc_u32 v24, -10, v12 :: v_dual_add_nc_u32 v81, -2, v12
	v_add_nc_u32_e32 v82, -13, v12
	s_delay_alu instid0(VALU_DEP_4)
	v_lshl_add_u64 v[50:51], v[10:11], 3, s[8:9]
	v_add_nc_u32_e32 v84, -1, v12
	s_clause 0x1
	global_load_b128 v[16:19], v[50:51], off
	global_load_b64 v[52:53], v20, s[8:9] scale_offset
	s_wait_xcnt 0x2
	v_dual_add_nc_u32 v80, -3, v12 :: v_dual_add_nc_u32 v15, 4, v15
	s_delay_alu instid0(VALU_DEP_1) | instskip(SKIP_4) | instid1(VALU_DEP_2)
	v_cmp_ge_i32_e32 vcc_lo, v15, v14
	s_or_b32 s2, vcc_lo, s2
	s_wait_loadcnt 0x2
	v_subrev_nc_u32_e32 v10, s12, v13
	v_add_nc_u32_e32 v13, -7, v12
	v_mul_lo_u32 v48, v10, 12
	v_add_nc_u32_e32 v10, -9, v12
	s_delay_alu instid0(VALU_DEP_2)
	v_lshl_add_u64 v[32:33], v[48:49], 3, s[10:11]
	global_load_b128 v[20:23], v[32:33], off
	s_clause 0x2
	global_load_b64 v[54:55], v24, s[8:9] scale_offset
	global_load_b64 v[56:57], v10, s[8:9] scale_offset
	global_load_b128 v[24:27], v[50:51], off offset:16
	global_load_b128 v[28:31], v[32:33], off offset:16
	s_wait_xcnt 0x2
	v_dual_add_nc_u32 v10, -8, v12 :: v_dual_add_nc_u32 v49, -14, v12
	global_load_b64 v[58:59], v10, s[8:9] scale_offset
	s_wait_xcnt 0x0
	v_add_nc_u32_e32 v10, 4, v48
	s_delay_alu instid0(VALU_DEP_1)
	v_lshl_add_u64 v[44:45], v[10:11], 3, s[10:11]
	s_clause 0x1
	global_load_b64 v[60:61], v13, s[8:9] scale_offset
	global_load_b128 v[32:35], v[50:51], off offset:32
	s_clause 0x1
	global_load_b128 v[36:39], v[44:45], off
	global_load_b128 v[40:43], v[44:45], off offset:16
	s_wait_xcnt 0x3
	v_dual_add_nc_u32 v10, -6, v12 :: v_dual_add_nc_u32 v13, -15, v12
	global_load_b64 v[62:63], v10, s[8:9] scale_offset
	s_wait_xcnt 0x0
	v_add_nc_u32_e32 v10, -5, v12
	s_clause 0x1
	global_load_b64 v[64:65], v10, s[8:9] scale_offset
	global_load_b128 v[44:47], v[50:51], off offset:48
	s_wait_xcnt 0x1
	v_add_nc_u32_e32 v10, -4, v12
	global_load_b64 v[66:67], v10, s[8:9] scale_offset
	s_wait_xcnt 0x0
	v_add_nc_u32_e32 v10, 8, v48
	s_clause 0x1
	global_load_b64 v[68:69], v13, s[8:9] scale_offset
	global_load_b64 v[70:71], v49, s[8:9] scale_offset
	s_wait_xcnt 0x1
	v_add_nc_u32_e32 v13, -12, v12
	v_lshl_add_u64 v[72:73], v[10:11], 3, s[10:11]
	s_clause 0x2
	global_load_b64 v[74:75], v82, s[8:9] scale_offset
	global_load_b64 v[76:77], v81, s[8:9] scale_offset
	;; [unrolled: 1-line block ×3, first 2 shown]
	global_load_b128 v[48:51], v[72:73], off
	s_wait_loadcnt 0x15
	s_wait_xcnt 0x1
	v_xor_b32_e32 v80, 0x80000000, v19
	v_mov_b32_e32 v81, v18
	s_wait_loadcnt 0x13
	v_pk_fma_f32 v[8:9], v[16:17], v[20:21], v[8:9] op_sel_hi:[1,0,1]
	v_pk_fma_f32 v[0:1], v[52:53], v[20:21], v[0:1] op_sel_hi:[1,0,1]
	v_mov_b32_e32 v10, v23
	s_delay_alu instid0(VALU_DEP_3) | instskip(NEXT) | instid1(VALU_DEP_3)
	v_pk_fma_f32 v[8:9], v[16:17], v[20:21], v[8:9] op_sel:[1,1,0] op_sel_hi:[0,1,1] neg_lo:[1,0,0]
	v_pk_fma_f32 v[0:1], v[52:53], v[20:21], v[0:1] op_sel:[1,1,0] op_sel_hi:[0,1,1] neg_lo:[1,0,0]
	s_delay_alu instid0(VALU_DEP_2)
	v_pk_fma_f32 v[8:9], v[18:19], v[22:23], v[8:9] op_sel_hi:[1,0,1]
	global_load_b64 v[82:83], v84, s[8:9] scale_offset
	global_load_b128 v[16:19], v[72:73], off offset:16
	global_load_b64 v[20:21], v12, s[8:9] scale_offset
	s_wait_loadcnt 0x15
	v_pk_fma_f32 v[0:1], v[54:55], v[22:23], v[0:1] op_sel_hi:[1,0,1]
	global_load_b64 v[22:23], v13, s[8:9] scale_offset
	v_pk_fma_f32 v[8:9], v[80:81], v[10:11], v[8:9] op_sel_hi:[1,0,1]
	s_wait_xcnt 0x1
	v_add_nc_u32_e32 v12, 0x60, v12
	v_pk_fma_f32 v[0:1], v[54:55], v[10:11], v[0:1] op_sel:[1,0,0] op_sel_hi:[0,0,1] neg_lo:[1,0,0]
	s_wait_loadcnt 0x13
	v_mov_b32_e32 v10, v31
	v_pk_fma_f32 v[8:9], v[24:25], v[28:29], v[8:9] op_sel_hi:[1,0,1]
	s_delay_alu instid0(VALU_DEP_3) | instskip(NEXT) | instid1(VALU_DEP_2)
	v_pk_fma_f32 v[0:1], v[56:57], v[28:29], v[0:1] op_sel_hi:[1,0,1]
	v_pk_fma_f32 v[8:9], v[24:25], v[28:29], v[8:9] op_sel:[1,1,0] op_sel_hi:[0,1,1] neg_lo:[1,0,0]
	v_xor_b32_e32 v24, 0x80000000, v27
	v_mov_b32_e32 v25, v26
	s_delay_alu instid0(VALU_DEP_4) | instskip(NEXT) | instid1(VALU_DEP_4)
	v_pk_fma_f32 v[0:1], v[56:57], v[28:29], v[0:1] op_sel:[1,1,0] op_sel_hi:[0,1,1] neg_lo:[1,0,0]
	v_pk_fma_f32 v[8:9], v[26:27], v[30:31], v[8:9] op_sel_hi:[1,0,1]
	s_wait_loadcnt 0x12
	s_delay_alu instid0(VALU_DEP_2) | instskip(NEXT) | instid1(VALU_DEP_2)
	v_pk_fma_f32 v[0:1], v[58:59], v[30:31], v[0:1] op_sel_hi:[1,0,1]
	v_pk_fma_f32 v[8:9], v[24:25], v[10:11], v[8:9] op_sel_hi:[1,0,1]
	s_wait_loadcnt 0x10
	v_xor_b32_e32 v24, 0x80000000, v35
	v_mov_b32_e32 v25, v34
	v_pk_fma_f32 v[0:1], v[58:59], v[10:11], v[0:1] op_sel:[1,0,0] op_sel_hi:[0,0,1] neg_lo:[1,0,0]
	s_wait_loadcnt 0xf
	v_mov_b32_e32 v10, v39
	v_pk_fma_f32 v[8:9], v[32:33], v[36:37], v[8:9] op_sel_hi:[1,0,1]
	s_delay_alu instid0(VALU_DEP_3) | instskip(NEXT) | instid1(VALU_DEP_2)
	v_pk_fma_f32 v[0:1], v[60:61], v[36:37], v[0:1] op_sel_hi:[1,0,1]
	v_pk_fma_f32 v[8:9], v[32:33], v[36:37], v[8:9] op_sel:[1,1,0] op_sel_hi:[0,1,1] neg_lo:[1,0,0]
	s_delay_alu instid0(VALU_DEP_2) | instskip(NEXT) | instid1(VALU_DEP_2)
	v_pk_fma_f32 v[0:1], v[60:61], v[36:37], v[0:1] op_sel:[1,1,0] op_sel_hi:[0,1,1] neg_lo:[1,0,0]
	v_pk_fma_f32 v[8:9], v[34:35], v[38:39], v[8:9] op_sel_hi:[1,0,1]
	s_wait_loadcnt 0xd
	s_delay_alu instid0(VALU_DEP_2) | instskip(NEXT) | instid1(VALU_DEP_2)
	v_pk_fma_f32 v[0:1], v[62:63], v[38:39], v[0:1] op_sel_hi:[1,0,1]
	v_pk_fma_f32 v[8:9], v[24:25], v[10:11], v[8:9] op_sel_hi:[1,0,1]
	s_wait_loadcnt 0xb
	v_xor_b32_e32 v24, 0x80000000, v47
	v_mov_b32_e32 v25, v46
	v_pk_fma_f32 v[0:1], v[62:63], v[10:11], v[0:1] op_sel:[1,0,0] op_sel_hi:[0,0,1] neg_lo:[1,0,0]
	v_mov_b32_e32 v10, v43
	v_pk_fma_f32 v[8:9], v[44:45], v[40:41], v[8:9] op_sel_hi:[1,0,1]
	s_delay_alu instid0(VALU_DEP_3) | instskip(NEXT) | instid1(VALU_DEP_2)
	v_pk_fma_f32 v[0:1], v[64:65], v[40:41], v[0:1] op_sel_hi:[1,0,1]
	v_pk_fma_f32 v[8:9], v[44:45], v[40:41], v[8:9] op_sel:[1,1,0] op_sel_hi:[0,1,1] neg_lo:[1,0,0]
	s_delay_alu instid0(VALU_DEP_2) | instskip(NEXT) | instid1(VALU_DEP_2)
	v_pk_fma_f32 v[0:1], v[64:65], v[40:41], v[0:1] op_sel:[1,1,0] op_sel_hi:[0,1,1] neg_lo:[1,0,0]
	v_pk_fma_f32 v[8:9], v[46:47], v[42:43], v[8:9] op_sel_hi:[1,0,1]
	s_wait_loadcnt 0xa
	s_delay_alu instid0(VALU_DEP_2) | instskip(NEXT) | instid1(VALU_DEP_2)
	v_pk_fma_f32 v[0:1], v[66:67], v[42:43], v[0:1] op_sel_hi:[1,0,1]
	v_pk_fma_f32 v[8:9], v[24:25], v[10:11], v[8:9] op_sel_hi:[1,0,1]
	s_delay_alu instid0(VALU_DEP_2) | instskip(SKIP_2) | instid1(VALU_DEP_3)
	v_pk_fma_f32 v[0:1], v[66:67], v[10:11], v[0:1] op_sel:[1,0,0] op_sel_hi:[0,0,1] neg_lo:[1,0,0]
	s_wait_loadcnt 0x4
	v_mov_b32_e32 v10, v51
	v_pk_fma_f32 v[8:9], v[68:69], v[48:49], v[8:9] op_sel_hi:[1,0,1]
	s_delay_alu instid0(VALU_DEP_3) | instskip(NEXT) | instid1(VALU_DEP_2)
	v_pk_fma_f32 v[0:1], v[78:79], v[48:49], v[0:1] op_sel_hi:[1,0,1]
	v_pk_fma_f32 v[8:9], v[68:69], v[48:49], v[8:9] op_sel:[1,1,0] op_sel_hi:[0,1,1] neg_lo:[1,0,0]
	s_delay_alu instid0(VALU_DEP_2) | instskip(NEXT) | instid1(VALU_DEP_2)
	v_pk_fma_f32 v[0:1], v[78:79], v[48:49], v[0:1] op_sel:[1,1,0] op_sel_hi:[0,1,1] neg_lo:[1,0,0]
	v_pk_fma_f32 v[8:9], v[70:71], v[50:51], v[8:9] op_sel_hi:[1,0,1]
	s_delay_alu instid0(VALU_DEP_2) | instskip(NEXT) | instid1(VALU_DEP_2)
	v_pk_fma_f32 v[0:1], v[76:77], v[50:51], v[0:1] op_sel_hi:[1,0,1]
	v_pk_fma_f32 v[8:9], v[70:71], v[10:11], v[8:9] op_sel:[1,0,0] op_sel_hi:[0,0,1] neg_lo:[1,0,0]
	s_delay_alu instid0(VALU_DEP_2) | instskip(SKIP_1) | instid1(VALU_DEP_2)
	v_pk_fma_f32 v[0:1], v[76:77], v[10:11], v[0:1] op_sel:[1,0,0] op_sel_hi:[0,0,1] neg_lo:[1,0,0]
	s_wait_loadcnt 0x2
	v_pk_fma_f32 v[8:9], v[74:75], v[16:17], v[8:9] op_sel_hi:[1,0,1]
	s_delay_alu instid0(VALU_DEP_2) | instskip(SKIP_1) | instid1(VALU_DEP_3)
	v_pk_fma_f32 v[0:1], v[82:83], v[16:17], v[0:1] op_sel_hi:[1,0,1]
	v_mov_b32_e32 v10, v19
	v_pk_fma_f32 v[8:9], v[74:75], v[16:17], v[8:9] op_sel:[1,1,0] op_sel_hi:[0,1,1] neg_lo:[1,0,0]
	s_delay_alu instid0(VALU_DEP_3) | instskip(SKIP_1) | instid1(VALU_DEP_2)
	v_pk_fma_f32 v[0:1], v[82:83], v[16:17], v[0:1] op_sel:[1,1,0] op_sel_hi:[0,1,1] neg_lo:[1,0,0]
	s_wait_loadcnt 0x0
	v_pk_fma_f32 v[8:9], v[22:23], v[18:19], v[8:9] op_sel_hi:[1,0,1]
	s_delay_alu instid0(VALU_DEP_2) | instskip(NEXT) | instid1(VALU_DEP_2)
	v_pk_fma_f32 v[0:1], v[20:21], v[18:19], v[0:1] op_sel_hi:[1,0,1]
	v_pk_fma_f32 v[8:9], v[22:23], v[10:11], v[8:9] op_sel:[1,0,0] op_sel_hi:[0,0,1] neg_lo:[1,0,0]
	s_delay_alu instid0(VALU_DEP_2)
	v_pk_fma_f32 v[0:1], v[20:21], v[10:11], v[0:1] op_sel:[1,0,0] op_sel_hi:[0,0,1] neg_lo:[1,0,0]
	s_and_not1_b32 exec_lo, exec_lo, s2
	s_cbranch_execnz .LBB202_11
; %bb.12:
	s_or_b32 exec_lo, exec_lo, s2
.LBB202_13:
	s_delay_alu instid0(SALU_CYCLE_1)
	s_or_b32 exec_lo, exec_lo, s3
.LBB202_14:
	v_mbcnt_lo_u32_b32 v10, -1, 0
	s_delay_alu instid0(VALU_DEP_1) | instskip(SKIP_1) | instid1(VALU_DEP_1)
	v_xor_b32_e32 v15, 1, v10
	v_xor_b32_e32 v11, 2, v10
	v_cmp_gt_i32_e32 vcc_lo, 32, v11
	v_cndmask_b32_e32 v11, v10, v11, vcc_lo
	s_delay_alu instid0(VALU_DEP_4) | instskip(SKIP_2) | instid1(VALU_DEP_2)
	v_cmp_gt_i32_e32 vcc_lo, 32, v15
	v_cndmask_b32_e32 v10, v10, v15, vcc_lo
	v_cmp_eq_u32_e32 vcc_lo, 3, v7
	v_dual_lshlrev_b32 v15, 2, v10 :: v_dual_lshlrev_b32 v11, 2, v11
	ds_bpermute_b32 v12, v11, v8
	s_wait_dscnt 0x0
	v_add_f32_e32 v10, v8, v12
	ds_bpermute_b32 v13, v11, v9
	ds_bpermute_b32 v14, v11, v0
	;; [unrolled: 1-line block ×3, first 2 shown]
	s_wait_dscnt 0x1
	v_dual_add_f32 v9, v9, v13 :: v_dual_add_f32 v8, v0, v14
	s_wait_dscnt 0x0
	v_add_f32_e32 v1, v1, v11
	ds_bpermute_b32 v0, v15, v10
	ds_bpermute_b32 v12, v15, v9
	;; [unrolled: 1-line block ×4, first 2 shown]
	s_and_b32 exec_lo, exec_lo, vcc_lo
	s_cbranch_execz .LBB202_19
; %bb.15:
	s_load_b64 s[2:3], s[0:1], 0x38
	v_cmp_eq_f32_e32 vcc_lo, 0, v4
	s_wait_xcnt 0x0
	v_cmp_eq_f32_e64 s0, 0, v5
	s_wait_dscnt 0x1
	v_dual_add_f32 v0, v10, v0 :: v_dual_add_f32 v8, v8, v11
	v_add_f32_e32 v12, v9, v12
	s_wait_dscnt 0x0
	v_add_f32_e32 v10, v1, v13
	s_and_b32 s0, vcc_lo, s0
	s_delay_alu instid0(SALU_CYCLE_1) | instskip(NEXT) | instid1(SALU_CYCLE_1)
	s_and_saveexec_b32 s1, s0
	s_xor_b32 s0, exec_lo, s1
	s_cbranch_execz .LBB202_17
; %bb.16:
	v_xor_b32_e32 v4, 0x80000000, v3
	v_dual_mov_b32 v5, v2 :: v_dual_lshlrev_b32 v6, 1, v6
	s_delay_alu instid0(VALU_DEP_1) | instskip(NEXT) | instid1(VALU_DEP_2)
	v_ashrrev_i32_e32 v7, 31, v6
	v_pk_mul_f32 v[12:13], v[12:13], v[4:5] op_sel_hi:[0,1]
	v_pk_mul_f32 v[4:5], v[10:11], v[4:5] op_sel_hi:[0,1]
                                        ; implicit-def: $vgpr10
	s_wait_kmcnt 0x0
	s_delay_alu instid0(VALU_DEP_3) | instskip(NEXT) | instid1(VALU_DEP_3)
	v_lshl_add_u64 v[6:7], v[6:7], 3, s[2:3]
	v_pk_fma_f32 v[0:1], v[2:3], v[0:1], v[12:13] op_sel_hi:[1,0,1]
	s_delay_alu instid0(VALU_DEP_3)
	v_pk_fma_f32 v[2:3], v[2:3], v[8:9], v[4:5] op_sel_hi:[1,0,1]
                                        ; implicit-def: $vgpr4_vgpr5
                                        ; implicit-def: $vgpr12
                                        ; implicit-def: $vgpr8
	global_store_b128 v[6:7], v[0:3], off
                                        ; implicit-def: $vgpr6
                                        ; implicit-def: $vgpr2_vgpr3
                                        ; implicit-def: $vgpr0
.LBB202_17:
	s_wait_xcnt 0x0
	s_and_not1_saveexec_b32 s0, s0
	s_cbranch_execz .LBB202_19
; %bb.18:
	v_dual_mov_b32 v19, v2 :: v_dual_lshlrev_b32 v6, 1, v6
	v_xor_b32_e32 v18, 0x80000000, v3
	s_delay_alu instid0(VALU_DEP_2) | instskip(NEXT) | instid1(VALU_DEP_2)
	v_ashrrev_i32_e32 v7, 31, v6
	v_pk_mul_f32 v[12:13], v[12:13], v[18:19] op_sel_hi:[0,1]
	v_pk_mul_f32 v[10:11], v[10:11], v[18:19] op_sel_hi:[0,1]
	s_delay_alu instid0(VALU_DEP_2) | instskip(NEXT) | instid1(VALU_DEP_2)
	v_pk_fma_f32 v[0:1], v[2:3], v[0:1], v[12:13] op_sel_hi:[1,0,1]
	v_pk_fma_f32 v[2:3], v[2:3], v[8:9], v[10:11] op_sel_hi:[1,0,1]
	v_mov_b32_e32 v9, v4
	s_wait_kmcnt 0x0
	v_lshl_add_u64 v[6:7], v[6:7], 3, s[2:3]
	v_xor_b32_e32 v8, 0x80000000, v5
	global_load_b128 v[14:17], v[6:7], off
	s_wait_loadcnt 0x0
	v_pk_fma_f32 v[0:1], v[4:5], v[14:15], v[0:1] op_sel_hi:[1,0,1]
	v_pk_fma_f32 v[2:3], v[4:5], v[16:17], v[2:3] op_sel_hi:[1,0,1]
	v_mov_b32_e32 v4, v17
	s_delay_alu instid0(VALU_DEP_3) | instskip(NEXT) | instid1(VALU_DEP_2)
	v_pk_fma_f32 v[0:1], v[8:9], v[14:15], v[0:1] op_sel:[0,1,0]
	v_pk_fma_f32 v[2:3], v[8:9], v[4:5], v[2:3] op_sel_hi:[1,0,1]
	global_store_b128 v[6:7], v[0:3], off
.LBB202_19:
	s_sendmsg sendmsg(MSG_DEALLOC_VGPRS)
	s_endpgm
	.section	.rodata,"a",@progbits
	.p2align	6, 0x0
	.amdhsa_kernel _ZN9rocsparseL19gebsrmvn_2xn_kernelILj128ELj12ELj4E21rocsparse_complex_numIfEEEvi20rocsparse_direction_NS_24const_host_device_scalarIT2_EEPKiS8_PKS5_SA_S6_PS5_21rocsparse_index_base_b
		.amdhsa_group_segment_fixed_size 0
		.amdhsa_private_segment_fixed_size 0
		.amdhsa_kernarg_size 72
		.amdhsa_user_sgpr_count 2
		.amdhsa_user_sgpr_dispatch_ptr 0
		.amdhsa_user_sgpr_queue_ptr 0
		.amdhsa_user_sgpr_kernarg_segment_ptr 1
		.amdhsa_user_sgpr_dispatch_id 0
		.amdhsa_user_sgpr_kernarg_preload_length 0
		.amdhsa_user_sgpr_kernarg_preload_offset 0
		.amdhsa_user_sgpr_private_segment_size 0
		.amdhsa_wavefront_size32 1
		.amdhsa_uses_dynamic_stack 0
		.amdhsa_enable_private_segment 0
		.amdhsa_system_sgpr_workgroup_id_x 1
		.amdhsa_system_sgpr_workgroup_id_y 0
		.amdhsa_system_sgpr_workgroup_id_z 0
		.amdhsa_system_sgpr_workgroup_info 0
		.amdhsa_system_vgpr_workitem_id 0
		.amdhsa_next_free_vgpr 92
		.amdhsa_next_free_sgpr 14
		.amdhsa_named_barrier_count 0
		.amdhsa_reserve_vcc 1
		.amdhsa_float_round_mode_32 0
		.amdhsa_float_round_mode_16_64 0
		.amdhsa_float_denorm_mode_32 3
		.amdhsa_float_denorm_mode_16_64 3
		.amdhsa_fp16_overflow 0
		.amdhsa_memory_ordered 1
		.amdhsa_forward_progress 1
		.amdhsa_inst_pref_size 26
		.amdhsa_round_robin_scheduling 0
		.amdhsa_exception_fp_ieee_invalid_op 0
		.amdhsa_exception_fp_denorm_src 0
		.amdhsa_exception_fp_ieee_div_zero 0
		.amdhsa_exception_fp_ieee_overflow 0
		.amdhsa_exception_fp_ieee_underflow 0
		.amdhsa_exception_fp_ieee_inexact 0
		.amdhsa_exception_int_div_zero 0
	.end_amdhsa_kernel
	.section	.text._ZN9rocsparseL19gebsrmvn_2xn_kernelILj128ELj12ELj4E21rocsparse_complex_numIfEEEvi20rocsparse_direction_NS_24const_host_device_scalarIT2_EEPKiS8_PKS5_SA_S6_PS5_21rocsparse_index_base_b,"axG",@progbits,_ZN9rocsparseL19gebsrmvn_2xn_kernelILj128ELj12ELj4E21rocsparse_complex_numIfEEEvi20rocsparse_direction_NS_24const_host_device_scalarIT2_EEPKiS8_PKS5_SA_S6_PS5_21rocsparse_index_base_b,comdat
.Lfunc_end202:
	.size	_ZN9rocsparseL19gebsrmvn_2xn_kernelILj128ELj12ELj4E21rocsparse_complex_numIfEEEvi20rocsparse_direction_NS_24const_host_device_scalarIT2_EEPKiS8_PKS5_SA_S6_PS5_21rocsparse_index_base_b, .Lfunc_end202-_ZN9rocsparseL19gebsrmvn_2xn_kernelILj128ELj12ELj4E21rocsparse_complex_numIfEEEvi20rocsparse_direction_NS_24const_host_device_scalarIT2_EEPKiS8_PKS5_SA_S6_PS5_21rocsparse_index_base_b
                                        ; -- End function
	.set _ZN9rocsparseL19gebsrmvn_2xn_kernelILj128ELj12ELj4E21rocsparse_complex_numIfEEEvi20rocsparse_direction_NS_24const_host_device_scalarIT2_EEPKiS8_PKS5_SA_S6_PS5_21rocsparse_index_base_b.num_vgpr, 92
	.set _ZN9rocsparseL19gebsrmvn_2xn_kernelILj128ELj12ELj4E21rocsparse_complex_numIfEEEvi20rocsparse_direction_NS_24const_host_device_scalarIT2_EEPKiS8_PKS5_SA_S6_PS5_21rocsparse_index_base_b.num_agpr, 0
	.set _ZN9rocsparseL19gebsrmvn_2xn_kernelILj128ELj12ELj4E21rocsparse_complex_numIfEEEvi20rocsparse_direction_NS_24const_host_device_scalarIT2_EEPKiS8_PKS5_SA_S6_PS5_21rocsparse_index_base_b.numbered_sgpr, 14
	.set _ZN9rocsparseL19gebsrmvn_2xn_kernelILj128ELj12ELj4E21rocsparse_complex_numIfEEEvi20rocsparse_direction_NS_24const_host_device_scalarIT2_EEPKiS8_PKS5_SA_S6_PS5_21rocsparse_index_base_b.num_named_barrier, 0
	.set _ZN9rocsparseL19gebsrmvn_2xn_kernelILj128ELj12ELj4E21rocsparse_complex_numIfEEEvi20rocsparse_direction_NS_24const_host_device_scalarIT2_EEPKiS8_PKS5_SA_S6_PS5_21rocsparse_index_base_b.private_seg_size, 0
	.set _ZN9rocsparseL19gebsrmvn_2xn_kernelILj128ELj12ELj4E21rocsparse_complex_numIfEEEvi20rocsparse_direction_NS_24const_host_device_scalarIT2_EEPKiS8_PKS5_SA_S6_PS5_21rocsparse_index_base_b.uses_vcc, 1
	.set _ZN9rocsparseL19gebsrmvn_2xn_kernelILj128ELj12ELj4E21rocsparse_complex_numIfEEEvi20rocsparse_direction_NS_24const_host_device_scalarIT2_EEPKiS8_PKS5_SA_S6_PS5_21rocsparse_index_base_b.uses_flat_scratch, 1
	.set _ZN9rocsparseL19gebsrmvn_2xn_kernelILj128ELj12ELj4E21rocsparse_complex_numIfEEEvi20rocsparse_direction_NS_24const_host_device_scalarIT2_EEPKiS8_PKS5_SA_S6_PS5_21rocsparse_index_base_b.has_dyn_sized_stack, 0
	.set _ZN9rocsparseL19gebsrmvn_2xn_kernelILj128ELj12ELj4E21rocsparse_complex_numIfEEEvi20rocsparse_direction_NS_24const_host_device_scalarIT2_EEPKiS8_PKS5_SA_S6_PS5_21rocsparse_index_base_b.has_recursion, 0
	.set _ZN9rocsparseL19gebsrmvn_2xn_kernelILj128ELj12ELj4E21rocsparse_complex_numIfEEEvi20rocsparse_direction_NS_24const_host_device_scalarIT2_EEPKiS8_PKS5_SA_S6_PS5_21rocsparse_index_base_b.has_indirect_call, 0
	.section	.AMDGPU.csdata,"",@progbits
; Kernel info:
; codeLenInByte = 3248
; TotalNumSgprs: 16
; NumVgprs: 92
; ScratchSize: 0
; MemoryBound: 0
; FloatMode: 240
; IeeeMode: 1
; LDSByteSize: 0 bytes/workgroup (compile time only)
; SGPRBlocks: 0
; VGPRBlocks: 5
; NumSGPRsForWavesPerEU: 16
; NumVGPRsForWavesPerEU: 92
; NamedBarCnt: 0
; Occupancy: 10
; WaveLimiterHint : 1
; COMPUTE_PGM_RSRC2:SCRATCH_EN: 0
; COMPUTE_PGM_RSRC2:USER_SGPR: 2
; COMPUTE_PGM_RSRC2:TRAP_HANDLER: 0
; COMPUTE_PGM_RSRC2:TGID_X_EN: 1
; COMPUTE_PGM_RSRC2:TGID_Y_EN: 0
; COMPUTE_PGM_RSRC2:TGID_Z_EN: 0
; COMPUTE_PGM_RSRC2:TIDIG_COMP_CNT: 0
	.section	.text._ZN9rocsparseL19gebsrmvn_2xn_kernelILj128ELj12ELj8E21rocsparse_complex_numIfEEEvi20rocsparse_direction_NS_24const_host_device_scalarIT2_EEPKiS8_PKS5_SA_S6_PS5_21rocsparse_index_base_b,"axG",@progbits,_ZN9rocsparseL19gebsrmvn_2xn_kernelILj128ELj12ELj8E21rocsparse_complex_numIfEEEvi20rocsparse_direction_NS_24const_host_device_scalarIT2_EEPKiS8_PKS5_SA_S6_PS5_21rocsparse_index_base_b,comdat
	.globl	_ZN9rocsparseL19gebsrmvn_2xn_kernelILj128ELj12ELj8E21rocsparse_complex_numIfEEEvi20rocsparse_direction_NS_24const_host_device_scalarIT2_EEPKiS8_PKS5_SA_S6_PS5_21rocsparse_index_base_b ; -- Begin function _ZN9rocsparseL19gebsrmvn_2xn_kernelILj128ELj12ELj8E21rocsparse_complex_numIfEEEvi20rocsparse_direction_NS_24const_host_device_scalarIT2_EEPKiS8_PKS5_SA_S6_PS5_21rocsparse_index_base_b
	.p2align	8
	.type	_ZN9rocsparseL19gebsrmvn_2xn_kernelILj128ELj12ELj8E21rocsparse_complex_numIfEEEvi20rocsparse_direction_NS_24const_host_device_scalarIT2_EEPKiS8_PKS5_SA_S6_PS5_21rocsparse_index_base_b,@function
_ZN9rocsparseL19gebsrmvn_2xn_kernelILj128ELj12ELj8E21rocsparse_complex_numIfEEEvi20rocsparse_direction_NS_24const_host_device_scalarIT2_EEPKiS8_PKS5_SA_S6_PS5_21rocsparse_index_base_b: ; @_ZN9rocsparseL19gebsrmvn_2xn_kernelILj128ELj12ELj8E21rocsparse_complex_numIfEEEvi20rocsparse_direction_NS_24const_host_device_scalarIT2_EEPKiS8_PKS5_SA_S6_PS5_21rocsparse_index_base_b
; %bb.0:
	s_clause 0x2
	s_load_b64 s[12:13], s[0:1], 0x40
	s_load_b64 s[2:3], s[0:1], 0x8
	s_load_b64 s[4:5], s[0:1], 0x30
	v_mov_b32_e32 v1, 0
	s_add_nc_u64 s[6:7], s[0:1], 8
	s_add_nc_u64 s[8:9], s[0:1], 48
	s_wait_kmcnt 0x0
	s_bitcmp1_b32 s13, 0
	s_cselect_b32 s3, s7, s3
	s_cselect_b32 s2, s6, s2
	;; [unrolled: 1-line block ×4, first 2 shown]
	s_clause 0x1
	flat_load_b64 v[2:3], v1, s[2:3]
	flat_load_b64 v[4:5], v1, s[4:5]
	s_wait_loadcnt_dscnt 0x101
	v_cmp_eq_f32_e32 vcc_lo, 0, v2
	v_cmp_eq_f32_e64 s2, 0, v3
	s_wait_loadcnt_dscnt 0x0
	v_cmp_eq_f32_e64 s3, 1.0, v4
	v_cmp_eq_f32_e64 s4, 0, v5
	s_and_b32 s2, vcc_lo, s2
	s_and_b32 s3, s3, s4
	s_delay_alu instid0(SALU_CYCLE_1) | instskip(NEXT) | instid1(SALU_CYCLE_1)
	s_and_b32 s2, s2, s3
	s_xor_b32 s2, s2, -1
	s_delay_alu instid0(SALU_CYCLE_1)
	s_and_saveexec_b32 s3, s2
	s_cbranch_execz .LBB203_19
; %bb.1:
	s_load_b64 s[2:3], s[0:1], 0x0
	s_bfe_u32 s4, ttmp6, 0x4000c
	s_and_b32 s5, ttmp6, 15
	s_add_co_i32 s4, s4, 1
	s_getreg_b32 s6, hwreg(HW_REG_IB_STS2, 6, 4)
	s_mul_i32 s4, ttmp9, s4
	v_lshrrev_b32_e32 v1, 3, v0
	s_add_co_i32 s5, s5, s4
	s_cmp_eq_u32 s6, 0
	s_cselect_b32 s4, ttmp9, s5
	s_delay_alu instid0(VALU_DEP_1) | instid1(SALU_CYCLE_1)
	v_lshl_or_b32 v6, s4, 4, v1
	s_wait_kmcnt 0x0
	s_delay_alu instid0(VALU_DEP_1)
	v_cmp_gt_i32_e32 vcc_lo, s2, v6
	s_and_b32 exec_lo, exec_lo, vcc_lo
	s_cbranch_execz .LBB203_19
; %bb.2:
	s_load_b256 s[4:11], s[0:1], 0x10
	v_ashrrev_i32_e32 v7, 31, v6
	s_cmp_lg_u32 s3, 0
	s_wait_kmcnt 0x0
	s_delay_alu instid0(VALU_DEP_1)
	v_lshl_add_u64 v[8:9], v[6:7], 2, s[4:5]
	v_and_b32_e32 v7, 7, v0
	global_load_b64 v[8:9], v[8:9], off
	s_wait_loadcnt 0x0
	v_subrev_nc_u32_e32 v0, s12, v8
	v_subrev_nc_u32_e32 v14, s12, v9
	s_delay_alu instid0(VALU_DEP_2) | instskip(NEXT) | instid1(VALU_DEP_1)
	v_add_nc_u32_e32 v15, v0, v7
	v_cmp_lt_i32_e64 s2, v15, v14
	s_cbranch_scc0 .LBB203_8
; %bb.3:
	v_mov_b32_e32 v9, 0
	s_delay_alu instid0(VALU_DEP_1)
	v_dual_mov_b32 v8, v9 :: v_dual_mov_b32 v1, v9
	v_mov_b32_e32 v0, v9
	s_and_saveexec_b32 s3, s2
	s_cbranch_execz .LBB203_7
; %bb.4:
	v_mad_u32 v12, v15, 24, 22
	v_dual_mov_b32 v11, 0 :: v_dual_mov_b32 v16, v15
	s_mov_b32 s4, 0
	s_delay_alu instid0(VALU_DEP_1)
	v_dual_mov_b32 v0, v11 :: v_dual_mov_b32 v1, v11
	v_dual_mov_b32 v8, v11 :: v_dual_mov_b32 v9, v11
.LBB203_5:                              ; =>This Inner Loop Header: Depth=1
	global_load_b32 v10, v16, s[6:7] scale_offset
	v_dual_mov_b32 v67, v11 :: v_dual_mov_b32 v13, v11
	s_wait_xcnt 0x0
	v_add_nc_u32_e32 v16, 8, v16
	s_delay_alu instid0(VALU_DEP_1) | instskip(SKIP_3) | instid1(VALU_DEP_1)
	v_cmp_ge_i32_e32 vcc_lo, v16, v14
	s_or_b32 s4, vcc_lo, s4
	s_wait_loadcnt 0x0
	v_subrev_nc_u32_e32 v10, s12, v10
	v_mul_lo_u32 v66, v10, 12
	v_subrev_nc_u32_e32 v10, 22, v12
	s_delay_alu instid0(VALU_DEP_1) | instskip(SKIP_1) | instid1(VALU_DEP_4)
	v_lshl_add_u64 v[38:39], v[10:11], 3, s[8:9]
	v_add_nc_u32_e32 v10, -14, v12
	v_lshl_add_u64 v[40:41], v[66:67], 3, s[10:11]
	global_load_b128 v[18:21], v[38:39], off
	global_load_b128 v[22:25], v[40:41], off
	s_clause 0x1
	global_load_b128 v[26:29], v[38:39], off offset:16
	global_load_b128 v[30:33], v[38:39], off offset:32
	;; [unrolled: 1-line block ×4, first 2 shown]
	v_lshl_add_u64 v[42:43], v[10:11], 3, s[8:9]
	v_add_nc_u32_e32 v10, 4, v66
	global_load_b128 v[42:45], v[42:43], off
	v_lshl_add_u64 v[58:59], v[10:11], 3, s[10:11]
	v_add_nc_u32_e32 v10, -12, v12
	global_load_b128 v[46:49], v[58:59], off
	s_wait_loadcnt 0x7
	v_mov_b32_e32 v91, v20
	v_lshl_add_u64 v[60:61], v[10:11], 3, s[8:9]
	v_add_nc_u32_e32 v10, -10, v12
	s_wait_loadcnt 0x6
	v_pk_fma_f32 v[8:9], v[18:19], v[22:23], v[8:9] op_sel_hi:[1,0,1]
	global_load_b128 v[50:53], v[60:61], off
	global_load_b128 v[54:57], v[58:59], off offset:16
	v_xor_b32_e32 v90, 0x80000000, v21
	v_pk_fma_f32 v[8:9], v[18:19], v[22:23], v[8:9] op_sel:[1,1,0] op_sel_hi:[0,1,1] neg_lo:[1,0,0]
	s_wait_loadcnt 0x7
	v_mov_b32_e32 v19, v28
	s_wait_xcnt 0x0
	v_lshl_add_u64 v[58:59], v[10:11], 3, s[8:9]
	v_add_nc_u32_e32 v10, -8, v12
	v_pk_fma_f32 v[0:1], v[20:21], v[22:23], v[0:1] op_sel_hi:[1,0,1]
	v_xor_b32_e32 v18, 0x80000000, v29
	v_pk_fma_f32 v[8:9], v[26:27], v[24:25], v[8:9] op_sel_hi:[1,0,1]
	global_load_b128 v[58:61], v[58:59], off
	v_lshl_add_u64 v[62:63], v[10:11], 3, s[8:9]
	v_add_nc_u32_e32 v10, -6, v12
	v_pk_fma_f32 v[0:1], v[90:91], v[22:23], v[0:1] op_sel:[0,1,0]
	global_load_b128 v[62:65], v[62:63], off
	v_lshl_add_u64 v[74:75], v[10:11], 3, s[8:9]
	v_add_nc_u32_e32 v10, 8, v66
	v_pk_fma_f32 v[0:1], v[28:29], v[24:25], v[0:1] op_sel_hi:[1,0,1]
	s_delay_alu instid0(VALU_DEP_2)
	v_lshl_add_u64 v[86:87], v[10:11], 3, s[10:11]
	v_add_nc_u32_e32 v10, -4, v12
	global_load_b128 v[66:69], v[74:75], off
	global_load_b128 v[70:73], v[86:87], off
	s_wait_xcnt 0x1
	v_lshl_add_u64 v[74:75], v[10:11], 3, s[8:9]
	v_add_nc_u32_e32 v10, -2, v12
	global_load_b128 v[74:77], v[74:75], off
	v_lshl_add_u64 v[88:89], v[10:11], 3, s[8:9]
	global_load_b128 v[78:81], v[86:87], off offset:16
	global_load_b128 v[82:85], v[88:89], off
	s_wait_xcnt 0x1
	v_lshl_add_u64 v[86:87], v[12:13], 3, s[8:9]
	v_mov_b32_e32 v10, v25
	v_add_nc_u32_e32 v12, 0xc0, v12
	global_load_b128 v[86:89], v[86:87], off
	v_pk_fma_f32 v[8:9], v[26:27], v[10:11], v[8:9] op_sel:[1,0,0] op_sel_hi:[0,0,1] neg_lo:[1,0,0]
	v_pk_fma_f32 v[0:1], v[18:19], v[10:11], v[0:1] op_sel_hi:[1,0,1]
	s_wait_loadcnt 0xe
	v_xor_b32_e32 v18, 0x80000000, v33
	s_wait_loadcnt 0xd
	v_dual_mov_b32 v19, v32 :: v_dual_mov_b32 v10, v37
	v_pk_fma_f32 v[8:9], v[30:31], v[34:35], v[8:9] op_sel_hi:[1,0,1]
	v_pk_fma_f32 v[0:1], v[32:33], v[34:35], v[0:1] op_sel_hi:[1,0,1]
	s_delay_alu instid0(VALU_DEP_2) | instskip(NEXT) | instid1(VALU_DEP_2)
	v_pk_fma_f32 v[8:9], v[30:31], v[34:35], v[8:9] op_sel:[1,1,0] op_sel_hi:[0,1,1] neg_lo:[1,0,0]
	v_pk_fma_f32 v[0:1], v[18:19], v[34:35], v[0:1] op_sel:[0,1,0]
	s_wait_loadcnt 0xc
	v_xor_b32_e32 v18, 0x80000000, v41
	v_mov_b32_e32 v19, v40
	v_pk_fma_f32 v[8:9], v[38:39], v[36:37], v[8:9] op_sel_hi:[1,0,1]
	v_pk_fma_f32 v[0:1], v[40:41], v[36:37], v[0:1] op_sel_hi:[1,0,1]
	s_delay_alu instid0(VALU_DEP_2) | instskip(NEXT) | instid1(VALU_DEP_2)
	v_pk_fma_f32 v[8:9], v[38:39], v[10:11], v[8:9] op_sel:[1,0,0] op_sel_hi:[0,0,1] neg_lo:[1,0,0]
	v_pk_fma_f32 v[0:1], v[18:19], v[10:11], v[0:1] op_sel_hi:[1,0,1]
	s_wait_loadcnt 0xb
	v_xor_b32_e32 v18, 0x80000000, v45
	s_wait_loadcnt 0xa
	v_dual_mov_b32 v19, v44 :: v_dual_mov_b32 v10, v49
	v_pk_fma_f32 v[8:9], v[42:43], v[46:47], v[8:9] op_sel_hi:[1,0,1]
	v_pk_fma_f32 v[0:1], v[44:45], v[46:47], v[0:1] op_sel_hi:[1,0,1]
	s_delay_alu instid0(VALU_DEP_2) | instskip(NEXT) | instid1(VALU_DEP_2)
	v_pk_fma_f32 v[8:9], v[42:43], v[46:47], v[8:9] op_sel:[1,1,0] op_sel_hi:[0,1,1] neg_lo:[1,0,0]
	v_pk_fma_f32 v[0:1], v[18:19], v[46:47], v[0:1] op_sel:[0,1,0]
	s_wait_loadcnt 0x9
	v_xor_b32_e32 v18, 0x80000000, v53
	v_mov_b32_e32 v19, v52
	v_pk_fma_f32 v[8:9], v[50:51], v[48:49], v[8:9] op_sel_hi:[1,0,1]
	v_pk_fma_f32 v[0:1], v[52:53], v[48:49], v[0:1] op_sel_hi:[1,0,1]
	s_delay_alu instid0(VALU_DEP_2) | instskip(NEXT) | instid1(VALU_DEP_2)
	v_pk_fma_f32 v[8:9], v[50:51], v[10:11], v[8:9] op_sel:[1,0,0] op_sel_hi:[0,0,1] neg_lo:[1,0,0]
	v_pk_fma_f32 v[0:1], v[18:19], v[10:11], v[0:1] op_sel_hi:[1,0,1]
	s_wait_loadcnt 0x8
	v_mov_b32_e32 v10, v57
	s_wait_loadcnt 0x7
	v_xor_b32_e32 v18, 0x80000000, v61
	v_mov_b32_e32 v19, v60
	v_pk_fma_f32 v[8:9], v[58:59], v[54:55], v[8:9] op_sel_hi:[1,0,1]
	v_pk_fma_f32 v[0:1], v[60:61], v[54:55], v[0:1] op_sel_hi:[1,0,1]
	s_delay_alu instid0(VALU_DEP_2) | instskip(NEXT) | instid1(VALU_DEP_2)
	v_pk_fma_f32 v[8:9], v[58:59], v[54:55], v[8:9] op_sel:[1,1,0] op_sel_hi:[0,1,1] neg_lo:[1,0,0]
	v_pk_fma_f32 v[0:1], v[18:19], v[54:55], v[0:1] op_sel:[0,1,0]
	s_wait_loadcnt 0x6
	v_xor_b32_e32 v18, 0x80000000, v65
	v_mov_b32_e32 v19, v64
	v_pk_fma_f32 v[8:9], v[62:63], v[56:57], v[8:9] op_sel_hi:[1,0,1]
	v_pk_fma_f32 v[0:1], v[64:65], v[56:57], v[0:1] op_sel_hi:[1,0,1]
	s_delay_alu instid0(VALU_DEP_2) | instskip(NEXT) | instid1(VALU_DEP_2)
	v_pk_fma_f32 v[8:9], v[62:63], v[10:11], v[8:9] op_sel:[1,0,0] op_sel_hi:[0,0,1] neg_lo:[1,0,0]
	v_pk_fma_f32 v[0:1], v[18:19], v[10:11], v[0:1] op_sel_hi:[1,0,1]
	s_wait_loadcnt 0x5
	v_xor_b32_e32 v18, 0x80000000, v69
	s_wait_loadcnt 0x4
	v_dual_mov_b32 v19, v68 :: v_dual_mov_b32 v10, v73
	v_pk_fma_f32 v[8:9], v[66:67], v[70:71], v[8:9] op_sel_hi:[1,0,1]
	v_pk_fma_f32 v[0:1], v[68:69], v[70:71], v[0:1] op_sel_hi:[1,0,1]
	s_delay_alu instid0(VALU_DEP_2) | instskip(NEXT) | instid1(VALU_DEP_2)
	v_pk_fma_f32 v[8:9], v[66:67], v[70:71], v[8:9] op_sel:[1,1,0] op_sel_hi:[0,1,1] neg_lo:[1,0,0]
	v_pk_fma_f32 v[0:1], v[18:19], v[70:71], v[0:1] op_sel:[0,1,0]
	s_wait_loadcnt 0x3
	v_xor_b32_e32 v18, 0x80000000, v77
	v_mov_b32_e32 v19, v76
	v_pk_fma_f32 v[8:9], v[74:75], v[72:73], v[8:9] op_sel_hi:[1,0,1]
	v_pk_fma_f32 v[0:1], v[76:77], v[72:73], v[0:1] op_sel_hi:[1,0,1]
	s_delay_alu instid0(VALU_DEP_2) | instskip(NEXT) | instid1(VALU_DEP_2)
	v_pk_fma_f32 v[8:9], v[74:75], v[10:11], v[8:9] op_sel:[1,0,0] op_sel_hi:[0,0,1] neg_lo:[1,0,0]
	v_pk_fma_f32 v[0:1], v[18:19], v[10:11], v[0:1] op_sel_hi:[1,0,1]
	s_wait_loadcnt 0x1
	v_xor_b32_e32 v18, 0x80000000, v85
	v_dual_mov_b32 v19, v84 :: v_dual_mov_b32 v10, v81
	v_pk_fma_f32 v[8:9], v[82:83], v[78:79], v[8:9] op_sel_hi:[1,0,1]
	v_pk_fma_f32 v[0:1], v[84:85], v[78:79], v[0:1] op_sel_hi:[1,0,1]
	s_delay_alu instid0(VALU_DEP_2) | instskip(NEXT) | instid1(VALU_DEP_2)
	v_pk_fma_f32 v[8:9], v[82:83], v[78:79], v[8:9] op_sel:[1,1,0] op_sel_hi:[0,1,1] neg_lo:[1,0,0]
	v_pk_fma_f32 v[0:1], v[18:19], v[78:79], v[0:1] op_sel:[0,1,0]
	s_wait_loadcnt 0x0
	v_xor_b32_e32 v18, 0x80000000, v89
	v_mov_b32_e32 v19, v88
	v_pk_fma_f32 v[8:9], v[86:87], v[80:81], v[8:9] op_sel_hi:[1,0,1]
	v_pk_fma_f32 v[0:1], v[88:89], v[80:81], v[0:1] op_sel_hi:[1,0,1]
	s_delay_alu instid0(VALU_DEP_2) | instskip(NEXT) | instid1(VALU_DEP_2)
	v_pk_fma_f32 v[8:9], v[86:87], v[10:11], v[8:9] op_sel:[1,0,0] op_sel_hi:[0,0,1] neg_lo:[1,0,0]
	v_pk_fma_f32 v[0:1], v[18:19], v[10:11], v[0:1] op_sel_hi:[1,0,1]
	s_and_not1_b32 exec_lo, exec_lo, s4
	s_cbranch_execnz .LBB203_5
; %bb.6:
	s_or_b32 exec_lo, exec_lo, s4
.LBB203_7:
	s_delay_alu instid0(SALU_CYCLE_1)
	s_or_b32 exec_lo, exec_lo, s3
	s_cbranch_execz .LBB203_9
	s_branch .LBB203_14
.LBB203_8:
                                        ; implicit-def: $vgpr9
                                        ; implicit-def: $vgpr1
.LBB203_9:
	v_mov_b32_e32 v9, 0
	s_delay_alu instid0(VALU_DEP_1)
	v_dual_mov_b32 v8, v9 :: v_dual_mov_b32 v1, v9
	v_mov_b32_e32 v0, v9
	s_and_saveexec_b32 s3, s2
	s_cbranch_execz .LBB203_13
; %bb.10:
	v_mad_u32 v12, v15, 24, 23
	v_mov_b32_e32 v11, 0
	s_mov_b32 s2, 0
	s_delay_alu instid0(VALU_DEP_1)
	v_dual_mov_b32 v0, v11 :: v_dual_mov_b32 v1, v11
	v_dual_mov_b32 v8, v11 :: v_dual_mov_b32 v9, v11
.LBB203_11:                             ; =>This Inner Loop Header: Depth=1
	global_load_b32 v13, v15, s[6:7] scale_offset
	v_subrev_nc_u32_e32 v10, 23, v12
	v_dual_mov_b32 v49, v11 :: v_dual_add_nc_u32 v20, -11, v12
	v_dual_add_nc_u32 v24, -10, v12 :: v_dual_add_nc_u32 v81, -2, v12
	v_add_nc_u32_e32 v82, -13, v12
	s_delay_alu instid0(VALU_DEP_4)
	v_lshl_add_u64 v[50:51], v[10:11], 3, s[8:9]
	v_add_nc_u32_e32 v84, -1, v12
	s_clause 0x1
	global_load_b128 v[16:19], v[50:51], off
	global_load_b64 v[52:53], v20, s[8:9] scale_offset
	s_wait_xcnt 0x2
	v_dual_add_nc_u32 v80, -3, v12 :: v_dual_add_nc_u32 v15, 8, v15
	s_delay_alu instid0(VALU_DEP_1) | instskip(SKIP_4) | instid1(VALU_DEP_2)
	v_cmp_ge_i32_e32 vcc_lo, v15, v14
	s_or_b32 s2, vcc_lo, s2
	s_wait_loadcnt 0x2
	v_subrev_nc_u32_e32 v10, s12, v13
	v_add_nc_u32_e32 v13, -7, v12
	v_mul_lo_u32 v48, v10, 12
	v_add_nc_u32_e32 v10, -9, v12
	s_delay_alu instid0(VALU_DEP_2)
	v_lshl_add_u64 v[32:33], v[48:49], 3, s[10:11]
	global_load_b128 v[20:23], v[32:33], off
	s_clause 0x2
	global_load_b64 v[54:55], v24, s[8:9] scale_offset
	global_load_b64 v[56:57], v10, s[8:9] scale_offset
	global_load_b128 v[24:27], v[50:51], off offset:16
	global_load_b128 v[28:31], v[32:33], off offset:16
	s_wait_xcnt 0x2
	v_dual_add_nc_u32 v10, -8, v12 :: v_dual_add_nc_u32 v49, -14, v12
	global_load_b64 v[58:59], v10, s[8:9] scale_offset
	s_wait_xcnt 0x0
	v_add_nc_u32_e32 v10, 4, v48
	s_delay_alu instid0(VALU_DEP_1)
	v_lshl_add_u64 v[44:45], v[10:11], 3, s[10:11]
	s_clause 0x1
	global_load_b64 v[60:61], v13, s[8:9] scale_offset
	global_load_b128 v[32:35], v[50:51], off offset:32
	s_clause 0x1
	global_load_b128 v[36:39], v[44:45], off
	global_load_b128 v[40:43], v[44:45], off offset:16
	s_wait_xcnt 0x3
	v_dual_add_nc_u32 v10, -6, v12 :: v_dual_add_nc_u32 v13, -15, v12
	global_load_b64 v[62:63], v10, s[8:9] scale_offset
	s_wait_xcnt 0x0
	v_add_nc_u32_e32 v10, -5, v12
	s_clause 0x1
	global_load_b64 v[64:65], v10, s[8:9] scale_offset
	global_load_b128 v[44:47], v[50:51], off offset:48
	s_wait_xcnt 0x1
	v_add_nc_u32_e32 v10, -4, v12
	global_load_b64 v[66:67], v10, s[8:9] scale_offset
	s_wait_xcnt 0x0
	v_add_nc_u32_e32 v10, 8, v48
	s_clause 0x1
	global_load_b64 v[68:69], v13, s[8:9] scale_offset
	global_load_b64 v[70:71], v49, s[8:9] scale_offset
	s_wait_xcnt 0x1
	v_add_nc_u32_e32 v13, -12, v12
	v_lshl_add_u64 v[72:73], v[10:11], 3, s[10:11]
	s_clause 0x2
	global_load_b64 v[74:75], v82, s[8:9] scale_offset
	global_load_b64 v[76:77], v81, s[8:9] scale_offset
	;; [unrolled: 1-line block ×3, first 2 shown]
	global_load_b128 v[48:51], v[72:73], off
	s_wait_loadcnt 0x15
	s_wait_xcnt 0x1
	v_xor_b32_e32 v80, 0x80000000, v19
	v_mov_b32_e32 v81, v18
	s_wait_loadcnt 0x13
	v_pk_fma_f32 v[8:9], v[16:17], v[20:21], v[8:9] op_sel_hi:[1,0,1]
	v_pk_fma_f32 v[0:1], v[52:53], v[20:21], v[0:1] op_sel_hi:[1,0,1]
	v_mov_b32_e32 v10, v23
	s_delay_alu instid0(VALU_DEP_3) | instskip(NEXT) | instid1(VALU_DEP_3)
	v_pk_fma_f32 v[8:9], v[16:17], v[20:21], v[8:9] op_sel:[1,1,0] op_sel_hi:[0,1,1] neg_lo:[1,0,0]
	v_pk_fma_f32 v[0:1], v[52:53], v[20:21], v[0:1] op_sel:[1,1,0] op_sel_hi:[0,1,1] neg_lo:[1,0,0]
	s_delay_alu instid0(VALU_DEP_2)
	v_pk_fma_f32 v[8:9], v[18:19], v[22:23], v[8:9] op_sel_hi:[1,0,1]
	global_load_b64 v[82:83], v84, s[8:9] scale_offset
	global_load_b128 v[16:19], v[72:73], off offset:16
	global_load_b64 v[20:21], v12, s[8:9] scale_offset
	s_wait_loadcnt 0x15
	v_pk_fma_f32 v[0:1], v[54:55], v[22:23], v[0:1] op_sel_hi:[1,0,1]
	global_load_b64 v[22:23], v13, s[8:9] scale_offset
	v_pk_fma_f32 v[8:9], v[80:81], v[10:11], v[8:9] op_sel_hi:[1,0,1]
	s_wait_xcnt 0x1
	v_add_nc_u32_e32 v12, 0xc0, v12
	v_pk_fma_f32 v[0:1], v[54:55], v[10:11], v[0:1] op_sel:[1,0,0] op_sel_hi:[0,0,1] neg_lo:[1,0,0]
	s_wait_loadcnt 0x13
	v_mov_b32_e32 v10, v31
	v_pk_fma_f32 v[8:9], v[24:25], v[28:29], v[8:9] op_sel_hi:[1,0,1]
	s_delay_alu instid0(VALU_DEP_3) | instskip(NEXT) | instid1(VALU_DEP_2)
	v_pk_fma_f32 v[0:1], v[56:57], v[28:29], v[0:1] op_sel_hi:[1,0,1]
	v_pk_fma_f32 v[8:9], v[24:25], v[28:29], v[8:9] op_sel:[1,1,0] op_sel_hi:[0,1,1] neg_lo:[1,0,0]
	v_xor_b32_e32 v24, 0x80000000, v27
	v_mov_b32_e32 v25, v26
	s_delay_alu instid0(VALU_DEP_4) | instskip(NEXT) | instid1(VALU_DEP_4)
	v_pk_fma_f32 v[0:1], v[56:57], v[28:29], v[0:1] op_sel:[1,1,0] op_sel_hi:[0,1,1] neg_lo:[1,0,0]
	v_pk_fma_f32 v[8:9], v[26:27], v[30:31], v[8:9] op_sel_hi:[1,0,1]
	s_wait_loadcnt 0x12
	s_delay_alu instid0(VALU_DEP_2) | instskip(NEXT) | instid1(VALU_DEP_2)
	v_pk_fma_f32 v[0:1], v[58:59], v[30:31], v[0:1] op_sel_hi:[1,0,1]
	v_pk_fma_f32 v[8:9], v[24:25], v[10:11], v[8:9] op_sel_hi:[1,0,1]
	s_wait_loadcnt 0x10
	v_xor_b32_e32 v24, 0x80000000, v35
	v_mov_b32_e32 v25, v34
	v_pk_fma_f32 v[0:1], v[58:59], v[10:11], v[0:1] op_sel:[1,0,0] op_sel_hi:[0,0,1] neg_lo:[1,0,0]
	s_wait_loadcnt 0xf
	v_mov_b32_e32 v10, v39
	v_pk_fma_f32 v[8:9], v[32:33], v[36:37], v[8:9] op_sel_hi:[1,0,1]
	s_delay_alu instid0(VALU_DEP_3) | instskip(NEXT) | instid1(VALU_DEP_2)
	v_pk_fma_f32 v[0:1], v[60:61], v[36:37], v[0:1] op_sel_hi:[1,0,1]
	v_pk_fma_f32 v[8:9], v[32:33], v[36:37], v[8:9] op_sel:[1,1,0] op_sel_hi:[0,1,1] neg_lo:[1,0,0]
	s_delay_alu instid0(VALU_DEP_2) | instskip(NEXT) | instid1(VALU_DEP_2)
	v_pk_fma_f32 v[0:1], v[60:61], v[36:37], v[0:1] op_sel:[1,1,0] op_sel_hi:[0,1,1] neg_lo:[1,0,0]
	v_pk_fma_f32 v[8:9], v[34:35], v[38:39], v[8:9] op_sel_hi:[1,0,1]
	s_wait_loadcnt 0xd
	s_delay_alu instid0(VALU_DEP_2) | instskip(NEXT) | instid1(VALU_DEP_2)
	v_pk_fma_f32 v[0:1], v[62:63], v[38:39], v[0:1] op_sel_hi:[1,0,1]
	v_pk_fma_f32 v[8:9], v[24:25], v[10:11], v[8:9] op_sel_hi:[1,0,1]
	s_wait_loadcnt 0xb
	v_xor_b32_e32 v24, 0x80000000, v47
	v_mov_b32_e32 v25, v46
	v_pk_fma_f32 v[0:1], v[62:63], v[10:11], v[0:1] op_sel:[1,0,0] op_sel_hi:[0,0,1] neg_lo:[1,0,0]
	v_mov_b32_e32 v10, v43
	v_pk_fma_f32 v[8:9], v[44:45], v[40:41], v[8:9] op_sel_hi:[1,0,1]
	s_delay_alu instid0(VALU_DEP_3) | instskip(NEXT) | instid1(VALU_DEP_2)
	v_pk_fma_f32 v[0:1], v[64:65], v[40:41], v[0:1] op_sel_hi:[1,0,1]
	v_pk_fma_f32 v[8:9], v[44:45], v[40:41], v[8:9] op_sel:[1,1,0] op_sel_hi:[0,1,1] neg_lo:[1,0,0]
	s_delay_alu instid0(VALU_DEP_2) | instskip(NEXT) | instid1(VALU_DEP_2)
	v_pk_fma_f32 v[0:1], v[64:65], v[40:41], v[0:1] op_sel:[1,1,0] op_sel_hi:[0,1,1] neg_lo:[1,0,0]
	v_pk_fma_f32 v[8:9], v[46:47], v[42:43], v[8:9] op_sel_hi:[1,0,1]
	s_wait_loadcnt 0xa
	s_delay_alu instid0(VALU_DEP_2) | instskip(NEXT) | instid1(VALU_DEP_2)
	v_pk_fma_f32 v[0:1], v[66:67], v[42:43], v[0:1] op_sel_hi:[1,0,1]
	v_pk_fma_f32 v[8:9], v[24:25], v[10:11], v[8:9] op_sel_hi:[1,0,1]
	s_delay_alu instid0(VALU_DEP_2) | instskip(SKIP_2) | instid1(VALU_DEP_3)
	v_pk_fma_f32 v[0:1], v[66:67], v[10:11], v[0:1] op_sel:[1,0,0] op_sel_hi:[0,0,1] neg_lo:[1,0,0]
	s_wait_loadcnt 0x4
	v_mov_b32_e32 v10, v51
	v_pk_fma_f32 v[8:9], v[68:69], v[48:49], v[8:9] op_sel_hi:[1,0,1]
	s_delay_alu instid0(VALU_DEP_3) | instskip(NEXT) | instid1(VALU_DEP_2)
	v_pk_fma_f32 v[0:1], v[78:79], v[48:49], v[0:1] op_sel_hi:[1,0,1]
	v_pk_fma_f32 v[8:9], v[68:69], v[48:49], v[8:9] op_sel:[1,1,0] op_sel_hi:[0,1,1] neg_lo:[1,0,0]
	s_delay_alu instid0(VALU_DEP_2) | instskip(NEXT) | instid1(VALU_DEP_2)
	v_pk_fma_f32 v[0:1], v[78:79], v[48:49], v[0:1] op_sel:[1,1,0] op_sel_hi:[0,1,1] neg_lo:[1,0,0]
	v_pk_fma_f32 v[8:9], v[70:71], v[50:51], v[8:9] op_sel_hi:[1,0,1]
	s_delay_alu instid0(VALU_DEP_2) | instskip(NEXT) | instid1(VALU_DEP_2)
	v_pk_fma_f32 v[0:1], v[76:77], v[50:51], v[0:1] op_sel_hi:[1,0,1]
	v_pk_fma_f32 v[8:9], v[70:71], v[10:11], v[8:9] op_sel:[1,0,0] op_sel_hi:[0,0,1] neg_lo:[1,0,0]
	s_delay_alu instid0(VALU_DEP_2) | instskip(SKIP_1) | instid1(VALU_DEP_2)
	v_pk_fma_f32 v[0:1], v[76:77], v[10:11], v[0:1] op_sel:[1,0,0] op_sel_hi:[0,0,1] neg_lo:[1,0,0]
	s_wait_loadcnt 0x2
	v_pk_fma_f32 v[8:9], v[74:75], v[16:17], v[8:9] op_sel_hi:[1,0,1]
	s_delay_alu instid0(VALU_DEP_2) | instskip(SKIP_1) | instid1(VALU_DEP_3)
	v_pk_fma_f32 v[0:1], v[82:83], v[16:17], v[0:1] op_sel_hi:[1,0,1]
	v_mov_b32_e32 v10, v19
	v_pk_fma_f32 v[8:9], v[74:75], v[16:17], v[8:9] op_sel:[1,1,0] op_sel_hi:[0,1,1] neg_lo:[1,0,0]
	s_delay_alu instid0(VALU_DEP_3) | instskip(SKIP_1) | instid1(VALU_DEP_2)
	v_pk_fma_f32 v[0:1], v[82:83], v[16:17], v[0:1] op_sel:[1,1,0] op_sel_hi:[0,1,1] neg_lo:[1,0,0]
	s_wait_loadcnt 0x0
	v_pk_fma_f32 v[8:9], v[22:23], v[18:19], v[8:9] op_sel_hi:[1,0,1]
	s_delay_alu instid0(VALU_DEP_2) | instskip(NEXT) | instid1(VALU_DEP_2)
	v_pk_fma_f32 v[0:1], v[20:21], v[18:19], v[0:1] op_sel_hi:[1,0,1]
	v_pk_fma_f32 v[8:9], v[22:23], v[10:11], v[8:9] op_sel:[1,0,0] op_sel_hi:[0,0,1] neg_lo:[1,0,0]
	s_delay_alu instid0(VALU_DEP_2)
	v_pk_fma_f32 v[0:1], v[20:21], v[10:11], v[0:1] op_sel:[1,0,0] op_sel_hi:[0,0,1] neg_lo:[1,0,0]
	s_and_not1_b32 exec_lo, exec_lo, s2
	s_cbranch_execnz .LBB203_11
; %bb.12:
	s_or_b32 exec_lo, exec_lo, s2
.LBB203_13:
	s_delay_alu instid0(SALU_CYCLE_1)
	s_or_b32 exec_lo, exec_lo, s3
.LBB203_14:
	v_mbcnt_lo_u32_b32 v10, -1, 0
	s_delay_alu instid0(VALU_DEP_1) | instskip(SKIP_1) | instid1(VALU_DEP_1)
	v_xor_b32_e32 v15, 2, v10
	v_xor_b32_e32 v11, 4, v10
	v_cmp_gt_i32_e32 vcc_lo, 32, v11
	v_cndmask_b32_e32 v11, v10, v11, vcc_lo
	s_delay_alu instid0(VALU_DEP_1)
	v_lshlrev_b32_e32 v11, 2, v11
	ds_bpermute_b32 v13, v11, v9
	s_wait_dscnt 0x0
	v_add_f32_e32 v9, v9, v13
	ds_bpermute_b32 v12, v11, v8
	ds_bpermute_b32 v14, v11, v0
	;; [unrolled: 1-line block ×3, first 2 shown]
	s_wait_dscnt 0x2
	v_add_f32_e32 v8, v8, v12
	s_wait_dscnt 0x0
	v_dual_add_f32 v12, v0, v14 :: v_dual_add_f32 v11, v1, v11
	v_cmp_gt_i32_e32 vcc_lo, 32, v15
	v_cndmask_b32_e32 v15, v10, v15, vcc_lo
	s_delay_alu instid0(VALU_DEP_1)
	v_lshlrev_b32_e32 v15, 2, v15
	ds_bpermute_b32 v0, v15, v8
	ds_bpermute_b32 v1, v15, v9
	;; [unrolled: 1-line block ×4, first 2 shown]
	s_wait_dscnt 0x3
	v_dual_add_f32 v0, v8, v0 :: v_dual_bitop2_b32 v15, 1, v10 bitop3:0x14
	s_delay_alu instid0(VALU_DEP_1) | instskip(SKIP_4) | instid1(VALU_DEP_2)
	v_cmp_gt_i32_e32 vcc_lo, 32, v15
	s_wait_dscnt 0x0
	v_dual_add_f32 v8, v9, v1 :: v_dual_add_f32 v9, v11, v14
	v_dual_add_f32 v1, v12, v13 :: v_dual_cndmask_b32 v10, v10, v15
	v_cmp_eq_u32_e32 vcc_lo, 7, v7
	v_lshlrev_b32_e32 v15, 2, v10
	ds_bpermute_b32 v12, v15, v0
	ds_bpermute_b32 v13, v15, v8
	;; [unrolled: 1-line block ×4, first 2 shown]
	s_and_b32 exec_lo, exec_lo, vcc_lo
	s_cbranch_execz .LBB203_19
; %bb.15:
	s_load_b64 s[2:3], s[0:1], 0x38
	v_cmp_eq_f32_e32 vcc_lo, 0, v4
	s_wait_xcnt 0x0
	v_cmp_eq_f32_e64 s0, 0, v5
	s_wait_dscnt 0x3
	v_add_f32_e32 v0, v0, v12
	s_wait_dscnt 0x1
	v_dual_add_f32 v12, v8, v13 :: v_dual_add_f32 v8, v1, v10
	s_wait_dscnt 0x0
	v_add_f32_e32 v10, v9, v11
	s_and_b32 s0, vcc_lo, s0
	s_delay_alu instid0(SALU_CYCLE_1) | instskip(NEXT) | instid1(SALU_CYCLE_1)
	s_and_saveexec_b32 s1, s0
	s_xor_b32 s0, exec_lo, s1
	s_cbranch_execz .LBB203_17
; %bb.16:
	v_xor_b32_e32 v4, 0x80000000, v3
	v_dual_mov_b32 v5, v2 :: v_dual_lshlrev_b32 v6, 1, v6
	s_delay_alu instid0(VALU_DEP_1) | instskip(NEXT) | instid1(VALU_DEP_2)
	v_ashrrev_i32_e32 v7, 31, v6
	v_pk_mul_f32 v[12:13], v[12:13], v[4:5] op_sel_hi:[0,1]
	v_pk_mul_f32 v[4:5], v[10:11], v[4:5] op_sel_hi:[0,1]
                                        ; implicit-def: $vgpr10
	s_wait_kmcnt 0x0
	s_delay_alu instid0(VALU_DEP_3) | instskip(NEXT) | instid1(VALU_DEP_3)
	v_lshl_add_u64 v[6:7], v[6:7], 3, s[2:3]
	v_pk_fma_f32 v[0:1], v[2:3], v[0:1], v[12:13] op_sel_hi:[1,0,1]
	s_delay_alu instid0(VALU_DEP_3)
	v_pk_fma_f32 v[2:3], v[2:3], v[8:9], v[4:5] op_sel_hi:[1,0,1]
                                        ; implicit-def: $vgpr4_vgpr5
                                        ; implicit-def: $vgpr12
                                        ; implicit-def: $vgpr8
	global_store_b128 v[6:7], v[0:3], off
                                        ; implicit-def: $vgpr6
                                        ; implicit-def: $vgpr2_vgpr3
                                        ; implicit-def: $vgpr0
.LBB203_17:
	s_wait_xcnt 0x0
	s_and_not1_saveexec_b32 s0, s0
	s_cbranch_execz .LBB203_19
; %bb.18:
	v_dual_mov_b32 v19, v2 :: v_dual_lshlrev_b32 v6, 1, v6
	v_xor_b32_e32 v18, 0x80000000, v3
	s_delay_alu instid0(VALU_DEP_2) | instskip(NEXT) | instid1(VALU_DEP_2)
	v_ashrrev_i32_e32 v7, 31, v6
	v_pk_mul_f32 v[12:13], v[12:13], v[18:19] op_sel_hi:[0,1]
	v_pk_mul_f32 v[10:11], v[10:11], v[18:19] op_sel_hi:[0,1]
	s_delay_alu instid0(VALU_DEP_2) | instskip(NEXT) | instid1(VALU_DEP_2)
	v_pk_fma_f32 v[0:1], v[2:3], v[0:1], v[12:13] op_sel_hi:[1,0,1]
	v_pk_fma_f32 v[2:3], v[2:3], v[8:9], v[10:11] op_sel_hi:[1,0,1]
	v_mov_b32_e32 v9, v4
	s_wait_kmcnt 0x0
	v_lshl_add_u64 v[6:7], v[6:7], 3, s[2:3]
	v_xor_b32_e32 v8, 0x80000000, v5
	global_load_b128 v[14:17], v[6:7], off
	s_wait_loadcnt 0x0
	v_pk_fma_f32 v[0:1], v[4:5], v[14:15], v[0:1] op_sel_hi:[1,0,1]
	v_pk_fma_f32 v[2:3], v[4:5], v[16:17], v[2:3] op_sel_hi:[1,0,1]
	v_mov_b32_e32 v4, v17
	s_delay_alu instid0(VALU_DEP_3) | instskip(NEXT) | instid1(VALU_DEP_2)
	v_pk_fma_f32 v[0:1], v[8:9], v[14:15], v[0:1] op_sel:[0,1,0]
	v_pk_fma_f32 v[2:3], v[8:9], v[4:5], v[2:3] op_sel_hi:[1,0,1]
	global_store_b128 v[6:7], v[0:3], off
.LBB203_19:
	s_sendmsg sendmsg(MSG_DEALLOC_VGPRS)
	s_endpgm
	.section	.rodata,"a",@progbits
	.p2align	6, 0x0
	.amdhsa_kernel _ZN9rocsparseL19gebsrmvn_2xn_kernelILj128ELj12ELj8E21rocsparse_complex_numIfEEEvi20rocsparse_direction_NS_24const_host_device_scalarIT2_EEPKiS8_PKS5_SA_S6_PS5_21rocsparse_index_base_b
		.amdhsa_group_segment_fixed_size 0
		.amdhsa_private_segment_fixed_size 0
		.amdhsa_kernarg_size 72
		.amdhsa_user_sgpr_count 2
		.amdhsa_user_sgpr_dispatch_ptr 0
		.amdhsa_user_sgpr_queue_ptr 0
		.amdhsa_user_sgpr_kernarg_segment_ptr 1
		.amdhsa_user_sgpr_dispatch_id 0
		.amdhsa_user_sgpr_kernarg_preload_length 0
		.amdhsa_user_sgpr_kernarg_preload_offset 0
		.amdhsa_user_sgpr_private_segment_size 0
		.amdhsa_wavefront_size32 1
		.amdhsa_uses_dynamic_stack 0
		.amdhsa_enable_private_segment 0
		.amdhsa_system_sgpr_workgroup_id_x 1
		.amdhsa_system_sgpr_workgroup_id_y 0
		.amdhsa_system_sgpr_workgroup_id_z 0
		.amdhsa_system_sgpr_workgroup_info 0
		.amdhsa_system_vgpr_workitem_id 0
		.amdhsa_next_free_vgpr 92
		.amdhsa_next_free_sgpr 14
		.amdhsa_named_barrier_count 0
		.amdhsa_reserve_vcc 1
		.amdhsa_float_round_mode_32 0
		.amdhsa_float_round_mode_16_64 0
		.amdhsa_float_denorm_mode_32 3
		.amdhsa_float_denorm_mode_16_64 3
		.amdhsa_fp16_overflow 0
		.amdhsa_memory_ordered 1
		.amdhsa_forward_progress 1
		.amdhsa_inst_pref_size 27
		.amdhsa_round_robin_scheduling 0
		.amdhsa_exception_fp_ieee_invalid_op 0
		.amdhsa_exception_fp_denorm_src 0
		.amdhsa_exception_fp_ieee_div_zero 0
		.amdhsa_exception_fp_ieee_overflow 0
		.amdhsa_exception_fp_ieee_underflow 0
		.amdhsa_exception_fp_ieee_inexact 0
		.amdhsa_exception_int_div_zero 0
	.end_amdhsa_kernel
	.section	.text._ZN9rocsparseL19gebsrmvn_2xn_kernelILj128ELj12ELj8E21rocsparse_complex_numIfEEEvi20rocsparse_direction_NS_24const_host_device_scalarIT2_EEPKiS8_PKS5_SA_S6_PS5_21rocsparse_index_base_b,"axG",@progbits,_ZN9rocsparseL19gebsrmvn_2xn_kernelILj128ELj12ELj8E21rocsparse_complex_numIfEEEvi20rocsparse_direction_NS_24const_host_device_scalarIT2_EEPKiS8_PKS5_SA_S6_PS5_21rocsparse_index_base_b,comdat
.Lfunc_end203:
	.size	_ZN9rocsparseL19gebsrmvn_2xn_kernelILj128ELj12ELj8E21rocsparse_complex_numIfEEEvi20rocsparse_direction_NS_24const_host_device_scalarIT2_EEPKiS8_PKS5_SA_S6_PS5_21rocsparse_index_base_b, .Lfunc_end203-_ZN9rocsparseL19gebsrmvn_2xn_kernelILj128ELj12ELj8E21rocsparse_complex_numIfEEEvi20rocsparse_direction_NS_24const_host_device_scalarIT2_EEPKiS8_PKS5_SA_S6_PS5_21rocsparse_index_base_b
                                        ; -- End function
	.set _ZN9rocsparseL19gebsrmvn_2xn_kernelILj128ELj12ELj8E21rocsparse_complex_numIfEEEvi20rocsparse_direction_NS_24const_host_device_scalarIT2_EEPKiS8_PKS5_SA_S6_PS5_21rocsparse_index_base_b.num_vgpr, 92
	.set _ZN9rocsparseL19gebsrmvn_2xn_kernelILj128ELj12ELj8E21rocsparse_complex_numIfEEEvi20rocsparse_direction_NS_24const_host_device_scalarIT2_EEPKiS8_PKS5_SA_S6_PS5_21rocsparse_index_base_b.num_agpr, 0
	.set _ZN9rocsparseL19gebsrmvn_2xn_kernelILj128ELj12ELj8E21rocsparse_complex_numIfEEEvi20rocsparse_direction_NS_24const_host_device_scalarIT2_EEPKiS8_PKS5_SA_S6_PS5_21rocsparse_index_base_b.numbered_sgpr, 14
	.set _ZN9rocsparseL19gebsrmvn_2xn_kernelILj128ELj12ELj8E21rocsparse_complex_numIfEEEvi20rocsparse_direction_NS_24const_host_device_scalarIT2_EEPKiS8_PKS5_SA_S6_PS5_21rocsparse_index_base_b.num_named_barrier, 0
	.set _ZN9rocsparseL19gebsrmvn_2xn_kernelILj128ELj12ELj8E21rocsparse_complex_numIfEEEvi20rocsparse_direction_NS_24const_host_device_scalarIT2_EEPKiS8_PKS5_SA_S6_PS5_21rocsparse_index_base_b.private_seg_size, 0
	.set _ZN9rocsparseL19gebsrmvn_2xn_kernelILj128ELj12ELj8E21rocsparse_complex_numIfEEEvi20rocsparse_direction_NS_24const_host_device_scalarIT2_EEPKiS8_PKS5_SA_S6_PS5_21rocsparse_index_base_b.uses_vcc, 1
	.set _ZN9rocsparseL19gebsrmvn_2xn_kernelILj128ELj12ELj8E21rocsparse_complex_numIfEEEvi20rocsparse_direction_NS_24const_host_device_scalarIT2_EEPKiS8_PKS5_SA_S6_PS5_21rocsparse_index_base_b.uses_flat_scratch, 1
	.set _ZN9rocsparseL19gebsrmvn_2xn_kernelILj128ELj12ELj8E21rocsparse_complex_numIfEEEvi20rocsparse_direction_NS_24const_host_device_scalarIT2_EEPKiS8_PKS5_SA_S6_PS5_21rocsparse_index_base_b.has_dyn_sized_stack, 0
	.set _ZN9rocsparseL19gebsrmvn_2xn_kernelILj128ELj12ELj8E21rocsparse_complex_numIfEEEvi20rocsparse_direction_NS_24const_host_device_scalarIT2_EEPKiS8_PKS5_SA_S6_PS5_21rocsparse_index_base_b.has_recursion, 0
	.set _ZN9rocsparseL19gebsrmvn_2xn_kernelILj128ELj12ELj8E21rocsparse_complex_numIfEEEvi20rocsparse_direction_NS_24const_host_device_scalarIT2_EEPKiS8_PKS5_SA_S6_PS5_21rocsparse_index_base_b.has_indirect_call, 0
	.section	.AMDGPU.csdata,"",@progbits
; Kernel info:
; codeLenInByte = 3332
; TotalNumSgprs: 16
; NumVgprs: 92
; ScratchSize: 0
; MemoryBound: 0
; FloatMode: 240
; IeeeMode: 1
; LDSByteSize: 0 bytes/workgroup (compile time only)
; SGPRBlocks: 0
; VGPRBlocks: 5
; NumSGPRsForWavesPerEU: 16
; NumVGPRsForWavesPerEU: 92
; NamedBarCnt: 0
; Occupancy: 10
; WaveLimiterHint : 1
; COMPUTE_PGM_RSRC2:SCRATCH_EN: 0
; COMPUTE_PGM_RSRC2:USER_SGPR: 2
; COMPUTE_PGM_RSRC2:TRAP_HANDLER: 0
; COMPUTE_PGM_RSRC2:TGID_X_EN: 1
; COMPUTE_PGM_RSRC2:TGID_Y_EN: 0
; COMPUTE_PGM_RSRC2:TGID_Z_EN: 0
; COMPUTE_PGM_RSRC2:TIDIG_COMP_CNT: 0
	.section	.text._ZN9rocsparseL19gebsrmvn_2xn_kernelILj128ELj12ELj16E21rocsparse_complex_numIfEEEvi20rocsparse_direction_NS_24const_host_device_scalarIT2_EEPKiS8_PKS5_SA_S6_PS5_21rocsparse_index_base_b,"axG",@progbits,_ZN9rocsparseL19gebsrmvn_2xn_kernelILj128ELj12ELj16E21rocsparse_complex_numIfEEEvi20rocsparse_direction_NS_24const_host_device_scalarIT2_EEPKiS8_PKS5_SA_S6_PS5_21rocsparse_index_base_b,comdat
	.globl	_ZN9rocsparseL19gebsrmvn_2xn_kernelILj128ELj12ELj16E21rocsparse_complex_numIfEEEvi20rocsparse_direction_NS_24const_host_device_scalarIT2_EEPKiS8_PKS5_SA_S6_PS5_21rocsparse_index_base_b ; -- Begin function _ZN9rocsparseL19gebsrmvn_2xn_kernelILj128ELj12ELj16E21rocsparse_complex_numIfEEEvi20rocsparse_direction_NS_24const_host_device_scalarIT2_EEPKiS8_PKS5_SA_S6_PS5_21rocsparse_index_base_b
	.p2align	8
	.type	_ZN9rocsparseL19gebsrmvn_2xn_kernelILj128ELj12ELj16E21rocsparse_complex_numIfEEEvi20rocsparse_direction_NS_24const_host_device_scalarIT2_EEPKiS8_PKS5_SA_S6_PS5_21rocsparse_index_base_b,@function
_ZN9rocsparseL19gebsrmvn_2xn_kernelILj128ELj12ELj16E21rocsparse_complex_numIfEEEvi20rocsparse_direction_NS_24const_host_device_scalarIT2_EEPKiS8_PKS5_SA_S6_PS5_21rocsparse_index_base_b: ; @_ZN9rocsparseL19gebsrmvn_2xn_kernelILj128ELj12ELj16E21rocsparse_complex_numIfEEEvi20rocsparse_direction_NS_24const_host_device_scalarIT2_EEPKiS8_PKS5_SA_S6_PS5_21rocsparse_index_base_b
; %bb.0:
	s_clause 0x2
	s_load_b64 s[12:13], s[0:1], 0x40
	s_load_b64 s[2:3], s[0:1], 0x8
	;; [unrolled: 1-line block ×3, first 2 shown]
	v_mov_b32_e32 v1, 0
	s_add_nc_u64 s[6:7], s[0:1], 8
	s_add_nc_u64 s[8:9], s[0:1], 48
	s_wait_kmcnt 0x0
	s_bitcmp1_b32 s13, 0
	s_cselect_b32 s3, s7, s3
	s_cselect_b32 s2, s6, s2
	;; [unrolled: 1-line block ×4, first 2 shown]
	s_clause 0x1
	flat_load_b64 v[2:3], v1, s[2:3]
	flat_load_b64 v[4:5], v1, s[4:5]
	s_wait_loadcnt_dscnt 0x101
	v_cmp_eq_f32_e32 vcc_lo, 0, v2
	v_cmp_eq_f32_e64 s2, 0, v3
	s_wait_loadcnt_dscnt 0x0
	v_cmp_eq_f32_e64 s3, 1.0, v4
	v_cmp_eq_f32_e64 s4, 0, v5
	s_and_b32 s2, vcc_lo, s2
	s_and_b32 s3, s3, s4
	s_delay_alu instid0(SALU_CYCLE_1) | instskip(NEXT) | instid1(SALU_CYCLE_1)
	s_and_b32 s2, s2, s3
	s_xor_b32 s2, s2, -1
	s_delay_alu instid0(SALU_CYCLE_1)
	s_and_saveexec_b32 s3, s2
	s_cbranch_execz .LBB204_19
; %bb.1:
	s_load_b64 s[2:3], s[0:1], 0x0
	s_bfe_u32 s4, ttmp6, 0x4000c
	s_and_b32 s5, ttmp6, 15
	s_add_co_i32 s4, s4, 1
	s_getreg_b32 s6, hwreg(HW_REG_IB_STS2, 6, 4)
	s_mul_i32 s4, ttmp9, s4
	v_lshrrev_b32_e32 v1, 4, v0
	s_add_co_i32 s5, s5, s4
	s_cmp_eq_u32 s6, 0
	s_cselect_b32 s4, ttmp9, s5
	s_delay_alu instid0(VALU_DEP_1) | instid1(SALU_CYCLE_1)
	v_lshl_or_b32 v6, s4, 3, v1
	s_wait_kmcnt 0x0
	s_delay_alu instid0(VALU_DEP_1)
	v_cmp_gt_i32_e32 vcc_lo, s2, v6
	s_and_b32 exec_lo, exec_lo, vcc_lo
	s_cbranch_execz .LBB204_19
; %bb.2:
	s_load_b256 s[4:11], s[0:1], 0x10
	v_ashrrev_i32_e32 v7, 31, v6
	s_cmp_lg_u32 s3, 0
	s_wait_kmcnt 0x0
	s_delay_alu instid0(VALU_DEP_1)
	v_lshl_add_u64 v[8:9], v[6:7], 2, s[4:5]
	v_and_b32_e32 v7, 15, v0
	global_load_b64 v[8:9], v[8:9], off
	s_wait_loadcnt 0x0
	v_subrev_nc_u32_e32 v0, s12, v8
	v_subrev_nc_u32_e32 v14, s12, v9
	s_delay_alu instid0(VALU_DEP_2) | instskip(NEXT) | instid1(VALU_DEP_1)
	v_add_nc_u32_e32 v15, v0, v7
	v_cmp_lt_i32_e64 s2, v15, v14
	s_cbranch_scc0 .LBB204_8
; %bb.3:
	v_mov_b32_e32 v9, 0
	s_delay_alu instid0(VALU_DEP_1)
	v_dual_mov_b32 v8, v9 :: v_dual_mov_b32 v1, v9
	v_mov_b32_e32 v0, v9
	s_and_saveexec_b32 s3, s2
	s_cbranch_execz .LBB204_7
; %bb.4:
	v_mad_u32 v12, v15, 24, 22
	v_dual_mov_b32 v11, 0 :: v_dual_mov_b32 v16, v15
	s_mov_b32 s4, 0
	s_delay_alu instid0(VALU_DEP_1)
	v_dual_mov_b32 v0, v11 :: v_dual_mov_b32 v1, v11
	v_dual_mov_b32 v8, v11 :: v_dual_mov_b32 v9, v11
.LBB204_5:                              ; =>This Inner Loop Header: Depth=1
	global_load_b32 v10, v16, s[6:7] scale_offset
	v_dual_mov_b32 v67, v11 :: v_dual_mov_b32 v13, v11
	s_wait_xcnt 0x0
	v_add_nc_u32_e32 v16, 16, v16
	s_delay_alu instid0(VALU_DEP_1) | instskip(SKIP_3) | instid1(VALU_DEP_1)
	v_cmp_ge_i32_e32 vcc_lo, v16, v14
	s_or_b32 s4, vcc_lo, s4
	s_wait_loadcnt 0x0
	v_subrev_nc_u32_e32 v10, s12, v10
	v_mul_lo_u32 v66, v10, 12
	v_subrev_nc_u32_e32 v10, 22, v12
	s_delay_alu instid0(VALU_DEP_1) | instskip(SKIP_1) | instid1(VALU_DEP_4)
	v_lshl_add_u64 v[38:39], v[10:11], 3, s[8:9]
	v_add_nc_u32_e32 v10, -14, v12
	v_lshl_add_u64 v[40:41], v[66:67], 3, s[10:11]
	global_load_b128 v[18:21], v[38:39], off
	global_load_b128 v[22:25], v[40:41], off
	s_clause 0x1
	global_load_b128 v[26:29], v[38:39], off offset:16
	global_load_b128 v[30:33], v[38:39], off offset:32
	;; [unrolled: 1-line block ×4, first 2 shown]
	v_lshl_add_u64 v[42:43], v[10:11], 3, s[8:9]
	v_add_nc_u32_e32 v10, 4, v66
	global_load_b128 v[42:45], v[42:43], off
	v_lshl_add_u64 v[58:59], v[10:11], 3, s[10:11]
	v_add_nc_u32_e32 v10, -12, v12
	global_load_b128 v[46:49], v[58:59], off
	s_wait_loadcnt 0x7
	v_mov_b32_e32 v91, v20
	v_lshl_add_u64 v[60:61], v[10:11], 3, s[8:9]
	v_add_nc_u32_e32 v10, -10, v12
	s_wait_loadcnt 0x6
	v_pk_fma_f32 v[8:9], v[18:19], v[22:23], v[8:9] op_sel_hi:[1,0,1]
	global_load_b128 v[50:53], v[60:61], off
	global_load_b128 v[54:57], v[58:59], off offset:16
	v_xor_b32_e32 v90, 0x80000000, v21
	v_pk_fma_f32 v[8:9], v[18:19], v[22:23], v[8:9] op_sel:[1,1,0] op_sel_hi:[0,1,1] neg_lo:[1,0,0]
	s_wait_loadcnt 0x7
	v_mov_b32_e32 v19, v28
	s_wait_xcnt 0x0
	v_lshl_add_u64 v[58:59], v[10:11], 3, s[8:9]
	v_add_nc_u32_e32 v10, -8, v12
	v_pk_fma_f32 v[0:1], v[20:21], v[22:23], v[0:1] op_sel_hi:[1,0,1]
	v_xor_b32_e32 v18, 0x80000000, v29
	v_pk_fma_f32 v[8:9], v[26:27], v[24:25], v[8:9] op_sel_hi:[1,0,1]
	global_load_b128 v[58:61], v[58:59], off
	v_lshl_add_u64 v[62:63], v[10:11], 3, s[8:9]
	v_add_nc_u32_e32 v10, -6, v12
	v_pk_fma_f32 v[0:1], v[90:91], v[22:23], v[0:1] op_sel:[0,1,0]
	global_load_b128 v[62:65], v[62:63], off
	v_lshl_add_u64 v[74:75], v[10:11], 3, s[8:9]
	v_add_nc_u32_e32 v10, 8, v66
	v_pk_fma_f32 v[0:1], v[28:29], v[24:25], v[0:1] op_sel_hi:[1,0,1]
	s_delay_alu instid0(VALU_DEP_2)
	v_lshl_add_u64 v[86:87], v[10:11], 3, s[10:11]
	v_add_nc_u32_e32 v10, -4, v12
	global_load_b128 v[66:69], v[74:75], off
	global_load_b128 v[70:73], v[86:87], off
	s_wait_xcnt 0x1
	v_lshl_add_u64 v[74:75], v[10:11], 3, s[8:9]
	v_add_nc_u32_e32 v10, -2, v12
	global_load_b128 v[74:77], v[74:75], off
	v_lshl_add_u64 v[88:89], v[10:11], 3, s[8:9]
	global_load_b128 v[78:81], v[86:87], off offset:16
	global_load_b128 v[82:85], v[88:89], off
	s_wait_xcnt 0x1
	v_lshl_add_u64 v[86:87], v[12:13], 3, s[8:9]
	v_mov_b32_e32 v10, v25
	v_add_nc_u32_e32 v12, 0x180, v12
	global_load_b128 v[86:89], v[86:87], off
	v_pk_fma_f32 v[8:9], v[26:27], v[10:11], v[8:9] op_sel:[1,0,0] op_sel_hi:[0,0,1] neg_lo:[1,0,0]
	v_pk_fma_f32 v[0:1], v[18:19], v[10:11], v[0:1] op_sel_hi:[1,0,1]
	s_wait_loadcnt 0xe
	v_xor_b32_e32 v18, 0x80000000, v33
	s_wait_loadcnt 0xd
	v_dual_mov_b32 v19, v32 :: v_dual_mov_b32 v10, v37
	v_pk_fma_f32 v[8:9], v[30:31], v[34:35], v[8:9] op_sel_hi:[1,0,1]
	v_pk_fma_f32 v[0:1], v[32:33], v[34:35], v[0:1] op_sel_hi:[1,0,1]
	s_delay_alu instid0(VALU_DEP_2) | instskip(NEXT) | instid1(VALU_DEP_2)
	v_pk_fma_f32 v[8:9], v[30:31], v[34:35], v[8:9] op_sel:[1,1,0] op_sel_hi:[0,1,1] neg_lo:[1,0,0]
	v_pk_fma_f32 v[0:1], v[18:19], v[34:35], v[0:1] op_sel:[0,1,0]
	s_wait_loadcnt 0xc
	v_xor_b32_e32 v18, 0x80000000, v41
	v_mov_b32_e32 v19, v40
	v_pk_fma_f32 v[8:9], v[38:39], v[36:37], v[8:9] op_sel_hi:[1,0,1]
	v_pk_fma_f32 v[0:1], v[40:41], v[36:37], v[0:1] op_sel_hi:[1,0,1]
	s_delay_alu instid0(VALU_DEP_2) | instskip(NEXT) | instid1(VALU_DEP_2)
	v_pk_fma_f32 v[8:9], v[38:39], v[10:11], v[8:9] op_sel:[1,0,0] op_sel_hi:[0,0,1] neg_lo:[1,0,0]
	v_pk_fma_f32 v[0:1], v[18:19], v[10:11], v[0:1] op_sel_hi:[1,0,1]
	s_wait_loadcnt 0xb
	v_xor_b32_e32 v18, 0x80000000, v45
	s_wait_loadcnt 0xa
	v_dual_mov_b32 v19, v44 :: v_dual_mov_b32 v10, v49
	v_pk_fma_f32 v[8:9], v[42:43], v[46:47], v[8:9] op_sel_hi:[1,0,1]
	v_pk_fma_f32 v[0:1], v[44:45], v[46:47], v[0:1] op_sel_hi:[1,0,1]
	s_delay_alu instid0(VALU_DEP_2) | instskip(NEXT) | instid1(VALU_DEP_2)
	v_pk_fma_f32 v[8:9], v[42:43], v[46:47], v[8:9] op_sel:[1,1,0] op_sel_hi:[0,1,1] neg_lo:[1,0,0]
	v_pk_fma_f32 v[0:1], v[18:19], v[46:47], v[0:1] op_sel:[0,1,0]
	s_wait_loadcnt 0x9
	v_xor_b32_e32 v18, 0x80000000, v53
	v_mov_b32_e32 v19, v52
	v_pk_fma_f32 v[8:9], v[50:51], v[48:49], v[8:9] op_sel_hi:[1,0,1]
	v_pk_fma_f32 v[0:1], v[52:53], v[48:49], v[0:1] op_sel_hi:[1,0,1]
	s_delay_alu instid0(VALU_DEP_2) | instskip(NEXT) | instid1(VALU_DEP_2)
	v_pk_fma_f32 v[8:9], v[50:51], v[10:11], v[8:9] op_sel:[1,0,0] op_sel_hi:[0,0,1] neg_lo:[1,0,0]
	v_pk_fma_f32 v[0:1], v[18:19], v[10:11], v[0:1] op_sel_hi:[1,0,1]
	s_wait_loadcnt 0x8
	v_mov_b32_e32 v10, v57
	s_wait_loadcnt 0x7
	v_xor_b32_e32 v18, 0x80000000, v61
	v_mov_b32_e32 v19, v60
	v_pk_fma_f32 v[8:9], v[58:59], v[54:55], v[8:9] op_sel_hi:[1,0,1]
	v_pk_fma_f32 v[0:1], v[60:61], v[54:55], v[0:1] op_sel_hi:[1,0,1]
	s_delay_alu instid0(VALU_DEP_2) | instskip(NEXT) | instid1(VALU_DEP_2)
	v_pk_fma_f32 v[8:9], v[58:59], v[54:55], v[8:9] op_sel:[1,1,0] op_sel_hi:[0,1,1] neg_lo:[1,0,0]
	v_pk_fma_f32 v[0:1], v[18:19], v[54:55], v[0:1] op_sel:[0,1,0]
	s_wait_loadcnt 0x6
	v_xor_b32_e32 v18, 0x80000000, v65
	v_mov_b32_e32 v19, v64
	v_pk_fma_f32 v[8:9], v[62:63], v[56:57], v[8:9] op_sel_hi:[1,0,1]
	v_pk_fma_f32 v[0:1], v[64:65], v[56:57], v[0:1] op_sel_hi:[1,0,1]
	s_delay_alu instid0(VALU_DEP_2) | instskip(NEXT) | instid1(VALU_DEP_2)
	v_pk_fma_f32 v[8:9], v[62:63], v[10:11], v[8:9] op_sel:[1,0,0] op_sel_hi:[0,0,1] neg_lo:[1,0,0]
	v_pk_fma_f32 v[0:1], v[18:19], v[10:11], v[0:1] op_sel_hi:[1,0,1]
	s_wait_loadcnt 0x5
	v_xor_b32_e32 v18, 0x80000000, v69
	s_wait_loadcnt 0x4
	v_dual_mov_b32 v19, v68 :: v_dual_mov_b32 v10, v73
	v_pk_fma_f32 v[8:9], v[66:67], v[70:71], v[8:9] op_sel_hi:[1,0,1]
	v_pk_fma_f32 v[0:1], v[68:69], v[70:71], v[0:1] op_sel_hi:[1,0,1]
	s_delay_alu instid0(VALU_DEP_2) | instskip(NEXT) | instid1(VALU_DEP_2)
	v_pk_fma_f32 v[8:9], v[66:67], v[70:71], v[8:9] op_sel:[1,1,0] op_sel_hi:[0,1,1] neg_lo:[1,0,0]
	v_pk_fma_f32 v[0:1], v[18:19], v[70:71], v[0:1] op_sel:[0,1,0]
	s_wait_loadcnt 0x3
	v_xor_b32_e32 v18, 0x80000000, v77
	v_mov_b32_e32 v19, v76
	v_pk_fma_f32 v[8:9], v[74:75], v[72:73], v[8:9] op_sel_hi:[1,0,1]
	v_pk_fma_f32 v[0:1], v[76:77], v[72:73], v[0:1] op_sel_hi:[1,0,1]
	s_delay_alu instid0(VALU_DEP_2) | instskip(NEXT) | instid1(VALU_DEP_2)
	v_pk_fma_f32 v[8:9], v[74:75], v[10:11], v[8:9] op_sel:[1,0,0] op_sel_hi:[0,0,1] neg_lo:[1,0,0]
	v_pk_fma_f32 v[0:1], v[18:19], v[10:11], v[0:1] op_sel_hi:[1,0,1]
	s_wait_loadcnt 0x1
	v_xor_b32_e32 v18, 0x80000000, v85
	v_dual_mov_b32 v19, v84 :: v_dual_mov_b32 v10, v81
	v_pk_fma_f32 v[8:9], v[82:83], v[78:79], v[8:9] op_sel_hi:[1,0,1]
	v_pk_fma_f32 v[0:1], v[84:85], v[78:79], v[0:1] op_sel_hi:[1,0,1]
	s_delay_alu instid0(VALU_DEP_2) | instskip(NEXT) | instid1(VALU_DEP_2)
	v_pk_fma_f32 v[8:9], v[82:83], v[78:79], v[8:9] op_sel:[1,1,0] op_sel_hi:[0,1,1] neg_lo:[1,0,0]
	v_pk_fma_f32 v[0:1], v[18:19], v[78:79], v[0:1] op_sel:[0,1,0]
	s_wait_loadcnt 0x0
	v_xor_b32_e32 v18, 0x80000000, v89
	v_mov_b32_e32 v19, v88
	v_pk_fma_f32 v[8:9], v[86:87], v[80:81], v[8:9] op_sel_hi:[1,0,1]
	v_pk_fma_f32 v[0:1], v[88:89], v[80:81], v[0:1] op_sel_hi:[1,0,1]
	s_delay_alu instid0(VALU_DEP_2) | instskip(NEXT) | instid1(VALU_DEP_2)
	v_pk_fma_f32 v[8:9], v[86:87], v[10:11], v[8:9] op_sel:[1,0,0] op_sel_hi:[0,0,1] neg_lo:[1,0,0]
	v_pk_fma_f32 v[0:1], v[18:19], v[10:11], v[0:1] op_sel_hi:[1,0,1]
	s_and_not1_b32 exec_lo, exec_lo, s4
	s_cbranch_execnz .LBB204_5
; %bb.6:
	s_or_b32 exec_lo, exec_lo, s4
.LBB204_7:
	s_delay_alu instid0(SALU_CYCLE_1)
	s_or_b32 exec_lo, exec_lo, s3
	s_cbranch_execz .LBB204_9
	s_branch .LBB204_14
.LBB204_8:
                                        ; implicit-def: $vgpr9
                                        ; implicit-def: $vgpr1
.LBB204_9:
	v_mov_b32_e32 v9, 0
	s_delay_alu instid0(VALU_DEP_1)
	v_dual_mov_b32 v8, v9 :: v_dual_mov_b32 v1, v9
	v_mov_b32_e32 v0, v9
	s_and_saveexec_b32 s3, s2
	s_cbranch_execz .LBB204_13
; %bb.10:
	v_mad_u32 v12, v15, 24, 23
	v_mov_b32_e32 v11, 0
	s_mov_b32 s2, 0
	s_delay_alu instid0(VALU_DEP_1)
	v_dual_mov_b32 v0, v11 :: v_dual_mov_b32 v1, v11
	v_dual_mov_b32 v8, v11 :: v_dual_mov_b32 v9, v11
.LBB204_11:                             ; =>This Inner Loop Header: Depth=1
	global_load_b32 v13, v15, s[6:7] scale_offset
	v_subrev_nc_u32_e32 v10, 23, v12
	v_dual_mov_b32 v49, v11 :: v_dual_add_nc_u32 v20, -11, v12
	v_dual_add_nc_u32 v24, -10, v12 :: v_dual_add_nc_u32 v81, -2, v12
	v_add_nc_u32_e32 v82, -13, v12
	s_delay_alu instid0(VALU_DEP_4)
	v_lshl_add_u64 v[50:51], v[10:11], 3, s[8:9]
	v_add_nc_u32_e32 v84, -1, v12
	s_clause 0x1
	global_load_b128 v[16:19], v[50:51], off
	global_load_b64 v[52:53], v20, s[8:9] scale_offset
	s_wait_xcnt 0x2
	v_dual_add_nc_u32 v80, -3, v12 :: v_dual_add_nc_u32 v15, 16, v15
	s_delay_alu instid0(VALU_DEP_1) | instskip(SKIP_4) | instid1(VALU_DEP_2)
	v_cmp_ge_i32_e32 vcc_lo, v15, v14
	s_or_b32 s2, vcc_lo, s2
	s_wait_loadcnt 0x2
	v_subrev_nc_u32_e32 v10, s12, v13
	v_add_nc_u32_e32 v13, -7, v12
	v_mul_lo_u32 v48, v10, 12
	v_add_nc_u32_e32 v10, -9, v12
	s_delay_alu instid0(VALU_DEP_2)
	v_lshl_add_u64 v[32:33], v[48:49], 3, s[10:11]
	global_load_b128 v[20:23], v[32:33], off
	s_clause 0x2
	global_load_b64 v[54:55], v24, s[8:9] scale_offset
	global_load_b64 v[56:57], v10, s[8:9] scale_offset
	global_load_b128 v[24:27], v[50:51], off offset:16
	global_load_b128 v[28:31], v[32:33], off offset:16
	s_wait_xcnt 0x2
	v_dual_add_nc_u32 v10, -8, v12 :: v_dual_add_nc_u32 v49, -14, v12
	global_load_b64 v[58:59], v10, s[8:9] scale_offset
	s_wait_xcnt 0x0
	v_add_nc_u32_e32 v10, 4, v48
	s_delay_alu instid0(VALU_DEP_1)
	v_lshl_add_u64 v[44:45], v[10:11], 3, s[10:11]
	s_clause 0x1
	global_load_b64 v[60:61], v13, s[8:9] scale_offset
	global_load_b128 v[32:35], v[50:51], off offset:32
	s_clause 0x1
	global_load_b128 v[36:39], v[44:45], off
	global_load_b128 v[40:43], v[44:45], off offset:16
	s_wait_xcnt 0x3
	v_dual_add_nc_u32 v10, -6, v12 :: v_dual_add_nc_u32 v13, -15, v12
	global_load_b64 v[62:63], v10, s[8:9] scale_offset
	s_wait_xcnt 0x0
	v_add_nc_u32_e32 v10, -5, v12
	s_clause 0x1
	global_load_b64 v[64:65], v10, s[8:9] scale_offset
	global_load_b128 v[44:47], v[50:51], off offset:48
	s_wait_xcnt 0x1
	v_add_nc_u32_e32 v10, -4, v12
	global_load_b64 v[66:67], v10, s[8:9] scale_offset
	s_wait_xcnt 0x0
	v_add_nc_u32_e32 v10, 8, v48
	s_clause 0x1
	global_load_b64 v[68:69], v13, s[8:9] scale_offset
	global_load_b64 v[70:71], v49, s[8:9] scale_offset
	s_wait_xcnt 0x1
	v_add_nc_u32_e32 v13, -12, v12
	v_lshl_add_u64 v[72:73], v[10:11], 3, s[10:11]
	s_clause 0x2
	global_load_b64 v[74:75], v82, s[8:9] scale_offset
	global_load_b64 v[76:77], v81, s[8:9] scale_offset
	global_load_b64 v[78:79], v80, s[8:9] scale_offset
	global_load_b128 v[48:51], v[72:73], off
	s_wait_loadcnt 0x15
	s_wait_xcnt 0x1
	v_xor_b32_e32 v80, 0x80000000, v19
	v_mov_b32_e32 v81, v18
	s_wait_loadcnt 0x13
	v_pk_fma_f32 v[8:9], v[16:17], v[20:21], v[8:9] op_sel_hi:[1,0,1]
	v_pk_fma_f32 v[0:1], v[52:53], v[20:21], v[0:1] op_sel_hi:[1,0,1]
	v_mov_b32_e32 v10, v23
	s_delay_alu instid0(VALU_DEP_3) | instskip(NEXT) | instid1(VALU_DEP_3)
	v_pk_fma_f32 v[8:9], v[16:17], v[20:21], v[8:9] op_sel:[1,1,0] op_sel_hi:[0,1,1] neg_lo:[1,0,0]
	v_pk_fma_f32 v[0:1], v[52:53], v[20:21], v[0:1] op_sel:[1,1,0] op_sel_hi:[0,1,1] neg_lo:[1,0,0]
	s_delay_alu instid0(VALU_DEP_2)
	v_pk_fma_f32 v[8:9], v[18:19], v[22:23], v[8:9] op_sel_hi:[1,0,1]
	global_load_b64 v[82:83], v84, s[8:9] scale_offset
	global_load_b128 v[16:19], v[72:73], off offset:16
	global_load_b64 v[20:21], v12, s[8:9] scale_offset
	s_wait_loadcnt 0x15
	v_pk_fma_f32 v[0:1], v[54:55], v[22:23], v[0:1] op_sel_hi:[1,0,1]
	global_load_b64 v[22:23], v13, s[8:9] scale_offset
	v_pk_fma_f32 v[8:9], v[80:81], v[10:11], v[8:9] op_sel_hi:[1,0,1]
	s_wait_xcnt 0x1
	v_add_nc_u32_e32 v12, 0x180, v12
	v_pk_fma_f32 v[0:1], v[54:55], v[10:11], v[0:1] op_sel:[1,0,0] op_sel_hi:[0,0,1] neg_lo:[1,0,0]
	s_wait_loadcnt 0x13
	v_mov_b32_e32 v10, v31
	v_pk_fma_f32 v[8:9], v[24:25], v[28:29], v[8:9] op_sel_hi:[1,0,1]
	s_delay_alu instid0(VALU_DEP_3) | instskip(NEXT) | instid1(VALU_DEP_2)
	v_pk_fma_f32 v[0:1], v[56:57], v[28:29], v[0:1] op_sel_hi:[1,0,1]
	v_pk_fma_f32 v[8:9], v[24:25], v[28:29], v[8:9] op_sel:[1,1,0] op_sel_hi:[0,1,1] neg_lo:[1,0,0]
	v_xor_b32_e32 v24, 0x80000000, v27
	v_mov_b32_e32 v25, v26
	s_delay_alu instid0(VALU_DEP_4) | instskip(NEXT) | instid1(VALU_DEP_4)
	v_pk_fma_f32 v[0:1], v[56:57], v[28:29], v[0:1] op_sel:[1,1,0] op_sel_hi:[0,1,1] neg_lo:[1,0,0]
	v_pk_fma_f32 v[8:9], v[26:27], v[30:31], v[8:9] op_sel_hi:[1,0,1]
	s_wait_loadcnt 0x12
	s_delay_alu instid0(VALU_DEP_2) | instskip(NEXT) | instid1(VALU_DEP_2)
	v_pk_fma_f32 v[0:1], v[58:59], v[30:31], v[0:1] op_sel_hi:[1,0,1]
	v_pk_fma_f32 v[8:9], v[24:25], v[10:11], v[8:9] op_sel_hi:[1,0,1]
	s_wait_loadcnt 0x10
	v_xor_b32_e32 v24, 0x80000000, v35
	v_mov_b32_e32 v25, v34
	v_pk_fma_f32 v[0:1], v[58:59], v[10:11], v[0:1] op_sel:[1,0,0] op_sel_hi:[0,0,1] neg_lo:[1,0,0]
	s_wait_loadcnt 0xf
	v_mov_b32_e32 v10, v39
	v_pk_fma_f32 v[8:9], v[32:33], v[36:37], v[8:9] op_sel_hi:[1,0,1]
	s_delay_alu instid0(VALU_DEP_3) | instskip(NEXT) | instid1(VALU_DEP_2)
	v_pk_fma_f32 v[0:1], v[60:61], v[36:37], v[0:1] op_sel_hi:[1,0,1]
	v_pk_fma_f32 v[8:9], v[32:33], v[36:37], v[8:9] op_sel:[1,1,0] op_sel_hi:[0,1,1] neg_lo:[1,0,0]
	s_delay_alu instid0(VALU_DEP_2) | instskip(NEXT) | instid1(VALU_DEP_2)
	v_pk_fma_f32 v[0:1], v[60:61], v[36:37], v[0:1] op_sel:[1,1,0] op_sel_hi:[0,1,1] neg_lo:[1,0,0]
	v_pk_fma_f32 v[8:9], v[34:35], v[38:39], v[8:9] op_sel_hi:[1,0,1]
	s_wait_loadcnt 0xd
	s_delay_alu instid0(VALU_DEP_2) | instskip(NEXT) | instid1(VALU_DEP_2)
	v_pk_fma_f32 v[0:1], v[62:63], v[38:39], v[0:1] op_sel_hi:[1,0,1]
	v_pk_fma_f32 v[8:9], v[24:25], v[10:11], v[8:9] op_sel_hi:[1,0,1]
	s_wait_loadcnt 0xb
	v_xor_b32_e32 v24, 0x80000000, v47
	v_mov_b32_e32 v25, v46
	v_pk_fma_f32 v[0:1], v[62:63], v[10:11], v[0:1] op_sel:[1,0,0] op_sel_hi:[0,0,1] neg_lo:[1,0,0]
	v_mov_b32_e32 v10, v43
	v_pk_fma_f32 v[8:9], v[44:45], v[40:41], v[8:9] op_sel_hi:[1,0,1]
	s_delay_alu instid0(VALU_DEP_3) | instskip(NEXT) | instid1(VALU_DEP_2)
	v_pk_fma_f32 v[0:1], v[64:65], v[40:41], v[0:1] op_sel_hi:[1,0,1]
	v_pk_fma_f32 v[8:9], v[44:45], v[40:41], v[8:9] op_sel:[1,1,0] op_sel_hi:[0,1,1] neg_lo:[1,0,0]
	s_delay_alu instid0(VALU_DEP_2) | instskip(NEXT) | instid1(VALU_DEP_2)
	v_pk_fma_f32 v[0:1], v[64:65], v[40:41], v[0:1] op_sel:[1,1,0] op_sel_hi:[0,1,1] neg_lo:[1,0,0]
	v_pk_fma_f32 v[8:9], v[46:47], v[42:43], v[8:9] op_sel_hi:[1,0,1]
	s_wait_loadcnt 0xa
	s_delay_alu instid0(VALU_DEP_2) | instskip(NEXT) | instid1(VALU_DEP_2)
	v_pk_fma_f32 v[0:1], v[66:67], v[42:43], v[0:1] op_sel_hi:[1,0,1]
	v_pk_fma_f32 v[8:9], v[24:25], v[10:11], v[8:9] op_sel_hi:[1,0,1]
	s_delay_alu instid0(VALU_DEP_2) | instskip(SKIP_2) | instid1(VALU_DEP_3)
	v_pk_fma_f32 v[0:1], v[66:67], v[10:11], v[0:1] op_sel:[1,0,0] op_sel_hi:[0,0,1] neg_lo:[1,0,0]
	s_wait_loadcnt 0x4
	v_mov_b32_e32 v10, v51
	v_pk_fma_f32 v[8:9], v[68:69], v[48:49], v[8:9] op_sel_hi:[1,0,1]
	s_delay_alu instid0(VALU_DEP_3) | instskip(NEXT) | instid1(VALU_DEP_2)
	v_pk_fma_f32 v[0:1], v[78:79], v[48:49], v[0:1] op_sel_hi:[1,0,1]
	v_pk_fma_f32 v[8:9], v[68:69], v[48:49], v[8:9] op_sel:[1,1,0] op_sel_hi:[0,1,1] neg_lo:[1,0,0]
	s_delay_alu instid0(VALU_DEP_2) | instskip(NEXT) | instid1(VALU_DEP_2)
	v_pk_fma_f32 v[0:1], v[78:79], v[48:49], v[0:1] op_sel:[1,1,0] op_sel_hi:[0,1,1] neg_lo:[1,0,0]
	v_pk_fma_f32 v[8:9], v[70:71], v[50:51], v[8:9] op_sel_hi:[1,0,1]
	s_delay_alu instid0(VALU_DEP_2) | instskip(NEXT) | instid1(VALU_DEP_2)
	v_pk_fma_f32 v[0:1], v[76:77], v[50:51], v[0:1] op_sel_hi:[1,0,1]
	v_pk_fma_f32 v[8:9], v[70:71], v[10:11], v[8:9] op_sel:[1,0,0] op_sel_hi:[0,0,1] neg_lo:[1,0,0]
	s_delay_alu instid0(VALU_DEP_2) | instskip(SKIP_1) | instid1(VALU_DEP_2)
	v_pk_fma_f32 v[0:1], v[76:77], v[10:11], v[0:1] op_sel:[1,0,0] op_sel_hi:[0,0,1] neg_lo:[1,0,0]
	s_wait_loadcnt 0x2
	v_pk_fma_f32 v[8:9], v[74:75], v[16:17], v[8:9] op_sel_hi:[1,0,1]
	s_delay_alu instid0(VALU_DEP_2) | instskip(SKIP_1) | instid1(VALU_DEP_3)
	v_pk_fma_f32 v[0:1], v[82:83], v[16:17], v[0:1] op_sel_hi:[1,0,1]
	v_mov_b32_e32 v10, v19
	v_pk_fma_f32 v[8:9], v[74:75], v[16:17], v[8:9] op_sel:[1,1,0] op_sel_hi:[0,1,1] neg_lo:[1,0,0]
	s_delay_alu instid0(VALU_DEP_3) | instskip(SKIP_1) | instid1(VALU_DEP_2)
	v_pk_fma_f32 v[0:1], v[82:83], v[16:17], v[0:1] op_sel:[1,1,0] op_sel_hi:[0,1,1] neg_lo:[1,0,0]
	s_wait_loadcnt 0x0
	v_pk_fma_f32 v[8:9], v[22:23], v[18:19], v[8:9] op_sel_hi:[1,0,1]
	s_delay_alu instid0(VALU_DEP_2) | instskip(NEXT) | instid1(VALU_DEP_2)
	v_pk_fma_f32 v[0:1], v[20:21], v[18:19], v[0:1] op_sel_hi:[1,0,1]
	v_pk_fma_f32 v[8:9], v[22:23], v[10:11], v[8:9] op_sel:[1,0,0] op_sel_hi:[0,0,1] neg_lo:[1,0,0]
	s_delay_alu instid0(VALU_DEP_2)
	v_pk_fma_f32 v[0:1], v[20:21], v[10:11], v[0:1] op_sel:[1,0,0] op_sel_hi:[0,0,1] neg_lo:[1,0,0]
	s_and_not1_b32 exec_lo, exec_lo, s2
	s_cbranch_execnz .LBB204_11
; %bb.12:
	s_or_b32 exec_lo, exec_lo, s2
.LBB204_13:
	s_delay_alu instid0(SALU_CYCLE_1)
	s_or_b32 exec_lo, exec_lo, s3
.LBB204_14:
	v_mbcnt_lo_u32_b32 v10, -1, 0
	s_delay_alu instid0(VALU_DEP_1) | instskip(SKIP_1) | instid1(VALU_DEP_1)
	v_xor_b32_e32 v15, 4, v10
	v_xor_b32_e32 v11, 8, v10
	v_cmp_gt_i32_e32 vcc_lo, 32, v11
	v_cndmask_b32_e32 v11, v10, v11, vcc_lo
	s_delay_alu instid0(VALU_DEP_1)
	v_lshlrev_b32_e32 v11, 2, v11
	ds_bpermute_b32 v13, v11, v9
	s_wait_dscnt 0x0
	v_add_f32_e32 v9, v9, v13
	ds_bpermute_b32 v12, v11, v8
	ds_bpermute_b32 v14, v11, v0
	;; [unrolled: 1-line block ×3, first 2 shown]
	s_wait_dscnt 0x2
	v_add_f32_e32 v8, v8, v12
	s_wait_dscnt 0x0
	v_dual_add_f32 v0, v0, v14 :: v_dual_add_f32 v1, v1, v11
	v_cmp_gt_i32_e32 vcc_lo, 32, v15
	v_cndmask_b32_e32 v15, v10, v15, vcc_lo
	s_delay_alu instid0(VALU_DEP_1)
	v_lshlrev_b32_e32 v15, 2, v15
	ds_bpermute_b32 v11, v15, v8
	ds_bpermute_b32 v12, v15, v9
	;; [unrolled: 1-line block ×4, first 2 shown]
	s_wait_dscnt 0x3
	v_dual_add_f32 v8, v8, v11 :: v_dual_bitop2_b32 v15, 2, v10 bitop3:0x14
	s_delay_alu instid0(VALU_DEP_1)
	v_cmp_gt_i32_e32 vcc_lo, 32, v15
	s_wait_dscnt 0x2
	v_add_f32_e32 v9, v9, v12
	s_wait_dscnt 0x0
	v_dual_add_f32 v12, v1, v14 :: v_dual_add_f32 v11, v0, v13
	v_cndmask_b32_e32 v15, v10, v15, vcc_lo
	s_delay_alu instid0(VALU_DEP_1)
	v_lshlrev_b32_e32 v15, 2, v15
	ds_bpermute_b32 v0, v15, v8
	ds_bpermute_b32 v1, v15, v9
	;; [unrolled: 1-line block ×4, first 2 shown]
	s_wait_dscnt 0x3
	v_dual_add_f32 v0, v8, v0 :: v_dual_bitop2_b32 v15, 1, v10 bitop3:0x14
	s_delay_alu instid0(VALU_DEP_1)
	v_cmp_gt_i32_e32 vcc_lo, 32, v15
	s_wait_dscnt 0x2
	v_dual_add_f32 v8, v9, v1 :: v_dual_cndmask_b32 v10, v10, v15, vcc_lo
	s_wait_dscnt 0x0
	v_dual_add_f32 v1, v11, v13 :: v_dual_add_f32 v9, v12, v14
	v_cmp_eq_u32_e32 vcc_lo, 15, v7
	s_delay_alu instid0(VALU_DEP_3)
	v_lshlrev_b32_e32 v15, 2, v10
	ds_bpermute_b32 v12, v15, v0
	ds_bpermute_b32 v13, v15, v8
	;; [unrolled: 1-line block ×4, first 2 shown]
	s_and_b32 exec_lo, exec_lo, vcc_lo
	s_cbranch_execz .LBB204_19
; %bb.15:
	s_load_b64 s[2:3], s[0:1], 0x38
	v_cmp_eq_f32_e32 vcc_lo, 0, v4
	s_wait_xcnt 0x0
	v_cmp_eq_f32_e64 s0, 0, v5
	s_wait_dscnt 0x3
	v_add_f32_e32 v0, v0, v12
	s_wait_dscnt 0x1
	v_dual_add_f32 v12, v8, v13 :: v_dual_add_f32 v8, v1, v10
	s_wait_dscnt 0x0
	v_add_f32_e32 v10, v9, v11
	s_and_b32 s0, vcc_lo, s0
	s_delay_alu instid0(SALU_CYCLE_1) | instskip(NEXT) | instid1(SALU_CYCLE_1)
	s_and_saveexec_b32 s1, s0
	s_xor_b32 s0, exec_lo, s1
	s_cbranch_execz .LBB204_17
; %bb.16:
	v_xor_b32_e32 v4, 0x80000000, v3
	v_dual_mov_b32 v5, v2 :: v_dual_lshlrev_b32 v6, 1, v6
	s_delay_alu instid0(VALU_DEP_1) | instskip(NEXT) | instid1(VALU_DEP_2)
	v_ashrrev_i32_e32 v7, 31, v6
	v_pk_mul_f32 v[12:13], v[12:13], v[4:5] op_sel_hi:[0,1]
	v_pk_mul_f32 v[4:5], v[10:11], v[4:5] op_sel_hi:[0,1]
                                        ; implicit-def: $vgpr10
	s_wait_kmcnt 0x0
	s_delay_alu instid0(VALU_DEP_3) | instskip(NEXT) | instid1(VALU_DEP_3)
	v_lshl_add_u64 v[6:7], v[6:7], 3, s[2:3]
	v_pk_fma_f32 v[0:1], v[2:3], v[0:1], v[12:13] op_sel_hi:[1,0,1]
	s_delay_alu instid0(VALU_DEP_3)
	v_pk_fma_f32 v[2:3], v[2:3], v[8:9], v[4:5] op_sel_hi:[1,0,1]
                                        ; implicit-def: $vgpr4_vgpr5
                                        ; implicit-def: $vgpr12
                                        ; implicit-def: $vgpr8
	global_store_b128 v[6:7], v[0:3], off
                                        ; implicit-def: $vgpr6
                                        ; implicit-def: $vgpr2_vgpr3
                                        ; implicit-def: $vgpr0
.LBB204_17:
	s_wait_xcnt 0x0
	s_and_not1_saveexec_b32 s0, s0
	s_cbranch_execz .LBB204_19
; %bb.18:
	v_dual_mov_b32 v19, v2 :: v_dual_lshlrev_b32 v6, 1, v6
	v_xor_b32_e32 v18, 0x80000000, v3
	s_delay_alu instid0(VALU_DEP_2) | instskip(NEXT) | instid1(VALU_DEP_2)
	v_ashrrev_i32_e32 v7, 31, v6
	v_pk_mul_f32 v[12:13], v[12:13], v[18:19] op_sel_hi:[0,1]
	v_pk_mul_f32 v[10:11], v[10:11], v[18:19] op_sel_hi:[0,1]
	s_delay_alu instid0(VALU_DEP_2) | instskip(NEXT) | instid1(VALU_DEP_2)
	v_pk_fma_f32 v[0:1], v[2:3], v[0:1], v[12:13] op_sel_hi:[1,0,1]
	v_pk_fma_f32 v[2:3], v[2:3], v[8:9], v[10:11] op_sel_hi:[1,0,1]
	v_mov_b32_e32 v9, v4
	s_wait_kmcnt 0x0
	v_lshl_add_u64 v[6:7], v[6:7], 3, s[2:3]
	v_xor_b32_e32 v8, 0x80000000, v5
	global_load_b128 v[14:17], v[6:7], off
	s_wait_loadcnt 0x0
	v_pk_fma_f32 v[0:1], v[4:5], v[14:15], v[0:1] op_sel_hi:[1,0,1]
	v_pk_fma_f32 v[2:3], v[4:5], v[16:17], v[2:3] op_sel_hi:[1,0,1]
	v_mov_b32_e32 v4, v17
	s_delay_alu instid0(VALU_DEP_3) | instskip(NEXT) | instid1(VALU_DEP_2)
	v_pk_fma_f32 v[0:1], v[8:9], v[14:15], v[0:1] op_sel:[0,1,0]
	v_pk_fma_f32 v[2:3], v[8:9], v[4:5], v[2:3] op_sel_hi:[1,0,1]
	global_store_b128 v[6:7], v[0:3], off
.LBB204_19:
	s_sendmsg sendmsg(MSG_DEALLOC_VGPRS)
	s_endpgm
	.section	.rodata,"a",@progbits
	.p2align	6, 0x0
	.amdhsa_kernel _ZN9rocsparseL19gebsrmvn_2xn_kernelILj128ELj12ELj16E21rocsparse_complex_numIfEEEvi20rocsparse_direction_NS_24const_host_device_scalarIT2_EEPKiS8_PKS5_SA_S6_PS5_21rocsparse_index_base_b
		.amdhsa_group_segment_fixed_size 0
		.amdhsa_private_segment_fixed_size 0
		.amdhsa_kernarg_size 72
		.amdhsa_user_sgpr_count 2
		.amdhsa_user_sgpr_dispatch_ptr 0
		.amdhsa_user_sgpr_queue_ptr 0
		.amdhsa_user_sgpr_kernarg_segment_ptr 1
		.amdhsa_user_sgpr_dispatch_id 0
		.amdhsa_user_sgpr_kernarg_preload_length 0
		.amdhsa_user_sgpr_kernarg_preload_offset 0
		.amdhsa_user_sgpr_private_segment_size 0
		.amdhsa_wavefront_size32 1
		.amdhsa_uses_dynamic_stack 0
		.amdhsa_enable_private_segment 0
		.amdhsa_system_sgpr_workgroup_id_x 1
		.amdhsa_system_sgpr_workgroup_id_y 0
		.amdhsa_system_sgpr_workgroup_id_z 0
		.amdhsa_system_sgpr_workgroup_info 0
		.amdhsa_system_vgpr_workitem_id 0
		.amdhsa_next_free_vgpr 92
		.amdhsa_next_free_sgpr 14
		.amdhsa_named_barrier_count 0
		.amdhsa_reserve_vcc 1
		.amdhsa_float_round_mode_32 0
		.amdhsa_float_round_mode_16_64 0
		.amdhsa_float_denorm_mode_32 3
		.amdhsa_float_denorm_mode_16_64 3
		.amdhsa_fp16_overflow 0
		.amdhsa_memory_ordered 1
		.amdhsa_forward_progress 1
		.amdhsa_inst_pref_size 27
		.amdhsa_round_robin_scheduling 0
		.amdhsa_exception_fp_ieee_invalid_op 0
		.amdhsa_exception_fp_denorm_src 0
		.amdhsa_exception_fp_ieee_div_zero 0
		.amdhsa_exception_fp_ieee_overflow 0
		.amdhsa_exception_fp_ieee_underflow 0
		.amdhsa_exception_fp_ieee_inexact 0
		.amdhsa_exception_int_div_zero 0
	.end_amdhsa_kernel
	.section	.text._ZN9rocsparseL19gebsrmvn_2xn_kernelILj128ELj12ELj16E21rocsparse_complex_numIfEEEvi20rocsparse_direction_NS_24const_host_device_scalarIT2_EEPKiS8_PKS5_SA_S6_PS5_21rocsparse_index_base_b,"axG",@progbits,_ZN9rocsparseL19gebsrmvn_2xn_kernelILj128ELj12ELj16E21rocsparse_complex_numIfEEEvi20rocsparse_direction_NS_24const_host_device_scalarIT2_EEPKiS8_PKS5_SA_S6_PS5_21rocsparse_index_base_b,comdat
.Lfunc_end204:
	.size	_ZN9rocsparseL19gebsrmvn_2xn_kernelILj128ELj12ELj16E21rocsparse_complex_numIfEEEvi20rocsparse_direction_NS_24const_host_device_scalarIT2_EEPKiS8_PKS5_SA_S6_PS5_21rocsparse_index_base_b, .Lfunc_end204-_ZN9rocsparseL19gebsrmvn_2xn_kernelILj128ELj12ELj16E21rocsparse_complex_numIfEEEvi20rocsparse_direction_NS_24const_host_device_scalarIT2_EEPKiS8_PKS5_SA_S6_PS5_21rocsparse_index_base_b
                                        ; -- End function
	.set _ZN9rocsparseL19gebsrmvn_2xn_kernelILj128ELj12ELj16E21rocsparse_complex_numIfEEEvi20rocsparse_direction_NS_24const_host_device_scalarIT2_EEPKiS8_PKS5_SA_S6_PS5_21rocsparse_index_base_b.num_vgpr, 92
	.set _ZN9rocsparseL19gebsrmvn_2xn_kernelILj128ELj12ELj16E21rocsparse_complex_numIfEEEvi20rocsparse_direction_NS_24const_host_device_scalarIT2_EEPKiS8_PKS5_SA_S6_PS5_21rocsparse_index_base_b.num_agpr, 0
	.set _ZN9rocsparseL19gebsrmvn_2xn_kernelILj128ELj12ELj16E21rocsparse_complex_numIfEEEvi20rocsparse_direction_NS_24const_host_device_scalarIT2_EEPKiS8_PKS5_SA_S6_PS5_21rocsparse_index_base_b.numbered_sgpr, 14
	.set _ZN9rocsparseL19gebsrmvn_2xn_kernelILj128ELj12ELj16E21rocsparse_complex_numIfEEEvi20rocsparse_direction_NS_24const_host_device_scalarIT2_EEPKiS8_PKS5_SA_S6_PS5_21rocsparse_index_base_b.num_named_barrier, 0
	.set _ZN9rocsparseL19gebsrmvn_2xn_kernelILj128ELj12ELj16E21rocsparse_complex_numIfEEEvi20rocsparse_direction_NS_24const_host_device_scalarIT2_EEPKiS8_PKS5_SA_S6_PS5_21rocsparse_index_base_b.private_seg_size, 0
	.set _ZN9rocsparseL19gebsrmvn_2xn_kernelILj128ELj12ELj16E21rocsparse_complex_numIfEEEvi20rocsparse_direction_NS_24const_host_device_scalarIT2_EEPKiS8_PKS5_SA_S6_PS5_21rocsparse_index_base_b.uses_vcc, 1
	.set _ZN9rocsparseL19gebsrmvn_2xn_kernelILj128ELj12ELj16E21rocsparse_complex_numIfEEEvi20rocsparse_direction_NS_24const_host_device_scalarIT2_EEPKiS8_PKS5_SA_S6_PS5_21rocsparse_index_base_b.uses_flat_scratch, 1
	.set _ZN9rocsparseL19gebsrmvn_2xn_kernelILj128ELj12ELj16E21rocsparse_complex_numIfEEEvi20rocsparse_direction_NS_24const_host_device_scalarIT2_EEPKiS8_PKS5_SA_S6_PS5_21rocsparse_index_base_b.has_dyn_sized_stack, 0
	.set _ZN9rocsparseL19gebsrmvn_2xn_kernelILj128ELj12ELj16E21rocsparse_complex_numIfEEEvi20rocsparse_direction_NS_24const_host_device_scalarIT2_EEPKiS8_PKS5_SA_S6_PS5_21rocsparse_index_base_b.has_recursion, 0
	.set _ZN9rocsparseL19gebsrmvn_2xn_kernelILj128ELj12ELj16E21rocsparse_complex_numIfEEEvi20rocsparse_direction_NS_24const_host_device_scalarIT2_EEPKiS8_PKS5_SA_S6_PS5_21rocsparse_index_base_b.has_indirect_call, 0
	.section	.AMDGPU.csdata,"",@progbits
; Kernel info:
; codeLenInByte = 3436
; TotalNumSgprs: 16
; NumVgprs: 92
; ScratchSize: 0
; MemoryBound: 0
; FloatMode: 240
; IeeeMode: 1
; LDSByteSize: 0 bytes/workgroup (compile time only)
; SGPRBlocks: 0
; VGPRBlocks: 5
; NumSGPRsForWavesPerEU: 16
; NumVGPRsForWavesPerEU: 92
; NamedBarCnt: 0
; Occupancy: 10
; WaveLimiterHint : 1
; COMPUTE_PGM_RSRC2:SCRATCH_EN: 0
; COMPUTE_PGM_RSRC2:USER_SGPR: 2
; COMPUTE_PGM_RSRC2:TRAP_HANDLER: 0
; COMPUTE_PGM_RSRC2:TGID_X_EN: 1
; COMPUTE_PGM_RSRC2:TGID_Y_EN: 0
; COMPUTE_PGM_RSRC2:TGID_Z_EN: 0
; COMPUTE_PGM_RSRC2:TIDIG_COMP_CNT: 0
	.section	.text._ZN9rocsparseL19gebsrmvn_2xn_kernelILj128ELj12ELj32E21rocsparse_complex_numIfEEEvi20rocsparse_direction_NS_24const_host_device_scalarIT2_EEPKiS8_PKS5_SA_S6_PS5_21rocsparse_index_base_b,"axG",@progbits,_ZN9rocsparseL19gebsrmvn_2xn_kernelILj128ELj12ELj32E21rocsparse_complex_numIfEEEvi20rocsparse_direction_NS_24const_host_device_scalarIT2_EEPKiS8_PKS5_SA_S6_PS5_21rocsparse_index_base_b,comdat
	.globl	_ZN9rocsparseL19gebsrmvn_2xn_kernelILj128ELj12ELj32E21rocsparse_complex_numIfEEEvi20rocsparse_direction_NS_24const_host_device_scalarIT2_EEPKiS8_PKS5_SA_S6_PS5_21rocsparse_index_base_b ; -- Begin function _ZN9rocsparseL19gebsrmvn_2xn_kernelILj128ELj12ELj32E21rocsparse_complex_numIfEEEvi20rocsparse_direction_NS_24const_host_device_scalarIT2_EEPKiS8_PKS5_SA_S6_PS5_21rocsparse_index_base_b
	.p2align	8
	.type	_ZN9rocsparseL19gebsrmvn_2xn_kernelILj128ELj12ELj32E21rocsparse_complex_numIfEEEvi20rocsparse_direction_NS_24const_host_device_scalarIT2_EEPKiS8_PKS5_SA_S6_PS5_21rocsparse_index_base_b,@function
_ZN9rocsparseL19gebsrmvn_2xn_kernelILj128ELj12ELj32E21rocsparse_complex_numIfEEEvi20rocsparse_direction_NS_24const_host_device_scalarIT2_EEPKiS8_PKS5_SA_S6_PS5_21rocsparse_index_base_b: ; @_ZN9rocsparseL19gebsrmvn_2xn_kernelILj128ELj12ELj32E21rocsparse_complex_numIfEEEvi20rocsparse_direction_NS_24const_host_device_scalarIT2_EEPKiS8_PKS5_SA_S6_PS5_21rocsparse_index_base_b
; %bb.0:
	s_clause 0x2
	s_load_b64 s[12:13], s[0:1], 0x40
	s_load_b64 s[2:3], s[0:1], 0x8
	;; [unrolled: 1-line block ×3, first 2 shown]
	v_mov_b32_e32 v1, 0
	s_add_nc_u64 s[6:7], s[0:1], 8
	s_add_nc_u64 s[8:9], s[0:1], 48
	s_wait_kmcnt 0x0
	s_bitcmp1_b32 s13, 0
	s_cselect_b32 s3, s7, s3
	s_cselect_b32 s2, s6, s2
	;; [unrolled: 1-line block ×4, first 2 shown]
	s_clause 0x1
	flat_load_b64 v[2:3], v1, s[2:3]
	flat_load_b64 v[4:5], v1, s[4:5]
	s_wait_loadcnt_dscnt 0x101
	v_cmp_eq_f32_e32 vcc_lo, 0, v2
	v_cmp_eq_f32_e64 s2, 0, v3
	s_wait_loadcnt_dscnt 0x0
	v_cmp_eq_f32_e64 s3, 1.0, v4
	v_cmp_eq_f32_e64 s4, 0, v5
	s_and_b32 s2, vcc_lo, s2
	s_and_b32 s3, s3, s4
	s_delay_alu instid0(SALU_CYCLE_1) | instskip(NEXT) | instid1(SALU_CYCLE_1)
	s_and_b32 s2, s2, s3
	s_xor_b32 s2, s2, -1
	s_delay_alu instid0(SALU_CYCLE_1)
	s_and_saveexec_b32 s3, s2
	s_cbranch_execz .LBB205_19
; %bb.1:
	s_load_b64 s[2:3], s[0:1], 0x0
	s_bfe_u32 s4, ttmp6, 0x4000c
	s_and_b32 s5, ttmp6, 15
	s_add_co_i32 s4, s4, 1
	s_getreg_b32 s6, hwreg(HW_REG_IB_STS2, 6, 4)
	s_mul_i32 s4, ttmp9, s4
	v_lshrrev_b32_e32 v1, 5, v0
	s_add_co_i32 s5, s5, s4
	s_cmp_eq_u32 s6, 0
	s_cselect_b32 s4, ttmp9, s5
	s_delay_alu instid0(VALU_DEP_1) | instid1(SALU_CYCLE_1)
	v_lshl_or_b32 v6, s4, 2, v1
	s_wait_kmcnt 0x0
	s_delay_alu instid0(VALU_DEP_1)
	v_cmp_gt_i32_e32 vcc_lo, s2, v6
	s_and_b32 exec_lo, exec_lo, vcc_lo
	s_cbranch_execz .LBB205_19
; %bb.2:
	s_load_b256 s[4:11], s[0:1], 0x10
	v_ashrrev_i32_e32 v7, 31, v6
	s_cmp_lg_u32 s3, 0
	s_wait_kmcnt 0x0
	s_delay_alu instid0(VALU_DEP_1)
	v_lshl_add_u64 v[8:9], v[6:7], 2, s[4:5]
	v_and_b32_e32 v7, 31, v0
	global_load_b64 v[8:9], v[8:9], off
	s_wait_loadcnt 0x0
	v_subrev_nc_u32_e32 v0, s12, v8
	v_subrev_nc_u32_e32 v14, s12, v9
	s_delay_alu instid0(VALU_DEP_2) | instskip(NEXT) | instid1(VALU_DEP_1)
	v_add_nc_u32_e32 v15, v0, v7
	v_cmp_lt_i32_e64 s2, v15, v14
	s_cbranch_scc0 .LBB205_8
; %bb.3:
	v_mov_b32_e32 v9, 0
	s_delay_alu instid0(VALU_DEP_1)
	v_dual_mov_b32 v8, v9 :: v_dual_mov_b32 v1, v9
	v_mov_b32_e32 v0, v9
	s_and_saveexec_b32 s3, s2
	s_cbranch_execz .LBB205_7
; %bb.4:
	v_mad_u32 v12, v15, 24, 22
	v_dual_mov_b32 v11, 0 :: v_dual_mov_b32 v16, v15
	s_mov_b32 s4, 0
	s_delay_alu instid0(VALU_DEP_1)
	v_dual_mov_b32 v0, v11 :: v_dual_mov_b32 v1, v11
	v_dual_mov_b32 v8, v11 :: v_dual_mov_b32 v9, v11
.LBB205_5:                              ; =>This Inner Loop Header: Depth=1
	global_load_b32 v10, v16, s[6:7] scale_offset
	v_dual_mov_b32 v67, v11 :: v_dual_mov_b32 v13, v11
	s_wait_xcnt 0x0
	v_add_nc_u32_e32 v16, 32, v16
	s_delay_alu instid0(VALU_DEP_1) | instskip(SKIP_3) | instid1(VALU_DEP_1)
	v_cmp_ge_i32_e32 vcc_lo, v16, v14
	s_or_b32 s4, vcc_lo, s4
	s_wait_loadcnt 0x0
	v_subrev_nc_u32_e32 v10, s12, v10
	v_mul_lo_u32 v66, v10, 12
	v_subrev_nc_u32_e32 v10, 22, v12
	s_delay_alu instid0(VALU_DEP_1) | instskip(SKIP_1) | instid1(VALU_DEP_4)
	v_lshl_add_u64 v[38:39], v[10:11], 3, s[8:9]
	v_add_nc_u32_e32 v10, -14, v12
	v_lshl_add_u64 v[40:41], v[66:67], 3, s[10:11]
	global_load_b128 v[18:21], v[38:39], off
	global_load_b128 v[22:25], v[40:41], off
	s_clause 0x1
	global_load_b128 v[26:29], v[38:39], off offset:16
	global_load_b128 v[30:33], v[38:39], off offset:32
	;; [unrolled: 1-line block ×4, first 2 shown]
	v_lshl_add_u64 v[42:43], v[10:11], 3, s[8:9]
	v_add_nc_u32_e32 v10, 4, v66
	global_load_b128 v[42:45], v[42:43], off
	v_lshl_add_u64 v[58:59], v[10:11], 3, s[10:11]
	v_add_nc_u32_e32 v10, -12, v12
	global_load_b128 v[46:49], v[58:59], off
	s_wait_loadcnt 0x7
	v_mov_b32_e32 v91, v20
	v_lshl_add_u64 v[60:61], v[10:11], 3, s[8:9]
	v_add_nc_u32_e32 v10, -10, v12
	s_wait_loadcnt 0x6
	v_pk_fma_f32 v[8:9], v[18:19], v[22:23], v[8:9] op_sel_hi:[1,0,1]
	global_load_b128 v[50:53], v[60:61], off
	global_load_b128 v[54:57], v[58:59], off offset:16
	v_xor_b32_e32 v90, 0x80000000, v21
	v_pk_fma_f32 v[8:9], v[18:19], v[22:23], v[8:9] op_sel:[1,1,0] op_sel_hi:[0,1,1] neg_lo:[1,0,0]
	s_wait_loadcnt 0x7
	v_mov_b32_e32 v19, v28
	s_wait_xcnt 0x0
	v_lshl_add_u64 v[58:59], v[10:11], 3, s[8:9]
	v_add_nc_u32_e32 v10, -8, v12
	v_pk_fma_f32 v[0:1], v[20:21], v[22:23], v[0:1] op_sel_hi:[1,0,1]
	v_xor_b32_e32 v18, 0x80000000, v29
	v_pk_fma_f32 v[8:9], v[26:27], v[24:25], v[8:9] op_sel_hi:[1,0,1]
	global_load_b128 v[58:61], v[58:59], off
	v_lshl_add_u64 v[62:63], v[10:11], 3, s[8:9]
	v_add_nc_u32_e32 v10, -6, v12
	v_pk_fma_f32 v[0:1], v[90:91], v[22:23], v[0:1] op_sel:[0,1,0]
	global_load_b128 v[62:65], v[62:63], off
	v_lshl_add_u64 v[74:75], v[10:11], 3, s[8:9]
	v_add_nc_u32_e32 v10, 8, v66
	v_pk_fma_f32 v[0:1], v[28:29], v[24:25], v[0:1] op_sel_hi:[1,0,1]
	s_delay_alu instid0(VALU_DEP_2)
	v_lshl_add_u64 v[86:87], v[10:11], 3, s[10:11]
	v_add_nc_u32_e32 v10, -4, v12
	global_load_b128 v[66:69], v[74:75], off
	global_load_b128 v[70:73], v[86:87], off
	s_wait_xcnt 0x1
	v_lshl_add_u64 v[74:75], v[10:11], 3, s[8:9]
	v_add_nc_u32_e32 v10, -2, v12
	global_load_b128 v[74:77], v[74:75], off
	v_lshl_add_u64 v[88:89], v[10:11], 3, s[8:9]
	global_load_b128 v[78:81], v[86:87], off offset:16
	global_load_b128 v[82:85], v[88:89], off
	s_wait_xcnt 0x1
	v_lshl_add_u64 v[86:87], v[12:13], 3, s[8:9]
	v_mov_b32_e32 v10, v25
	v_add_nc_u32_e32 v12, 0x300, v12
	global_load_b128 v[86:89], v[86:87], off
	v_pk_fma_f32 v[8:9], v[26:27], v[10:11], v[8:9] op_sel:[1,0,0] op_sel_hi:[0,0,1] neg_lo:[1,0,0]
	v_pk_fma_f32 v[0:1], v[18:19], v[10:11], v[0:1] op_sel_hi:[1,0,1]
	s_wait_loadcnt 0xe
	v_xor_b32_e32 v18, 0x80000000, v33
	s_wait_loadcnt 0xd
	v_dual_mov_b32 v19, v32 :: v_dual_mov_b32 v10, v37
	v_pk_fma_f32 v[8:9], v[30:31], v[34:35], v[8:9] op_sel_hi:[1,0,1]
	v_pk_fma_f32 v[0:1], v[32:33], v[34:35], v[0:1] op_sel_hi:[1,0,1]
	s_delay_alu instid0(VALU_DEP_2) | instskip(NEXT) | instid1(VALU_DEP_2)
	v_pk_fma_f32 v[8:9], v[30:31], v[34:35], v[8:9] op_sel:[1,1,0] op_sel_hi:[0,1,1] neg_lo:[1,0,0]
	v_pk_fma_f32 v[0:1], v[18:19], v[34:35], v[0:1] op_sel:[0,1,0]
	s_wait_loadcnt 0xc
	v_xor_b32_e32 v18, 0x80000000, v41
	v_mov_b32_e32 v19, v40
	v_pk_fma_f32 v[8:9], v[38:39], v[36:37], v[8:9] op_sel_hi:[1,0,1]
	v_pk_fma_f32 v[0:1], v[40:41], v[36:37], v[0:1] op_sel_hi:[1,0,1]
	s_delay_alu instid0(VALU_DEP_2) | instskip(NEXT) | instid1(VALU_DEP_2)
	v_pk_fma_f32 v[8:9], v[38:39], v[10:11], v[8:9] op_sel:[1,0,0] op_sel_hi:[0,0,1] neg_lo:[1,0,0]
	v_pk_fma_f32 v[0:1], v[18:19], v[10:11], v[0:1] op_sel_hi:[1,0,1]
	s_wait_loadcnt 0xb
	v_xor_b32_e32 v18, 0x80000000, v45
	s_wait_loadcnt 0xa
	v_dual_mov_b32 v19, v44 :: v_dual_mov_b32 v10, v49
	v_pk_fma_f32 v[8:9], v[42:43], v[46:47], v[8:9] op_sel_hi:[1,0,1]
	v_pk_fma_f32 v[0:1], v[44:45], v[46:47], v[0:1] op_sel_hi:[1,0,1]
	s_delay_alu instid0(VALU_DEP_2) | instskip(NEXT) | instid1(VALU_DEP_2)
	v_pk_fma_f32 v[8:9], v[42:43], v[46:47], v[8:9] op_sel:[1,1,0] op_sel_hi:[0,1,1] neg_lo:[1,0,0]
	v_pk_fma_f32 v[0:1], v[18:19], v[46:47], v[0:1] op_sel:[0,1,0]
	s_wait_loadcnt 0x9
	v_xor_b32_e32 v18, 0x80000000, v53
	v_mov_b32_e32 v19, v52
	v_pk_fma_f32 v[8:9], v[50:51], v[48:49], v[8:9] op_sel_hi:[1,0,1]
	v_pk_fma_f32 v[0:1], v[52:53], v[48:49], v[0:1] op_sel_hi:[1,0,1]
	s_delay_alu instid0(VALU_DEP_2) | instskip(NEXT) | instid1(VALU_DEP_2)
	v_pk_fma_f32 v[8:9], v[50:51], v[10:11], v[8:9] op_sel:[1,0,0] op_sel_hi:[0,0,1] neg_lo:[1,0,0]
	v_pk_fma_f32 v[0:1], v[18:19], v[10:11], v[0:1] op_sel_hi:[1,0,1]
	s_wait_loadcnt 0x8
	v_mov_b32_e32 v10, v57
	s_wait_loadcnt 0x7
	v_xor_b32_e32 v18, 0x80000000, v61
	v_mov_b32_e32 v19, v60
	v_pk_fma_f32 v[8:9], v[58:59], v[54:55], v[8:9] op_sel_hi:[1,0,1]
	v_pk_fma_f32 v[0:1], v[60:61], v[54:55], v[0:1] op_sel_hi:[1,0,1]
	s_delay_alu instid0(VALU_DEP_2) | instskip(NEXT) | instid1(VALU_DEP_2)
	v_pk_fma_f32 v[8:9], v[58:59], v[54:55], v[8:9] op_sel:[1,1,0] op_sel_hi:[0,1,1] neg_lo:[1,0,0]
	v_pk_fma_f32 v[0:1], v[18:19], v[54:55], v[0:1] op_sel:[0,1,0]
	s_wait_loadcnt 0x6
	v_xor_b32_e32 v18, 0x80000000, v65
	v_mov_b32_e32 v19, v64
	v_pk_fma_f32 v[8:9], v[62:63], v[56:57], v[8:9] op_sel_hi:[1,0,1]
	v_pk_fma_f32 v[0:1], v[64:65], v[56:57], v[0:1] op_sel_hi:[1,0,1]
	s_delay_alu instid0(VALU_DEP_2) | instskip(NEXT) | instid1(VALU_DEP_2)
	v_pk_fma_f32 v[8:9], v[62:63], v[10:11], v[8:9] op_sel:[1,0,0] op_sel_hi:[0,0,1] neg_lo:[1,0,0]
	v_pk_fma_f32 v[0:1], v[18:19], v[10:11], v[0:1] op_sel_hi:[1,0,1]
	s_wait_loadcnt 0x5
	v_xor_b32_e32 v18, 0x80000000, v69
	s_wait_loadcnt 0x4
	v_dual_mov_b32 v19, v68 :: v_dual_mov_b32 v10, v73
	v_pk_fma_f32 v[8:9], v[66:67], v[70:71], v[8:9] op_sel_hi:[1,0,1]
	v_pk_fma_f32 v[0:1], v[68:69], v[70:71], v[0:1] op_sel_hi:[1,0,1]
	s_delay_alu instid0(VALU_DEP_2) | instskip(NEXT) | instid1(VALU_DEP_2)
	v_pk_fma_f32 v[8:9], v[66:67], v[70:71], v[8:9] op_sel:[1,1,0] op_sel_hi:[0,1,1] neg_lo:[1,0,0]
	v_pk_fma_f32 v[0:1], v[18:19], v[70:71], v[0:1] op_sel:[0,1,0]
	s_wait_loadcnt 0x3
	v_xor_b32_e32 v18, 0x80000000, v77
	v_mov_b32_e32 v19, v76
	v_pk_fma_f32 v[8:9], v[74:75], v[72:73], v[8:9] op_sel_hi:[1,0,1]
	v_pk_fma_f32 v[0:1], v[76:77], v[72:73], v[0:1] op_sel_hi:[1,0,1]
	s_delay_alu instid0(VALU_DEP_2) | instskip(NEXT) | instid1(VALU_DEP_2)
	v_pk_fma_f32 v[8:9], v[74:75], v[10:11], v[8:9] op_sel:[1,0,0] op_sel_hi:[0,0,1] neg_lo:[1,0,0]
	v_pk_fma_f32 v[0:1], v[18:19], v[10:11], v[0:1] op_sel_hi:[1,0,1]
	s_wait_loadcnt 0x1
	v_xor_b32_e32 v18, 0x80000000, v85
	v_dual_mov_b32 v19, v84 :: v_dual_mov_b32 v10, v81
	v_pk_fma_f32 v[8:9], v[82:83], v[78:79], v[8:9] op_sel_hi:[1,0,1]
	v_pk_fma_f32 v[0:1], v[84:85], v[78:79], v[0:1] op_sel_hi:[1,0,1]
	s_delay_alu instid0(VALU_DEP_2) | instskip(NEXT) | instid1(VALU_DEP_2)
	v_pk_fma_f32 v[8:9], v[82:83], v[78:79], v[8:9] op_sel:[1,1,0] op_sel_hi:[0,1,1] neg_lo:[1,0,0]
	v_pk_fma_f32 v[0:1], v[18:19], v[78:79], v[0:1] op_sel:[0,1,0]
	s_wait_loadcnt 0x0
	v_xor_b32_e32 v18, 0x80000000, v89
	v_mov_b32_e32 v19, v88
	v_pk_fma_f32 v[8:9], v[86:87], v[80:81], v[8:9] op_sel_hi:[1,0,1]
	v_pk_fma_f32 v[0:1], v[88:89], v[80:81], v[0:1] op_sel_hi:[1,0,1]
	s_delay_alu instid0(VALU_DEP_2) | instskip(NEXT) | instid1(VALU_DEP_2)
	v_pk_fma_f32 v[8:9], v[86:87], v[10:11], v[8:9] op_sel:[1,0,0] op_sel_hi:[0,0,1] neg_lo:[1,0,0]
	v_pk_fma_f32 v[0:1], v[18:19], v[10:11], v[0:1] op_sel_hi:[1,0,1]
	s_and_not1_b32 exec_lo, exec_lo, s4
	s_cbranch_execnz .LBB205_5
; %bb.6:
	s_or_b32 exec_lo, exec_lo, s4
.LBB205_7:
	s_delay_alu instid0(SALU_CYCLE_1)
	s_or_b32 exec_lo, exec_lo, s3
	s_cbranch_execz .LBB205_9
	s_branch .LBB205_14
.LBB205_8:
                                        ; implicit-def: $vgpr9
                                        ; implicit-def: $vgpr1
.LBB205_9:
	v_mov_b32_e32 v9, 0
	s_delay_alu instid0(VALU_DEP_1)
	v_dual_mov_b32 v8, v9 :: v_dual_mov_b32 v1, v9
	v_mov_b32_e32 v0, v9
	s_and_saveexec_b32 s3, s2
	s_cbranch_execz .LBB205_13
; %bb.10:
	v_mad_u32 v12, v15, 24, 23
	v_mov_b32_e32 v11, 0
	s_mov_b32 s2, 0
	s_delay_alu instid0(VALU_DEP_1)
	v_dual_mov_b32 v0, v11 :: v_dual_mov_b32 v1, v11
	v_dual_mov_b32 v8, v11 :: v_dual_mov_b32 v9, v11
.LBB205_11:                             ; =>This Inner Loop Header: Depth=1
	global_load_b32 v13, v15, s[6:7] scale_offset
	v_subrev_nc_u32_e32 v10, 23, v12
	v_dual_mov_b32 v49, v11 :: v_dual_add_nc_u32 v20, -11, v12
	v_dual_add_nc_u32 v24, -10, v12 :: v_dual_add_nc_u32 v81, -2, v12
	v_add_nc_u32_e32 v82, -13, v12
	s_delay_alu instid0(VALU_DEP_4)
	v_lshl_add_u64 v[50:51], v[10:11], 3, s[8:9]
	v_add_nc_u32_e32 v84, -1, v12
	s_clause 0x1
	global_load_b128 v[16:19], v[50:51], off
	global_load_b64 v[52:53], v20, s[8:9] scale_offset
	s_wait_xcnt 0x2
	v_dual_add_nc_u32 v80, -3, v12 :: v_dual_add_nc_u32 v15, 32, v15
	s_delay_alu instid0(VALU_DEP_1) | instskip(SKIP_4) | instid1(VALU_DEP_2)
	v_cmp_ge_i32_e32 vcc_lo, v15, v14
	s_or_b32 s2, vcc_lo, s2
	s_wait_loadcnt 0x2
	v_subrev_nc_u32_e32 v10, s12, v13
	v_add_nc_u32_e32 v13, -7, v12
	v_mul_lo_u32 v48, v10, 12
	v_add_nc_u32_e32 v10, -9, v12
	s_delay_alu instid0(VALU_DEP_2)
	v_lshl_add_u64 v[32:33], v[48:49], 3, s[10:11]
	global_load_b128 v[20:23], v[32:33], off
	s_clause 0x2
	global_load_b64 v[54:55], v24, s[8:9] scale_offset
	global_load_b64 v[56:57], v10, s[8:9] scale_offset
	global_load_b128 v[24:27], v[50:51], off offset:16
	global_load_b128 v[28:31], v[32:33], off offset:16
	s_wait_xcnt 0x2
	v_dual_add_nc_u32 v10, -8, v12 :: v_dual_add_nc_u32 v49, -14, v12
	global_load_b64 v[58:59], v10, s[8:9] scale_offset
	s_wait_xcnt 0x0
	v_add_nc_u32_e32 v10, 4, v48
	s_delay_alu instid0(VALU_DEP_1)
	v_lshl_add_u64 v[44:45], v[10:11], 3, s[10:11]
	s_clause 0x1
	global_load_b64 v[60:61], v13, s[8:9] scale_offset
	global_load_b128 v[32:35], v[50:51], off offset:32
	s_clause 0x1
	global_load_b128 v[36:39], v[44:45], off
	global_load_b128 v[40:43], v[44:45], off offset:16
	s_wait_xcnt 0x3
	v_dual_add_nc_u32 v10, -6, v12 :: v_dual_add_nc_u32 v13, -15, v12
	global_load_b64 v[62:63], v10, s[8:9] scale_offset
	s_wait_xcnt 0x0
	v_add_nc_u32_e32 v10, -5, v12
	s_clause 0x1
	global_load_b64 v[64:65], v10, s[8:9] scale_offset
	global_load_b128 v[44:47], v[50:51], off offset:48
	s_wait_xcnt 0x1
	v_add_nc_u32_e32 v10, -4, v12
	global_load_b64 v[66:67], v10, s[8:9] scale_offset
	s_wait_xcnt 0x0
	v_add_nc_u32_e32 v10, 8, v48
	s_clause 0x1
	global_load_b64 v[68:69], v13, s[8:9] scale_offset
	global_load_b64 v[70:71], v49, s[8:9] scale_offset
	s_wait_xcnt 0x1
	v_add_nc_u32_e32 v13, -12, v12
	v_lshl_add_u64 v[72:73], v[10:11], 3, s[10:11]
	s_clause 0x2
	global_load_b64 v[74:75], v82, s[8:9] scale_offset
	global_load_b64 v[76:77], v81, s[8:9] scale_offset
	;; [unrolled: 1-line block ×3, first 2 shown]
	global_load_b128 v[48:51], v[72:73], off
	s_wait_loadcnt 0x15
	s_wait_xcnt 0x1
	v_xor_b32_e32 v80, 0x80000000, v19
	v_mov_b32_e32 v81, v18
	s_wait_loadcnt 0x13
	v_pk_fma_f32 v[8:9], v[16:17], v[20:21], v[8:9] op_sel_hi:[1,0,1]
	v_pk_fma_f32 v[0:1], v[52:53], v[20:21], v[0:1] op_sel_hi:[1,0,1]
	v_mov_b32_e32 v10, v23
	s_delay_alu instid0(VALU_DEP_3) | instskip(NEXT) | instid1(VALU_DEP_3)
	v_pk_fma_f32 v[8:9], v[16:17], v[20:21], v[8:9] op_sel:[1,1,0] op_sel_hi:[0,1,1] neg_lo:[1,0,0]
	v_pk_fma_f32 v[0:1], v[52:53], v[20:21], v[0:1] op_sel:[1,1,0] op_sel_hi:[0,1,1] neg_lo:[1,0,0]
	s_delay_alu instid0(VALU_DEP_2)
	v_pk_fma_f32 v[8:9], v[18:19], v[22:23], v[8:9] op_sel_hi:[1,0,1]
	global_load_b64 v[82:83], v84, s[8:9] scale_offset
	global_load_b128 v[16:19], v[72:73], off offset:16
	global_load_b64 v[20:21], v12, s[8:9] scale_offset
	s_wait_loadcnt 0x15
	v_pk_fma_f32 v[0:1], v[54:55], v[22:23], v[0:1] op_sel_hi:[1,0,1]
	global_load_b64 v[22:23], v13, s[8:9] scale_offset
	v_pk_fma_f32 v[8:9], v[80:81], v[10:11], v[8:9] op_sel_hi:[1,0,1]
	s_wait_xcnt 0x1
	v_add_nc_u32_e32 v12, 0x300, v12
	v_pk_fma_f32 v[0:1], v[54:55], v[10:11], v[0:1] op_sel:[1,0,0] op_sel_hi:[0,0,1] neg_lo:[1,0,0]
	s_wait_loadcnt 0x13
	v_mov_b32_e32 v10, v31
	v_pk_fma_f32 v[8:9], v[24:25], v[28:29], v[8:9] op_sel_hi:[1,0,1]
	s_delay_alu instid0(VALU_DEP_3) | instskip(NEXT) | instid1(VALU_DEP_2)
	v_pk_fma_f32 v[0:1], v[56:57], v[28:29], v[0:1] op_sel_hi:[1,0,1]
	v_pk_fma_f32 v[8:9], v[24:25], v[28:29], v[8:9] op_sel:[1,1,0] op_sel_hi:[0,1,1] neg_lo:[1,0,0]
	v_xor_b32_e32 v24, 0x80000000, v27
	v_mov_b32_e32 v25, v26
	s_delay_alu instid0(VALU_DEP_4) | instskip(NEXT) | instid1(VALU_DEP_4)
	v_pk_fma_f32 v[0:1], v[56:57], v[28:29], v[0:1] op_sel:[1,1,0] op_sel_hi:[0,1,1] neg_lo:[1,0,0]
	v_pk_fma_f32 v[8:9], v[26:27], v[30:31], v[8:9] op_sel_hi:[1,0,1]
	s_wait_loadcnt 0x12
	s_delay_alu instid0(VALU_DEP_2) | instskip(NEXT) | instid1(VALU_DEP_2)
	v_pk_fma_f32 v[0:1], v[58:59], v[30:31], v[0:1] op_sel_hi:[1,0,1]
	v_pk_fma_f32 v[8:9], v[24:25], v[10:11], v[8:9] op_sel_hi:[1,0,1]
	s_wait_loadcnt 0x10
	v_xor_b32_e32 v24, 0x80000000, v35
	v_mov_b32_e32 v25, v34
	v_pk_fma_f32 v[0:1], v[58:59], v[10:11], v[0:1] op_sel:[1,0,0] op_sel_hi:[0,0,1] neg_lo:[1,0,0]
	s_wait_loadcnt 0xf
	v_mov_b32_e32 v10, v39
	v_pk_fma_f32 v[8:9], v[32:33], v[36:37], v[8:9] op_sel_hi:[1,0,1]
	s_delay_alu instid0(VALU_DEP_3) | instskip(NEXT) | instid1(VALU_DEP_2)
	v_pk_fma_f32 v[0:1], v[60:61], v[36:37], v[0:1] op_sel_hi:[1,0,1]
	v_pk_fma_f32 v[8:9], v[32:33], v[36:37], v[8:9] op_sel:[1,1,0] op_sel_hi:[0,1,1] neg_lo:[1,0,0]
	s_delay_alu instid0(VALU_DEP_2) | instskip(NEXT) | instid1(VALU_DEP_2)
	v_pk_fma_f32 v[0:1], v[60:61], v[36:37], v[0:1] op_sel:[1,1,0] op_sel_hi:[0,1,1] neg_lo:[1,0,0]
	v_pk_fma_f32 v[8:9], v[34:35], v[38:39], v[8:9] op_sel_hi:[1,0,1]
	s_wait_loadcnt 0xd
	s_delay_alu instid0(VALU_DEP_2) | instskip(NEXT) | instid1(VALU_DEP_2)
	v_pk_fma_f32 v[0:1], v[62:63], v[38:39], v[0:1] op_sel_hi:[1,0,1]
	v_pk_fma_f32 v[8:9], v[24:25], v[10:11], v[8:9] op_sel_hi:[1,0,1]
	s_wait_loadcnt 0xb
	v_xor_b32_e32 v24, 0x80000000, v47
	v_mov_b32_e32 v25, v46
	v_pk_fma_f32 v[0:1], v[62:63], v[10:11], v[0:1] op_sel:[1,0,0] op_sel_hi:[0,0,1] neg_lo:[1,0,0]
	v_mov_b32_e32 v10, v43
	v_pk_fma_f32 v[8:9], v[44:45], v[40:41], v[8:9] op_sel_hi:[1,0,1]
	s_delay_alu instid0(VALU_DEP_3) | instskip(NEXT) | instid1(VALU_DEP_2)
	v_pk_fma_f32 v[0:1], v[64:65], v[40:41], v[0:1] op_sel_hi:[1,0,1]
	v_pk_fma_f32 v[8:9], v[44:45], v[40:41], v[8:9] op_sel:[1,1,0] op_sel_hi:[0,1,1] neg_lo:[1,0,0]
	s_delay_alu instid0(VALU_DEP_2) | instskip(NEXT) | instid1(VALU_DEP_2)
	v_pk_fma_f32 v[0:1], v[64:65], v[40:41], v[0:1] op_sel:[1,1,0] op_sel_hi:[0,1,1] neg_lo:[1,0,0]
	v_pk_fma_f32 v[8:9], v[46:47], v[42:43], v[8:9] op_sel_hi:[1,0,1]
	s_wait_loadcnt 0xa
	s_delay_alu instid0(VALU_DEP_2) | instskip(NEXT) | instid1(VALU_DEP_2)
	v_pk_fma_f32 v[0:1], v[66:67], v[42:43], v[0:1] op_sel_hi:[1,0,1]
	v_pk_fma_f32 v[8:9], v[24:25], v[10:11], v[8:9] op_sel_hi:[1,0,1]
	s_delay_alu instid0(VALU_DEP_2) | instskip(SKIP_2) | instid1(VALU_DEP_3)
	v_pk_fma_f32 v[0:1], v[66:67], v[10:11], v[0:1] op_sel:[1,0,0] op_sel_hi:[0,0,1] neg_lo:[1,0,0]
	s_wait_loadcnt 0x4
	v_mov_b32_e32 v10, v51
	v_pk_fma_f32 v[8:9], v[68:69], v[48:49], v[8:9] op_sel_hi:[1,0,1]
	s_delay_alu instid0(VALU_DEP_3) | instskip(NEXT) | instid1(VALU_DEP_2)
	v_pk_fma_f32 v[0:1], v[78:79], v[48:49], v[0:1] op_sel_hi:[1,0,1]
	v_pk_fma_f32 v[8:9], v[68:69], v[48:49], v[8:9] op_sel:[1,1,0] op_sel_hi:[0,1,1] neg_lo:[1,0,0]
	s_delay_alu instid0(VALU_DEP_2) | instskip(NEXT) | instid1(VALU_DEP_2)
	v_pk_fma_f32 v[0:1], v[78:79], v[48:49], v[0:1] op_sel:[1,1,0] op_sel_hi:[0,1,1] neg_lo:[1,0,0]
	v_pk_fma_f32 v[8:9], v[70:71], v[50:51], v[8:9] op_sel_hi:[1,0,1]
	s_delay_alu instid0(VALU_DEP_2) | instskip(NEXT) | instid1(VALU_DEP_2)
	v_pk_fma_f32 v[0:1], v[76:77], v[50:51], v[0:1] op_sel_hi:[1,0,1]
	v_pk_fma_f32 v[8:9], v[70:71], v[10:11], v[8:9] op_sel:[1,0,0] op_sel_hi:[0,0,1] neg_lo:[1,0,0]
	s_delay_alu instid0(VALU_DEP_2) | instskip(SKIP_1) | instid1(VALU_DEP_2)
	v_pk_fma_f32 v[0:1], v[76:77], v[10:11], v[0:1] op_sel:[1,0,0] op_sel_hi:[0,0,1] neg_lo:[1,0,0]
	s_wait_loadcnt 0x2
	v_pk_fma_f32 v[8:9], v[74:75], v[16:17], v[8:9] op_sel_hi:[1,0,1]
	s_delay_alu instid0(VALU_DEP_2) | instskip(SKIP_1) | instid1(VALU_DEP_3)
	v_pk_fma_f32 v[0:1], v[82:83], v[16:17], v[0:1] op_sel_hi:[1,0,1]
	v_mov_b32_e32 v10, v19
	v_pk_fma_f32 v[8:9], v[74:75], v[16:17], v[8:9] op_sel:[1,1,0] op_sel_hi:[0,1,1] neg_lo:[1,0,0]
	s_delay_alu instid0(VALU_DEP_3) | instskip(SKIP_1) | instid1(VALU_DEP_2)
	v_pk_fma_f32 v[0:1], v[82:83], v[16:17], v[0:1] op_sel:[1,1,0] op_sel_hi:[0,1,1] neg_lo:[1,0,0]
	s_wait_loadcnt 0x0
	v_pk_fma_f32 v[8:9], v[22:23], v[18:19], v[8:9] op_sel_hi:[1,0,1]
	s_delay_alu instid0(VALU_DEP_2) | instskip(NEXT) | instid1(VALU_DEP_2)
	v_pk_fma_f32 v[0:1], v[20:21], v[18:19], v[0:1] op_sel_hi:[1,0,1]
	v_pk_fma_f32 v[8:9], v[22:23], v[10:11], v[8:9] op_sel:[1,0,0] op_sel_hi:[0,0,1] neg_lo:[1,0,0]
	s_delay_alu instid0(VALU_DEP_2)
	v_pk_fma_f32 v[0:1], v[20:21], v[10:11], v[0:1] op_sel:[1,0,0] op_sel_hi:[0,0,1] neg_lo:[1,0,0]
	s_and_not1_b32 exec_lo, exec_lo, s2
	s_cbranch_execnz .LBB205_11
; %bb.12:
	s_or_b32 exec_lo, exec_lo, s2
.LBB205_13:
	s_delay_alu instid0(SALU_CYCLE_1)
	s_or_b32 exec_lo, exec_lo, s3
.LBB205_14:
	v_mbcnt_lo_u32_b32 v10, -1, 0
	s_delay_alu instid0(VALU_DEP_1) | instskip(SKIP_1) | instid1(VALU_DEP_1)
	v_xor_b32_e32 v15, 8, v10
	v_xor_b32_e32 v11, 16, v10
	v_cmp_gt_i32_e32 vcc_lo, 32, v11
	v_cndmask_b32_e32 v11, v10, v11, vcc_lo
	s_delay_alu instid0(VALU_DEP_1)
	v_lshlrev_b32_e32 v11, 2, v11
	ds_bpermute_b32 v13, v11, v9
	s_wait_dscnt 0x0
	v_add_f32_e32 v9, v9, v13
	ds_bpermute_b32 v12, v11, v8
	ds_bpermute_b32 v14, v11, v0
	;; [unrolled: 1-line block ×3, first 2 shown]
	s_wait_dscnt 0x2
	v_add_f32_e32 v8, v8, v12
	s_wait_dscnt 0x0
	v_dual_add_f32 v0, v0, v14 :: v_dual_add_f32 v1, v1, v11
	v_cmp_gt_i32_e32 vcc_lo, 32, v15
	v_cndmask_b32_e32 v15, v10, v15, vcc_lo
	s_delay_alu instid0(VALU_DEP_1)
	v_lshlrev_b32_e32 v15, 2, v15
	ds_bpermute_b32 v11, v15, v8
	ds_bpermute_b32 v12, v15, v9
	;; [unrolled: 1-line block ×4, first 2 shown]
	s_wait_dscnt 0x3
	v_dual_add_f32 v8, v8, v11 :: v_dual_bitop2_b32 v15, 4, v10 bitop3:0x14
	s_delay_alu instid0(VALU_DEP_1)
	v_cmp_gt_i32_e32 vcc_lo, 32, v15
	s_wait_dscnt 0x2
	v_add_f32_e32 v9, v9, v12
	s_wait_dscnt 0x0
	v_dual_add_f32 v1, v1, v14 :: v_dual_add_f32 v0, v0, v13
	v_cndmask_b32_e32 v15, v10, v15, vcc_lo
	s_delay_alu instid0(VALU_DEP_1)
	v_lshlrev_b32_e32 v15, 2, v15
	ds_bpermute_b32 v11, v15, v8
	ds_bpermute_b32 v12, v15, v9
	;; [unrolled: 1-line block ×4, first 2 shown]
	s_wait_dscnt 0x3
	v_dual_add_f32 v8, v8, v11 :: v_dual_bitop2_b32 v15, 2, v10 bitop3:0x14
	s_delay_alu instid0(VALU_DEP_1) | instskip(SKIP_4) | instid1(VALU_DEP_2)
	v_cmp_gt_i32_e32 vcc_lo, 32, v15
	s_wait_dscnt 0x2
	v_dual_add_f32 v9, v9, v12 :: v_dual_cndmask_b32 v15, v10, v15, vcc_lo
	s_wait_dscnt 0x0
	v_dual_add_f32 v11, v0, v13 :: v_dual_add_f32 v12, v1, v14
	v_lshlrev_b32_e32 v15, 2, v15
	ds_bpermute_b32 v0, v15, v8
	ds_bpermute_b32 v1, v15, v9
	;; [unrolled: 1-line block ×4, first 2 shown]
	s_wait_dscnt 0x3
	v_dual_add_f32 v0, v8, v0 :: v_dual_bitop2_b32 v15, 1, v10 bitop3:0x14
	s_delay_alu instid0(VALU_DEP_1)
	v_cmp_gt_i32_e32 vcc_lo, 32, v15
	s_wait_dscnt 0x2
	v_add_f32_e32 v8, v9, v1
	s_wait_dscnt 0x0
	v_dual_add_f32 v1, v11, v13 :: v_dual_add_f32 v9, v12, v14
	v_cndmask_b32_e32 v10, v10, v15, vcc_lo
	v_cmp_eq_u32_e32 vcc_lo, 31, v7
	s_delay_alu instid0(VALU_DEP_2)
	v_lshlrev_b32_e32 v15, 2, v10
	ds_bpermute_b32 v12, v15, v0
	ds_bpermute_b32 v13, v15, v8
	;; [unrolled: 1-line block ×4, first 2 shown]
	s_and_b32 exec_lo, exec_lo, vcc_lo
	s_cbranch_execz .LBB205_19
; %bb.15:
	s_load_b64 s[2:3], s[0:1], 0x38
	v_cmp_eq_f32_e32 vcc_lo, 0, v4
	s_wait_xcnt 0x0
	v_cmp_eq_f32_e64 s0, 0, v5
	s_wait_dscnt 0x3
	v_add_f32_e32 v0, v0, v12
	s_wait_dscnt 0x1
	v_dual_add_f32 v12, v8, v13 :: v_dual_add_f32 v8, v1, v10
	s_wait_dscnt 0x0
	v_add_f32_e32 v10, v9, v11
	s_and_b32 s0, vcc_lo, s0
	s_delay_alu instid0(SALU_CYCLE_1) | instskip(NEXT) | instid1(SALU_CYCLE_1)
	s_and_saveexec_b32 s1, s0
	s_xor_b32 s0, exec_lo, s1
	s_cbranch_execz .LBB205_17
; %bb.16:
	v_xor_b32_e32 v4, 0x80000000, v3
	v_dual_mov_b32 v5, v2 :: v_dual_lshlrev_b32 v6, 1, v6
	s_delay_alu instid0(VALU_DEP_1) | instskip(NEXT) | instid1(VALU_DEP_2)
	v_ashrrev_i32_e32 v7, 31, v6
	v_pk_mul_f32 v[12:13], v[12:13], v[4:5] op_sel_hi:[0,1]
	v_pk_mul_f32 v[4:5], v[10:11], v[4:5] op_sel_hi:[0,1]
                                        ; implicit-def: $vgpr10
	s_wait_kmcnt 0x0
	s_delay_alu instid0(VALU_DEP_3) | instskip(NEXT) | instid1(VALU_DEP_3)
	v_lshl_add_u64 v[6:7], v[6:7], 3, s[2:3]
	v_pk_fma_f32 v[0:1], v[2:3], v[0:1], v[12:13] op_sel_hi:[1,0,1]
	s_delay_alu instid0(VALU_DEP_3)
	v_pk_fma_f32 v[2:3], v[2:3], v[8:9], v[4:5] op_sel_hi:[1,0,1]
                                        ; implicit-def: $vgpr4_vgpr5
                                        ; implicit-def: $vgpr12
                                        ; implicit-def: $vgpr8
	global_store_b128 v[6:7], v[0:3], off
                                        ; implicit-def: $vgpr6
                                        ; implicit-def: $vgpr2_vgpr3
                                        ; implicit-def: $vgpr0
.LBB205_17:
	s_wait_xcnt 0x0
	s_and_not1_saveexec_b32 s0, s0
	s_cbranch_execz .LBB205_19
; %bb.18:
	v_dual_mov_b32 v19, v2 :: v_dual_lshlrev_b32 v6, 1, v6
	v_xor_b32_e32 v18, 0x80000000, v3
	s_delay_alu instid0(VALU_DEP_2) | instskip(NEXT) | instid1(VALU_DEP_2)
	v_ashrrev_i32_e32 v7, 31, v6
	v_pk_mul_f32 v[12:13], v[12:13], v[18:19] op_sel_hi:[0,1]
	v_pk_mul_f32 v[10:11], v[10:11], v[18:19] op_sel_hi:[0,1]
	s_delay_alu instid0(VALU_DEP_2) | instskip(NEXT) | instid1(VALU_DEP_2)
	v_pk_fma_f32 v[0:1], v[2:3], v[0:1], v[12:13] op_sel_hi:[1,0,1]
	v_pk_fma_f32 v[2:3], v[2:3], v[8:9], v[10:11] op_sel_hi:[1,0,1]
	v_mov_b32_e32 v9, v4
	s_wait_kmcnt 0x0
	v_lshl_add_u64 v[6:7], v[6:7], 3, s[2:3]
	v_xor_b32_e32 v8, 0x80000000, v5
	global_load_b128 v[14:17], v[6:7], off
	s_wait_loadcnt 0x0
	v_pk_fma_f32 v[0:1], v[4:5], v[14:15], v[0:1] op_sel_hi:[1,0,1]
	v_pk_fma_f32 v[2:3], v[4:5], v[16:17], v[2:3] op_sel_hi:[1,0,1]
	v_mov_b32_e32 v4, v17
	s_delay_alu instid0(VALU_DEP_3) | instskip(NEXT) | instid1(VALU_DEP_2)
	v_pk_fma_f32 v[0:1], v[8:9], v[14:15], v[0:1] op_sel:[0,1,0]
	v_pk_fma_f32 v[2:3], v[8:9], v[4:5], v[2:3] op_sel_hi:[1,0,1]
	global_store_b128 v[6:7], v[0:3], off
.LBB205_19:
	s_sendmsg sendmsg(MSG_DEALLOC_VGPRS)
	s_endpgm
	.section	.rodata,"a",@progbits
	.p2align	6, 0x0
	.amdhsa_kernel _ZN9rocsparseL19gebsrmvn_2xn_kernelILj128ELj12ELj32E21rocsparse_complex_numIfEEEvi20rocsparse_direction_NS_24const_host_device_scalarIT2_EEPKiS8_PKS5_SA_S6_PS5_21rocsparse_index_base_b
		.amdhsa_group_segment_fixed_size 0
		.amdhsa_private_segment_fixed_size 0
		.amdhsa_kernarg_size 72
		.amdhsa_user_sgpr_count 2
		.amdhsa_user_sgpr_dispatch_ptr 0
		.amdhsa_user_sgpr_queue_ptr 0
		.amdhsa_user_sgpr_kernarg_segment_ptr 1
		.amdhsa_user_sgpr_dispatch_id 0
		.amdhsa_user_sgpr_kernarg_preload_length 0
		.amdhsa_user_sgpr_kernarg_preload_offset 0
		.amdhsa_user_sgpr_private_segment_size 0
		.amdhsa_wavefront_size32 1
		.amdhsa_uses_dynamic_stack 0
		.amdhsa_enable_private_segment 0
		.amdhsa_system_sgpr_workgroup_id_x 1
		.amdhsa_system_sgpr_workgroup_id_y 0
		.amdhsa_system_sgpr_workgroup_id_z 0
		.amdhsa_system_sgpr_workgroup_info 0
		.amdhsa_system_vgpr_workitem_id 0
		.amdhsa_next_free_vgpr 92
		.amdhsa_next_free_sgpr 14
		.amdhsa_named_barrier_count 0
		.amdhsa_reserve_vcc 1
		.amdhsa_float_round_mode_32 0
		.amdhsa_float_round_mode_16_64 0
		.amdhsa_float_denorm_mode_32 3
		.amdhsa_float_denorm_mode_16_64 3
		.amdhsa_fp16_overflow 0
		.amdhsa_memory_ordered 1
		.amdhsa_forward_progress 1
		.amdhsa_inst_pref_size 28
		.amdhsa_round_robin_scheduling 0
		.amdhsa_exception_fp_ieee_invalid_op 0
		.amdhsa_exception_fp_denorm_src 0
		.amdhsa_exception_fp_ieee_div_zero 0
		.amdhsa_exception_fp_ieee_overflow 0
		.amdhsa_exception_fp_ieee_underflow 0
		.amdhsa_exception_fp_ieee_inexact 0
		.amdhsa_exception_int_div_zero 0
	.end_amdhsa_kernel
	.section	.text._ZN9rocsparseL19gebsrmvn_2xn_kernelILj128ELj12ELj32E21rocsparse_complex_numIfEEEvi20rocsparse_direction_NS_24const_host_device_scalarIT2_EEPKiS8_PKS5_SA_S6_PS5_21rocsparse_index_base_b,"axG",@progbits,_ZN9rocsparseL19gebsrmvn_2xn_kernelILj128ELj12ELj32E21rocsparse_complex_numIfEEEvi20rocsparse_direction_NS_24const_host_device_scalarIT2_EEPKiS8_PKS5_SA_S6_PS5_21rocsparse_index_base_b,comdat
.Lfunc_end205:
	.size	_ZN9rocsparseL19gebsrmvn_2xn_kernelILj128ELj12ELj32E21rocsparse_complex_numIfEEEvi20rocsparse_direction_NS_24const_host_device_scalarIT2_EEPKiS8_PKS5_SA_S6_PS5_21rocsparse_index_base_b, .Lfunc_end205-_ZN9rocsparseL19gebsrmvn_2xn_kernelILj128ELj12ELj32E21rocsparse_complex_numIfEEEvi20rocsparse_direction_NS_24const_host_device_scalarIT2_EEPKiS8_PKS5_SA_S6_PS5_21rocsparse_index_base_b
                                        ; -- End function
	.set _ZN9rocsparseL19gebsrmvn_2xn_kernelILj128ELj12ELj32E21rocsparse_complex_numIfEEEvi20rocsparse_direction_NS_24const_host_device_scalarIT2_EEPKiS8_PKS5_SA_S6_PS5_21rocsparse_index_base_b.num_vgpr, 92
	.set _ZN9rocsparseL19gebsrmvn_2xn_kernelILj128ELj12ELj32E21rocsparse_complex_numIfEEEvi20rocsparse_direction_NS_24const_host_device_scalarIT2_EEPKiS8_PKS5_SA_S6_PS5_21rocsparse_index_base_b.num_agpr, 0
	.set _ZN9rocsparseL19gebsrmvn_2xn_kernelILj128ELj12ELj32E21rocsparse_complex_numIfEEEvi20rocsparse_direction_NS_24const_host_device_scalarIT2_EEPKiS8_PKS5_SA_S6_PS5_21rocsparse_index_base_b.numbered_sgpr, 14
	.set _ZN9rocsparseL19gebsrmvn_2xn_kernelILj128ELj12ELj32E21rocsparse_complex_numIfEEEvi20rocsparse_direction_NS_24const_host_device_scalarIT2_EEPKiS8_PKS5_SA_S6_PS5_21rocsparse_index_base_b.num_named_barrier, 0
	.set _ZN9rocsparseL19gebsrmvn_2xn_kernelILj128ELj12ELj32E21rocsparse_complex_numIfEEEvi20rocsparse_direction_NS_24const_host_device_scalarIT2_EEPKiS8_PKS5_SA_S6_PS5_21rocsparse_index_base_b.private_seg_size, 0
	.set _ZN9rocsparseL19gebsrmvn_2xn_kernelILj128ELj12ELj32E21rocsparse_complex_numIfEEEvi20rocsparse_direction_NS_24const_host_device_scalarIT2_EEPKiS8_PKS5_SA_S6_PS5_21rocsparse_index_base_b.uses_vcc, 1
	.set _ZN9rocsparseL19gebsrmvn_2xn_kernelILj128ELj12ELj32E21rocsparse_complex_numIfEEEvi20rocsparse_direction_NS_24const_host_device_scalarIT2_EEPKiS8_PKS5_SA_S6_PS5_21rocsparse_index_base_b.uses_flat_scratch, 1
	.set _ZN9rocsparseL19gebsrmvn_2xn_kernelILj128ELj12ELj32E21rocsparse_complex_numIfEEEvi20rocsparse_direction_NS_24const_host_device_scalarIT2_EEPKiS8_PKS5_SA_S6_PS5_21rocsparse_index_base_b.has_dyn_sized_stack, 0
	.set _ZN9rocsparseL19gebsrmvn_2xn_kernelILj128ELj12ELj32E21rocsparse_complex_numIfEEEvi20rocsparse_direction_NS_24const_host_device_scalarIT2_EEPKiS8_PKS5_SA_S6_PS5_21rocsparse_index_base_b.has_recursion, 0
	.set _ZN9rocsparseL19gebsrmvn_2xn_kernelILj128ELj12ELj32E21rocsparse_complex_numIfEEEvi20rocsparse_direction_NS_24const_host_device_scalarIT2_EEPKiS8_PKS5_SA_S6_PS5_21rocsparse_index_base_b.has_indirect_call, 0
	.section	.AMDGPU.csdata,"",@progbits
; Kernel info:
; codeLenInByte = 3520
; TotalNumSgprs: 16
; NumVgprs: 92
; ScratchSize: 0
; MemoryBound: 0
; FloatMode: 240
; IeeeMode: 1
; LDSByteSize: 0 bytes/workgroup (compile time only)
; SGPRBlocks: 0
; VGPRBlocks: 5
; NumSGPRsForWavesPerEU: 16
; NumVGPRsForWavesPerEU: 92
; NamedBarCnt: 0
; Occupancy: 10
; WaveLimiterHint : 1
; COMPUTE_PGM_RSRC2:SCRATCH_EN: 0
; COMPUTE_PGM_RSRC2:USER_SGPR: 2
; COMPUTE_PGM_RSRC2:TRAP_HANDLER: 0
; COMPUTE_PGM_RSRC2:TGID_X_EN: 1
; COMPUTE_PGM_RSRC2:TGID_Y_EN: 0
; COMPUTE_PGM_RSRC2:TGID_Z_EN: 0
; COMPUTE_PGM_RSRC2:TIDIG_COMP_CNT: 0
	.section	.text._ZN9rocsparseL19gebsrmvn_2xn_kernelILj128ELj12ELj64E21rocsparse_complex_numIfEEEvi20rocsparse_direction_NS_24const_host_device_scalarIT2_EEPKiS8_PKS5_SA_S6_PS5_21rocsparse_index_base_b,"axG",@progbits,_ZN9rocsparseL19gebsrmvn_2xn_kernelILj128ELj12ELj64E21rocsparse_complex_numIfEEEvi20rocsparse_direction_NS_24const_host_device_scalarIT2_EEPKiS8_PKS5_SA_S6_PS5_21rocsparse_index_base_b,comdat
	.globl	_ZN9rocsparseL19gebsrmvn_2xn_kernelILj128ELj12ELj64E21rocsparse_complex_numIfEEEvi20rocsparse_direction_NS_24const_host_device_scalarIT2_EEPKiS8_PKS5_SA_S6_PS5_21rocsparse_index_base_b ; -- Begin function _ZN9rocsparseL19gebsrmvn_2xn_kernelILj128ELj12ELj64E21rocsparse_complex_numIfEEEvi20rocsparse_direction_NS_24const_host_device_scalarIT2_EEPKiS8_PKS5_SA_S6_PS5_21rocsparse_index_base_b
	.p2align	8
	.type	_ZN9rocsparseL19gebsrmvn_2xn_kernelILj128ELj12ELj64E21rocsparse_complex_numIfEEEvi20rocsparse_direction_NS_24const_host_device_scalarIT2_EEPKiS8_PKS5_SA_S6_PS5_21rocsparse_index_base_b,@function
_ZN9rocsparseL19gebsrmvn_2xn_kernelILj128ELj12ELj64E21rocsparse_complex_numIfEEEvi20rocsparse_direction_NS_24const_host_device_scalarIT2_EEPKiS8_PKS5_SA_S6_PS5_21rocsparse_index_base_b: ; @_ZN9rocsparseL19gebsrmvn_2xn_kernelILj128ELj12ELj64E21rocsparse_complex_numIfEEEvi20rocsparse_direction_NS_24const_host_device_scalarIT2_EEPKiS8_PKS5_SA_S6_PS5_21rocsparse_index_base_b
; %bb.0:
	s_clause 0x2
	s_load_b64 s[12:13], s[0:1], 0x40
	s_load_b64 s[2:3], s[0:1], 0x8
	;; [unrolled: 1-line block ×3, first 2 shown]
	v_mov_b32_e32 v1, 0
	s_add_nc_u64 s[6:7], s[0:1], 8
	s_add_nc_u64 s[8:9], s[0:1], 48
	s_wait_kmcnt 0x0
	s_bitcmp1_b32 s13, 0
	s_cselect_b32 s3, s7, s3
	s_cselect_b32 s2, s6, s2
	;; [unrolled: 1-line block ×4, first 2 shown]
	s_clause 0x1
	flat_load_b64 v[2:3], v1, s[2:3]
	flat_load_b64 v[4:5], v1, s[4:5]
	s_wait_loadcnt_dscnt 0x101
	v_cmp_eq_f32_e32 vcc_lo, 0, v2
	v_cmp_eq_f32_e64 s2, 0, v3
	s_wait_loadcnt_dscnt 0x0
	v_cmp_eq_f32_e64 s3, 1.0, v4
	v_cmp_eq_f32_e64 s4, 0, v5
	s_and_b32 s2, vcc_lo, s2
	s_and_b32 s3, s3, s4
	s_delay_alu instid0(SALU_CYCLE_1) | instskip(NEXT) | instid1(SALU_CYCLE_1)
	s_and_b32 s2, s2, s3
	s_xor_b32 s2, s2, -1
	s_delay_alu instid0(SALU_CYCLE_1)
	s_and_saveexec_b32 s3, s2
	s_cbranch_execz .LBB206_19
; %bb.1:
	s_load_b64 s[2:3], s[0:1], 0x0
	s_bfe_u32 s4, ttmp6, 0x4000c
	s_and_b32 s5, ttmp6, 15
	s_add_co_i32 s4, s4, 1
	s_getreg_b32 s6, hwreg(HW_REG_IB_STS2, 6, 4)
	s_mul_i32 s4, ttmp9, s4
	v_lshrrev_b32_e32 v1, 6, v0
	s_add_co_i32 s5, s5, s4
	s_cmp_eq_u32 s6, 0
	s_cselect_b32 s4, ttmp9, s5
	s_delay_alu instid0(VALU_DEP_1) | instid1(SALU_CYCLE_1)
	v_lshl_or_b32 v6, s4, 1, v1
	s_wait_kmcnt 0x0
	s_delay_alu instid0(VALU_DEP_1)
	v_cmp_gt_i32_e32 vcc_lo, s2, v6
	s_and_b32 exec_lo, exec_lo, vcc_lo
	s_cbranch_execz .LBB206_19
; %bb.2:
	s_load_b256 s[4:11], s[0:1], 0x10
	v_ashrrev_i32_e32 v7, 31, v6
	s_cmp_lg_u32 s3, 0
	s_wait_kmcnt 0x0
	s_delay_alu instid0(VALU_DEP_1)
	v_lshl_add_u64 v[8:9], v[6:7], 2, s[4:5]
	v_and_b32_e32 v7, 63, v0
	global_load_b64 v[8:9], v[8:9], off
	s_wait_loadcnt 0x0
	v_subrev_nc_u32_e32 v0, s12, v8
	v_subrev_nc_u32_e32 v14, s12, v9
	s_delay_alu instid0(VALU_DEP_2) | instskip(NEXT) | instid1(VALU_DEP_1)
	v_add_nc_u32_e32 v15, v0, v7
	v_cmp_lt_i32_e64 s2, v15, v14
	s_cbranch_scc0 .LBB206_8
; %bb.3:
	v_mov_b32_e32 v9, 0
	s_delay_alu instid0(VALU_DEP_1)
	v_dual_mov_b32 v8, v9 :: v_dual_mov_b32 v1, v9
	v_mov_b32_e32 v0, v9
	s_and_saveexec_b32 s3, s2
	s_cbranch_execz .LBB206_7
; %bb.4:
	v_mad_u32 v12, v15, 24, 22
	v_dual_mov_b32 v11, 0 :: v_dual_mov_b32 v16, v15
	s_mov_b32 s4, 0
	s_delay_alu instid0(VALU_DEP_1)
	v_dual_mov_b32 v0, v11 :: v_dual_mov_b32 v1, v11
	v_dual_mov_b32 v8, v11 :: v_dual_mov_b32 v9, v11
.LBB206_5:                              ; =>This Inner Loop Header: Depth=1
	global_load_b32 v10, v16, s[6:7] scale_offset
	v_dual_mov_b32 v67, v11 :: v_dual_mov_b32 v13, v11
	s_wait_xcnt 0x0
	v_add_nc_u32_e32 v16, 64, v16
	s_delay_alu instid0(VALU_DEP_1) | instskip(SKIP_3) | instid1(VALU_DEP_1)
	v_cmp_ge_i32_e32 vcc_lo, v16, v14
	s_or_b32 s4, vcc_lo, s4
	s_wait_loadcnt 0x0
	v_subrev_nc_u32_e32 v10, s12, v10
	v_mul_lo_u32 v66, v10, 12
	v_subrev_nc_u32_e32 v10, 22, v12
	s_delay_alu instid0(VALU_DEP_1) | instskip(SKIP_1) | instid1(VALU_DEP_4)
	v_lshl_add_u64 v[38:39], v[10:11], 3, s[8:9]
	v_add_nc_u32_e32 v10, -14, v12
	v_lshl_add_u64 v[40:41], v[66:67], 3, s[10:11]
	global_load_b128 v[18:21], v[38:39], off
	global_load_b128 v[22:25], v[40:41], off
	s_clause 0x1
	global_load_b128 v[26:29], v[38:39], off offset:16
	global_load_b128 v[30:33], v[38:39], off offset:32
	;; [unrolled: 1-line block ×4, first 2 shown]
	v_lshl_add_u64 v[42:43], v[10:11], 3, s[8:9]
	v_add_nc_u32_e32 v10, 4, v66
	global_load_b128 v[42:45], v[42:43], off
	v_lshl_add_u64 v[58:59], v[10:11], 3, s[10:11]
	v_add_nc_u32_e32 v10, -12, v12
	global_load_b128 v[46:49], v[58:59], off
	s_wait_loadcnt 0x7
	v_mov_b32_e32 v91, v20
	v_lshl_add_u64 v[60:61], v[10:11], 3, s[8:9]
	v_add_nc_u32_e32 v10, -10, v12
	s_wait_loadcnt 0x6
	v_pk_fma_f32 v[8:9], v[18:19], v[22:23], v[8:9] op_sel_hi:[1,0,1]
	global_load_b128 v[50:53], v[60:61], off
	global_load_b128 v[54:57], v[58:59], off offset:16
	v_xor_b32_e32 v90, 0x80000000, v21
	v_pk_fma_f32 v[8:9], v[18:19], v[22:23], v[8:9] op_sel:[1,1,0] op_sel_hi:[0,1,1] neg_lo:[1,0,0]
	s_wait_loadcnt 0x7
	v_mov_b32_e32 v19, v28
	s_wait_xcnt 0x0
	v_lshl_add_u64 v[58:59], v[10:11], 3, s[8:9]
	v_add_nc_u32_e32 v10, -8, v12
	v_pk_fma_f32 v[0:1], v[20:21], v[22:23], v[0:1] op_sel_hi:[1,0,1]
	v_xor_b32_e32 v18, 0x80000000, v29
	v_pk_fma_f32 v[8:9], v[26:27], v[24:25], v[8:9] op_sel_hi:[1,0,1]
	global_load_b128 v[58:61], v[58:59], off
	v_lshl_add_u64 v[62:63], v[10:11], 3, s[8:9]
	v_add_nc_u32_e32 v10, -6, v12
	v_pk_fma_f32 v[0:1], v[90:91], v[22:23], v[0:1] op_sel:[0,1,0]
	global_load_b128 v[62:65], v[62:63], off
	v_lshl_add_u64 v[74:75], v[10:11], 3, s[8:9]
	v_add_nc_u32_e32 v10, 8, v66
	v_pk_fma_f32 v[0:1], v[28:29], v[24:25], v[0:1] op_sel_hi:[1,0,1]
	s_delay_alu instid0(VALU_DEP_2)
	v_lshl_add_u64 v[86:87], v[10:11], 3, s[10:11]
	v_add_nc_u32_e32 v10, -4, v12
	global_load_b128 v[66:69], v[74:75], off
	global_load_b128 v[70:73], v[86:87], off
	s_wait_xcnt 0x1
	v_lshl_add_u64 v[74:75], v[10:11], 3, s[8:9]
	v_add_nc_u32_e32 v10, -2, v12
	global_load_b128 v[74:77], v[74:75], off
	v_lshl_add_u64 v[88:89], v[10:11], 3, s[8:9]
	global_load_b128 v[78:81], v[86:87], off offset:16
	global_load_b128 v[82:85], v[88:89], off
	s_wait_xcnt 0x1
	v_lshl_add_u64 v[86:87], v[12:13], 3, s[8:9]
	v_mov_b32_e32 v10, v25
	v_add_nc_u32_e32 v12, 0x600, v12
	global_load_b128 v[86:89], v[86:87], off
	v_pk_fma_f32 v[8:9], v[26:27], v[10:11], v[8:9] op_sel:[1,0,0] op_sel_hi:[0,0,1] neg_lo:[1,0,0]
	v_pk_fma_f32 v[0:1], v[18:19], v[10:11], v[0:1] op_sel_hi:[1,0,1]
	s_wait_loadcnt 0xe
	v_xor_b32_e32 v18, 0x80000000, v33
	s_wait_loadcnt 0xd
	v_dual_mov_b32 v19, v32 :: v_dual_mov_b32 v10, v37
	v_pk_fma_f32 v[8:9], v[30:31], v[34:35], v[8:9] op_sel_hi:[1,0,1]
	v_pk_fma_f32 v[0:1], v[32:33], v[34:35], v[0:1] op_sel_hi:[1,0,1]
	s_delay_alu instid0(VALU_DEP_2) | instskip(NEXT) | instid1(VALU_DEP_2)
	v_pk_fma_f32 v[8:9], v[30:31], v[34:35], v[8:9] op_sel:[1,1,0] op_sel_hi:[0,1,1] neg_lo:[1,0,0]
	v_pk_fma_f32 v[0:1], v[18:19], v[34:35], v[0:1] op_sel:[0,1,0]
	s_wait_loadcnt 0xc
	v_xor_b32_e32 v18, 0x80000000, v41
	v_mov_b32_e32 v19, v40
	v_pk_fma_f32 v[8:9], v[38:39], v[36:37], v[8:9] op_sel_hi:[1,0,1]
	v_pk_fma_f32 v[0:1], v[40:41], v[36:37], v[0:1] op_sel_hi:[1,0,1]
	s_delay_alu instid0(VALU_DEP_2) | instskip(NEXT) | instid1(VALU_DEP_2)
	v_pk_fma_f32 v[8:9], v[38:39], v[10:11], v[8:9] op_sel:[1,0,0] op_sel_hi:[0,0,1] neg_lo:[1,0,0]
	v_pk_fma_f32 v[0:1], v[18:19], v[10:11], v[0:1] op_sel_hi:[1,0,1]
	s_wait_loadcnt 0xb
	v_xor_b32_e32 v18, 0x80000000, v45
	s_wait_loadcnt 0xa
	v_dual_mov_b32 v19, v44 :: v_dual_mov_b32 v10, v49
	v_pk_fma_f32 v[8:9], v[42:43], v[46:47], v[8:9] op_sel_hi:[1,0,1]
	v_pk_fma_f32 v[0:1], v[44:45], v[46:47], v[0:1] op_sel_hi:[1,0,1]
	s_delay_alu instid0(VALU_DEP_2) | instskip(NEXT) | instid1(VALU_DEP_2)
	v_pk_fma_f32 v[8:9], v[42:43], v[46:47], v[8:9] op_sel:[1,1,0] op_sel_hi:[0,1,1] neg_lo:[1,0,0]
	v_pk_fma_f32 v[0:1], v[18:19], v[46:47], v[0:1] op_sel:[0,1,0]
	s_wait_loadcnt 0x9
	v_xor_b32_e32 v18, 0x80000000, v53
	v_mov_b32_e32 v19, v52
	v_pk_fma_f32 v[8:9], v[50:51], v[48:49], v[8:9] op_sel_hi:[1,0,1]
	v_pk_fma_f32 v[0:1], v[52:53], v[48:49], v[0:1] op_sel_hi:[1,0,1]
	s_delay_alu instid0(VALU_DEP_2) | instskip(NEXT) | instid1(VALU_DEP_2)
	v_pk_fma_f32 v[8:9], v[50:51], v[10:11], v[8:9] op_sel:[1,0,0] op_sel_hi:[0,0,1] neg_lo:[1,0,0]
	v_pk_fma_f32 v[0:1], v[18:19], v[10:11], v[0:1] op_sel_hi:[1,0,1]
	s_wait_loadcnt 0x8
	v_mov_b32_e32 v10, v57
	s_wait_loadcnt 0x7
	v_xor_b32_e32 v18, 0x80000000, v61
	v_mov_b32_e32 v19, v60
	v_pk_fma_f32 v[8:9], v[58:59], v[54:55], v[8:9] op_sel_hi:[1,0,1]
	v_pk_fma_f32 v[0:1], v[60:61], v[54:55], v[0:1] op_sel_hi:[1,0,1]
	s_delay_alu instid0(VALU_DEP_2) | instskip(NEXT) | instid1(VALU_DEP_2)
	v_pk_fma_f32 v[8:9], v[58:59], v[54:55], v[8:9] op_sel:[1,1,0] op_sel_hi:[0,1,1] neg_lo:[1,0,0]
	v_pk_fma_f32 v[0:1], v[18:19], v[54:55], v[0:1] op_sel:[0,1,0]
	s_wait_loadcnt 0x6
	v_xor_b32_e32 v18, 0x80000000, v65
	v_mov_b32_e32 v19, v64
	v_pk_fma_f32 v[8:9], v[62:63], v[56:57], v[8:9] op_sel_hi:[1,0,1]
	v_pk_fma_f32 v[0:1], v[64:65], v[56:57], v[0:1] op_sel_hi:[1,0,1]
	s_delay_alu instid0(VALU_DEP_2) | instskip(NEXT) | instid1(VALU_DEP_2)
	v_pk_fma_f32 v[8:9], v[62:63], v[10:11], v[8:9] op_sel:[1,0,0] op_sel_hi:[0,0,1] neg_lo:[1,0,0]
	v_pk_fma_f32 v[0:1], v[18:19], v[10:11], v[0:1] op_sel_hi:[1,0,1]
	s_wait_loadcnt 0x5
	v_xor_b32_e32 v18, 0x80000000, v69
	s_wait_loadcnt 0x4
	v_dual_mov_b32 v19, v68 :: v_dual_mov_b32 v10, v73
	v_pk_fma_f32 v[8:9], v[66:67], v[70:71], v[8:9] op_sel_hi:[1,0,1]
	v_pk_fma_f32 v[0:1], v[68:69], v[70:71], v[0:1] op_sel_hi:[1,0,1]
	s_delay_alu instid0(VALU_DEP_2) | instskip(NEXT) | instid1(VALU_DEP_2)
	v_pk_fma_f32 v[8:9], v[66:67], v[70:71], v[8:9] op_sel:[1,1,0] op_sel_hi:[0,1,1] neg_lo:[1,0,0]
	v_pk_fma_f32 v[0:1], v[18:19], v[70:71], v[0:1] op_sel:[0,1,0]
	s_wait_loadcnt 0x3
	v_xor_b32_e32 v18, 0x80000000, v77
	v_mov_b32_e32 v19, v76
	v_pk_fma_f32 v[8:9], v[74:75], v[72:73], v[8:9] op_sel_hi:[1,0,1]
	v_pk_fma_f32 v[0:1], v[76:77], v[72:73], v[0:1] op_sel_hi:[1,0,1]
	s_delay_alu instid0(VALU_DEP_2) | instskip(NEXT) | instid1(VALU_DEP_2)
	v_pk_fma_f32 v[8:9], v[74:75], v[10:11], v[8:9] op_sel:[1,0,0] op_sel_hi:[0,0,1] neg_lo:[1,0,0]
	v_pk_fma_f32 v[0:1], v[18:19], v[10:11], v[0:1] op_sel_hi:[1,0,1]
	s_wait_loadcnt 0x1
	v_xor_b32_e32 v18, 0x80000000, v85
	v_dual_mov_b32 v19, v84 :: v_dual_mov_b32 v10, v81
	v_pk_fma_f32 v[8:9], v[82:83], v[78:79], v[8:9] op_sel_hi:[1,0,1]
	v_pk_fma_f32 v[0:1], v[84:85], v[78:79], v[0:1] op_sel_hi:[1,0,1]
	s_delay_alu instid0(VALU_DEP_2) | instskip(NEXT) | instid1(VALU_DEP_2)
	v_pk_fma_f32 v[8:9], v[82:83], v[78:79], v[8:9] op_sel:[1,1,0] op_sel_hi:[0,1,1] neg_lo:[1,0,0]
	v_pk_fma_f32 v[0:1], v[18:19], v[78:79], v[0:1] op_sel:[0,1,0]
	s_wait_loadcnt 0x0
	v_xor_b32_e32 v18, 0x80000000, v89
	v_mov_b32_e32 v19, v88
	v_pk_fma_f32 v[8:9], v[86:87], v[80:81], v[8:9] op_sel_hi:[1,0,1]
	v_pk_fma_f32 v[0:1], v[88:89], v[80:81], v[0:1] op_sel_hi:[1,0,1]
	s_delay_alu instid0(VALU_DEP_2) | instskip(NEXT) | instid1(VALU_DEP_2)
	v_pk_fma_f32 v[8:9], v[86:87], v[10:11], v[8:9] op_sel:[1,0,0] op_sel_hi:[0,0,1] neg_lo:[1,0,0]
	v_pk_fma_f32 v[0:1], v[18:19], v[10:11], v[0:1] op_sel_hi:[1,0,1]
	s_and_not1_b32 exec_lo, exec_lo, s4
	s_cbranch_execnz .LBB206_5
; %bb.6:
	s_or_b32 exec_lo, exec_lo, s4
.LBB206_7:
	s_delay_alu instid0(SALU_CYCLE_1)
	s_or_b32 exec_lo, exec_lo, s3
	s_cbranch_execz .LBB206_9
	s_branch .LBB206_14
.LBB206_8:
                                        ; implicit-def: $vgpr9
                                        ; implicit-def: $vgpr1
.LBB206_9:
	v_mov_b32_e32 v9, 0
	s_delay_alu instid0(VALU_DEP_1)
	v_dual_mov_b32 v8, v9 :: v_dual_mov_b32 v1, v9
	v_mov_b32_e32 v0, v9
	s_and_saveexec_b32 s3, s2
	s_cbranch_execz .LBB206_13
; %bb.10:
	v_mad_u32 v12, v15, 24, 23
	v_mov_b32_e32 v11, 0
	s_mov_b32 s2, 0
	s_delay_alu instid0(VALU_DEP_1)
	v_dual_mov_b32 v0, v11 :: v_dual_mov_b32 v1, v11
	v_dual_mov_b32 v8, v11 :: v_dual_mov_b32 v9, v11
.LBB206_11:                             ; =>This Inner Loop Header: Depth=1
	global_load_b32 v13, v15, s[6:7] scale_offset
	v_subrev_nc_u32_e32 v10, 23, v12
	v_dual_mov_b32 v49, v11 :: v_dual_add_nc_u32 v20, -11, v12
	v_dual_add_nc_u32 v24, -10, v12 :: v_dual_add_nc_u32 v81, -2, v12
	v_add_nc_u32_e32 v82, -13, v12
	s_delay_alu instid0(VALU_DEP_4)
	v_lshl_add_u64 v[50:51], v[10:11], 3, s[8:9]
	v_add_nc_u32_e32 v84, -1, v12
	s_clause 0x1
	global_load_b128 v[16:19], v[50:51], off
	global_load_b64 v[52:53], v20, s[8:9] scale_offset
	s_wait_xcnt 0x2
	v_dual_add_nc_u32 v80, -3, v12 :: v_dual_add_nc_u32 v15, 64, v15
	s_delay_alu instid0(VALU_DEP_1) | instskip(SKIP_4) | instid1(VALU_DEP_2)
	v_cmp_ge_i32_e32 vcc_lo, v15, v14
	s_or_b32 s2, vcc_lo, s2
	s_wait_loadcnt 0x2
	v_subrev_nc_u32_e32 v10, s12, v13
	v_add_nc_u32_e32 v13, -7, v12
	v_mul_lo_u32 v48, v10, 12
	v_add_nc_u32_e32 v10, -9, v12
	s_delay_alu instid0(VALU_DEP_2)
	v_lshl_add_u64 v[32:33], v[48:49], 3, s[10:11]
	global_load_b128 v[20:23], v[32:33], off
	s_clause 0x2
	global_load_b64 v[54:55], v24, s[8:9] scale_offset
	global_load_b64 v[56:57], v10, s[8:9] scale_offset
	global_load_b128 v[24:27], v[50:51], off offset:16
	global_load_b128 v[28:31], v[32:33], off offset:16
	s_wait_xcnt 0x2
	v_dual_add_nc_u32 v10, -8, v12 :: v_dual_add_nc_u32 v49, -14, v12
	global_load_b64 v[58:59], v10, s[8:9] scale_offset
	s_wait_xcnt 0x0
	v_add_nc_u32_e32 v10, 4, v48
	s_delay_alu instid0(VALU_DEP_1)
	v_lshl_add_u64 v[44:45], v[10:11], 3, s[10:11]
	s_clause 0x1
	global_load_b64 v[60:61], v13, s[8:9] scale_offset
	global_load_b128 v[32:35], v[50:51], off offset:32
	s_clause 0x1
	global_load_b128 v[36:39], v[44:45], off
	global_load_b128 v[40:43], v[44:45], off offset:16
	s_wait_xcnt 0x3
	v_dual_add_nc_u32 v10, -6, v12 :: v_dual_add_nc_u32 v13, -15, v12
	global_load_b64 v[62:63], v10, s[8:9] scale_offset
	s_wait_xcnt 0x0
	v_add_nc_u32_e32 v10, -5, v12
	s_clause 0x1
	global_load_b64 v[64:65], v10, s[8:9] scale_offset
	global_load_b128 v[44:47], v[50:51], off offset:48
	s_wait_xcnt 0x1
	v_add_nc_u32_e32 v10, -4, v12
	global_load_b64 v[66:67], v10, s[8:9] scale_offset
	s_wait_xcnt 0x0
	v_add_nc_u32_e32 v10, 8, v48
	s_clause 0x1
	global_load_b64 v[68:69], v13, s[8:9] scale_offset
	global_load_b64 v[70:71], v49, s[8:9] scale_offset
	s_wait_xcnt 0x1
	v_add_nc_u32_e32 v13, -12, v12
	v_lshl_add_u64 v[72:73], v[10:11], 3, s[10:11]
	s_clause 0x2
	global_load_b64 v[74:75], v82, s[8:9] scale_offset
	global_load_b64 v[76:77], v81, s[8:9] scale_offset
	;; [unrolled: 1-line block ×3, first 2 shown]
	global_load_b128 v[48:51], v[72:73], off
	s_wait_loadcnt 0x15
	s_wait_xcnt 0x1
	v_xor_b32_e32 v80, 0x80000000, v19
	v_mov_b32_e32 v81, v18
	s_wait_loadcnt 0x13
	v_pk_fma_f32 v[8:9], v[16:17], v[20:21], v[8:9] op_sel_hi:[1,0,1]
	v_pk_fma_f32 v[0:1], v[52:53], v[20:21], v[0:1] op_sel_hi:[1,0,1]
	v_mov_b32_e32 v10, v23
	s_delay_alu instid0(VALU_DEP_3) | instskip(NEXT) | instid1(VALU_DEP_3)
	v_pk_fma_f32 v[8:9], v[16:17], v[20:21], v[8:9] op_sel:[1,1,0] op_sel_hi:[0,1,1] neg_lo:[1,0,0]
	v_pk_fma_f32 v[0:1], v[52:53], v[20:21], v[0:1] op_sel:[1,1,0] op_sel_hi:[0,1,1] neg_lo:[1,0,0]
	s_delay_alu instid0(VALU_DEP_2)
	v_pk_fma_f32 v[8:9], v[18:19], v[22:23], v[8:9] op_sel_hi:[1,0,1]
	global_load_b64 v[82:83], v84, s[8:9] scale_offset
	global_load_b128 v[16:19], v[72:73], off offset:16
	global_load_b64 v[20:21], v12, s[8:9] scale_offset
	s_wait_loadcnt 0x15
	v_pk_fma_f32 v[0:1], v[54:55], v[22:23], v[0:1] op_sel_hi:[1,0,1]
	global_load_b64 v[22:23], v13, s[8:9] scale_offset
	v_pk_fma_f32 v[8:9], v[80:81], v[10:11], v[8:9] op_sel_hi:[1,0,1]
	s_wait_xcnt 0x1
	v_add_nc_u32_e32 v12, 0x600, v12
	v_pk_fma_f32 v[0:1], v[54:55], v[10:11], v[0:1] op_sel:[1,0,0] op_sel_hi:[0,0,1] neg_lo:[1,0,0]
	s_wait_loadcnt 0x13
	v_mov_b32_e32 v10, v31
	v_pk_fma_f32 v[8:9], v[24:25], v[28:29], v[8:9] op_sel_hi:[1,0,1]
	s_delay_alu instid0(VALU_DEP_3) | instskip(NEXT) | instid1(VALU_DEP_2)
	v_pk_fma_f32 v[0:1], v[56:57], v[28:29], v[0:1] op_sel_hi:[1,0,1]
	v_pk_fma_f32 v[8:9], v[24:25], v[28:29], v[8:9] op_sel:[1,1,0] op_sel_hi:[0,1,1] neg_lo:[1,0,0]
	v_xor_b32_e32 v24, 0x80000000, v27
	v_mov_b32_e32 v25, v26
	s_delay_alu instid0(VALU_DEP_4) | instskip(NEXT) | instid1(VALU_DEP_4)
	v_pk_fma_f32 v[0:1], v[56:57], v[28:29], v[0:1] op_sel:[1,1,0] op_sel_hi:[0,1,1] neg_lo:[1,0,0]
	v_pk_fma_f32 v[8:9], v[26:27], v[30:31], v[8:9] op_sel_hi:[1,0,1]
	s_wait_loadcnt 0x12
	s_delay_alu instid0(VALU_DEP_2) | instskip(NEXT) | instid1(VALU_DEP_2)
	v_pk_fma_f32 v[0:1], v[58:59], v[30:31], v[0:1] op_sel_hi:[1,0,1]
	v_pk_fma_f32 v[8:9], v[24:25], v[10:11], v[8:9] op_sel_hi:[1,0,1]
	s_wait_loadcnt 0x10
	v_xor_b32_e32 v24, 0x80000000, v35
	v_mov_b32_e32 v25, v34
	v_pk_fma_f32 v[0:1], v[58:59], v[10:11], v[0:1] op_sel:[1,0,0] op_sel_hi:[0,0,1] neg_lo:[1,0,0]
	s_wait_loadcnt 0xf
	v_mov_b32_e32 v10, v39
	v_pk_fma_f32 v[8:9], v[32:33], v[36:37], v[8:9] op_sel_hi:[1,0,1]
	s_delay_alu instid0(VALU_DEP_3) | instskip(NEXT) | instid1(VALU_DEP_2)
	v_pk_fma_f32 v[0:1], v[60:61], v[36:37], v[0:1] op_sel_hi:[1,0,1]
	v_pk_fma_f32 v[8:9], v[32:33], v[36:37], v[8:9] op_sel:[1,1,0] op_sel_hi:[0,1,1] neg_lo:[1,0,0]
	s_delay_alu instid0(VALU_DEP_2) | instskip(NEXT) | instid1(VALU_DEP_2)
	v_pk_fma_f32 v[0:1], v[60:61], v[36:37], v[0:1] op_sel:[1,1,0] op_sel_hi:[0,1,1] neg_lo:[1,0,0]
	v_pk_fma_f32 v[8:9], v[34:35], v[38:39], v[8:9] op_sel_hi:[1,0,1]
	s_wait_loadcnt 0xd
	s_delay_alu instid0(VALU_DEP_2) | instskip(NEXT) | instid1(VALU_DEP_2)
	v_pk_fma_f32 v[0:1], v[62:63], v[38:39], v[0:1] op_sel_hi:[1,0,1]
	v_pk_fma_f32 v[8:9], v[24:25], v[10:11], v[8:9] op_sel_hi:[1,0,1]
	s_wait_loadcnt 0xb
	v_xor_b32_e32 v24, 0x80000000, v47
	v_mov_b32_e32 v25, v46
	v_pk_fma_f32 v[0:1], v[62:63], v[10:11], v[0:1] op_sel:[1,0,0] op_sel_hi:[0,0,1] neg_lo:[1,0,0]
	v_mov_b32_e32 v10, v43
	v_pk_fma_f32 v[8:9], v[44:45], v[40:41], v[8:9] op_sel_hi:[1,0,1]
	s_delay_alu instid0(VALU_DEP_3) | instskip(NEXT) | instid1(VALU_DEP_2)
	v_pk_fma_f32 v[0:1], v[64:65], v[40:41], v[0:1] op_sel_hi:[1,0,1]
	v_pk_fma_f32 v[8:9], v[44:45], v[40:41], v[8:9] op_sel:[1,1,0] op_sel_hi:[0,1,1] neg_lo:[1,0,0]
	s_delay_alu instid0(VALU_DEP_2) | instskip(NEXT) | instid1(VALU_DEP_2)
	v_pk_fma_f32 v[0:1], v[64:65], v[40:41], v[0:1] op_sel:[1,1,0] op_sel_hi:[0,1,1] neg_lo:[1,0,0]
	v_pk_fma_f32 v[8:9], v[46:47], v[42:43], v[8:9] op_sel_hi:[1,0,1]
	s_wait_loadcnt 0xa
	s_delay_alu instid0(VALU_DEP_2) | instskip(NEXT) | instid1(VALU_DEP_2)
	v_pk_fma_f32 v[0:1], v[66:67], v[42:43], v[0:1] op_sel_hi:[1,0,1]
	v_pk_fma_f32 v[8:9], v[24:25], v[10:11], v[8:9] op_sel_hi:[1,0,1]
	s_delay_alu instid0(VALU_DEP_2) | instskip(SKIP_2) | instid1(VALU_DEP_3)
	v_pk_fma_f32 v[0:1], v[66:67], v[10:11], v[0:1] op_sel:[1,0,0] op_sel_hi:[0,0,1] neg_lo:[1,0,0]
	s_wait_loadcnt 0x4
	v_mov_b32_e32 v10, v51
	v_pk_fma_f32 v[8:9], v[68:69], v[48:49], v[8:9] op_sel_hi:[1,0,1]
	s_delay_alu instid0(VALU_DEP_3) | instskip(NEXT) | instid1(VALU_DEP_2)
	v_pk_fma_f32 v[0:1], v[78:79], v[48:49], v[0:1] op_sel_hi:[1,0,1]
	v_pk_fma_f32 v[8:9], v[68:69], v[48:49], v[8:9] op_sel:[1,1,0] op_sel_hi:[0,1,1] neg_lo:[1,0,0]
	s_delay_alu instid0(VALU_DEP_2) | instskip(NEXT) | instid1(VALU_DEP_2)
	v_pk_fma_f32 v[0:1], v[78:79], v[48:49], v[0:1] op_sel:[1,1,0] op_sel_hi:[0,1,1] neg_lo:[1,0,0]
	v_pk_fma_f32 v[8:9], v[70:71], v[50:51], v[8:9] op_sel_hi:[1,0,1]
	s_delay_alu instid0(VALU_DEP_2) | instskip(NEXT) | instid1(VALU_DEP_2)
	v_pk_fma_f32 v[0:1], v[76:77], v[50:51], v[0:1] op_sel_hi:[1,0,1]
	v_pk_fma_f32 v[8:9], v[70:71], v[10:11], v[8:9] op_sel:[1,0,0] op_sel_hi:[0,0,1] neg_lo:[1,0,0]
	s_delay_alu instid0(VALU_DEP_2) | instskip(SKIP_1) | instid1(VALU_DEP_2)
	v_pk_fma_f32 v[0:1], v[76:77], v[10:11], v[0:1] op_sel:[1,0,0] op_sel_hi:[0,0,1] neg_lo:[1,0,0]
	s_wait_loadcnt 0x2
	v_pk_fma_f32 v[8:9], v[74:75], v[16:17], v[8:9] op_sel_hi:[1,0,1]
	s_delay_alu instid0(VALU_DEP_2) | instskip(SKIP_1) | instid1(VALU_DEP_3)
	v_pk_fma_f32 v[0:1], v[82:83], v[16:17], v[0:1] op_sel_hi:[1,0,1]
	v_mov_b32_e32 v10, v19
	v_pk_fma_f32 v[8:9], v[74:75], v[16:17], v[8:9] op_sel:[1,1,0] op_sel_hi:[0,1,1] neg_lo:[1,0,0]
	s_delay_alu instid0(VALU_DEP_3) | instskip(SKIP_1) | instid1(VALU_DEP_2)
	v_pk_fma_f32 v[0:1], v[82:83], v[16:17], v[0:1] op_sel:[1,1,0] op_sel_hi:[0,1,1] neg_lo:[1,0,0]
	s_wait_loadcnt 0x0
	v_pk_fma_f32 v[8:9], v[22:23], v[18:19], v[8:9] op_sel_hi:[1,0,1]
	s_delay_alu instid0(VALU_DEP_2) | instskip(NEXT) | instid1(VALU_DEP_2)
	v_pk_fma_f32 v[0:1], v[20:21], v[18:19], v[0:1] op_sel_hi:[1,0,1]
	v_pk_fma_f32 v[8:9], v[22:23], v[10:11], v[8:9] op_sel:[1,0,0] op_sel_hi:[0,0,1] neg_lo:[1,0,0]
	s_delay_alu instid0(VALU_DEP_2)
	v_pk_fma_f32 v[0:1], v[20:21], v[10:11], v[0:1] op_sel:[1,0,0] op_sel_hi:[0,0,1] neg_lo:[1,0,0]
	s_and_not1_b32 exec_lo, exec_lo, s2
	s_cbranch_execnz .LBB206_11
; %bb.12:
	s_or_b32 exec_lo, exec_lo, s2
.LBB206_13:
	s_delay_alu instid0(SALU_CYCLE_1)
	s_or_b32 exec_lo, exec_lo, s3
.LBB206_14:
	v_mbcnt_lo_u32_b32 v10, -1, 0
	s_delay_alu instid0(VALU_DEP_1) | instskip(SKIP_1) | instid1(VALU_DEP_1)
	v_xor_b32_e32 v15, 16, v10
	v_or_b32_e32 v11, 32, v10
	v_cmp_gt_i32_e32 vcc_lo, 32, v11
	v_cndmask_b32_e32 v11, v10, v11, vcc_lo
	s_delay_alu instid0(VALU_DEP_1)
	v_lshlrev_b32_e32 v11, 2, v11
	ds_bpermute_b32 v13, v11, v9
	s_wait_dscnt 0x0
	v_add_f32_e32 v9, v9, v13
	ds_bpermute_b32 v12, v11, v8
	ds_bpermute_b32 v14, v11, v0
	;; [unrolled: 1-line block ×3, first 2 shown]
	s_wait_dscnt 0x2
	v_add_f32_e32 v8, v8, v12
	s_wait_dscnt 0x0
	v_dual_add_f32 v0, v0, v14 :: v_dual_add_f32 v1, v1, v11
	v_cmp_gt_i32_e32 vcc_lo, 32, v15
	v_cndmask_b32_e32 v15, v10, v15, vcc_lo
	s_delay_alu instid0(VALU_DEP_1)
	v_lshlrev_b32_e32 v15, 2, v15
	ds_bpermute_b32 v11, v15, v8
	ds_bpermute_b32 v12, v15, v9
	;; [unrolled: 1-line block ×4, first 2 shown]
	s_wait_dscnt 0x3
	v_dual_add_f32 v8, v8, v11 :: v_dual_bitop2_b32 v15, 8, v10 bitop3:0x14
	s_delay_alu instid0(VALU_DEP_1)
	v_cmp_gt_i32_e32 vcc_lo, 32, v15
	s_wait_dscnt 0x2
	v_add_f32_e32 v9, v9, v12
	s_wait_dscnt 0x0
	v_dual_add_f32 v1, v1, v14 :: v_dual_add_f32 v0, v0, v13
	v_cndmask_b32_e32 v15, v10, v15, vcc_lo
	s_delay_alu instid0(VALU_DEP_1)
	v_lshlrev_b32_e32 v15, 2, v15
	ds_bpermute_b32 v11, v15, v8
	ds_bpermute_b32 v12, v15, v9
	;; [unrolled: 1-line block ×4, first 2 shown]
	s_wait_dscnt 0x3
	v_dual_add_f32 v8, v8, v11 :: v_dual_bitop2_b32 v15, 4, v10 bitop3:0x14
	s_delay_alu instid0(VALU_DEP_1) | instskip(SKIP_4) | instid1(VALU_DEP_2)
	v_cmp_gt_i32_e32 vcc_lo, 32, v15
	s_wait_dscnt 0x2
	v_dual_add_f32 v9, v9, v12 :: v_dual_cndmask_b32 v15, v10, v15, vcc_lo
	s_wait_dscnt 0x0
	v_dual_add_f32 v0, v0, v13 :: v_dual_add_f32 v1, v1, v14
	v_lshlrev_b32_e32 v15, 2, v15
	ds_bpermute_b32 v11, v15, v8
	ds_bpermute_b32 v12, v15, v9
	;; [unrolled: 1-line block ×4, first 2 shown]
	s_wait_dscnt 0x3
	v_dual_add_f32 v8, v8, v11 :: v_dual_bitop2_b32 v15, 2, v10 bitop3:0x14
	s_delay_alu instid0(VALU_DEP_1) | instskip(SKIP_4) | instid1(VALU_DEP_1)
	v_cmp_gt_i32_e32 vcc_lo, 32, v15
	s_wait_dscnt 0x1
	v_dual_add_f32 v9, v9, v12 :: v_dual_add_f32 v11, v0, v13
	s_wait_dscnt 0x0
	v_dual_add_f32 v12, v1, v14 :: v_dual_cndmask_b32 v15, v10, v15
	v_lshlrev_b32_e32 v15, 2, v15
	ds_bpermute_b32 v0, v15, v8
	ds_bpermute_b32 v1, v15, v9
	;; [unrolled: 1-line block ×4, first 2 shown]
	s_wait_dscnt 0x3
	v_dual_add_f32 v0, v8, v0 :: v_dual_bitop2_b32 v15, 1, v10 bitop3:0x14
	s_delay_alu instid0(VALU_DEP_1)
	v_cmp_gt_i32_e32 vcc_lo, 32, v15
	s_wait_dscnt 0x2
	v_dual_add_f32 v8, v9, v1 :: v_dual_cndmask_b32 v10, v10, v15, vcc_lo
	s_wait_dscnt 0x0
	v_dual_add_f32 v1, v11, v13 :: v_dual_add_f32 v9, v12, v14
	v_cmp_eq_u32_e32 vcc_lo, 63, v7
	s_delay_alu instid0(VALU_DEP_3)
	v_lshlrev_b32_e32 v15, 2, v10
	ds_bpermute_b32 v12, v15, v0
	ds_bpermute_b32 v13, v15, v8
	;; [unrolled: 1-line block ×4, first 2 shown]
	s_and_b32 exec_lo, exec_lo, vcc_lo
	s_cbranch_execz .LBB206_19
; %bb.15:
	s_load_b64 s[2:3], s[0:1], 0x38
	v_cmp_eq_f32_e32 vcc_lo, 0, v4
	s_wait_xcnt 0x0
	v_cmp_eq_f32_e64 s0, 0, v5
	s_wait_dscnt 0x3
	v_add_f32_e32 v0, v0, v12
	s_wait_dscnt 0x1
	v_dual_add_f32 v12, v8, v13 :: v_dual_add_f32 v8, v1, v10
	s_wait_dscnt 0x0
	v_add_f32_e32 v10, v9, v11
	s_and_b32 s0, vcc_lo, s0
	s_delay_alu instid0(SALU_CYCLE_1) | instskip(NEXT) | instid1(SALU_CYCLE_1)
	s_and_saveexec_b32 s1, s0
	s_xor_b32 s0, exec_lo, s1
	s_cbranch_execz .LBB206_17
; %bb.16:
	v_xor_b32_e32 v4, 0x80000000, v3
	v_dual_mov_b32 v5, v2 :: v_dual_lshlrev_b32 v6, 1, v6
	s_delay_alu instid0(VALU_DEP_1) | instskip(NEXT) | instid1(VALU_DEP_2)
	v_ashrrev_i32_e32 v7, 31, v6
	v_pk_mul_f32 v[12:13], v[12:13], v[4:5] op_sel_hi:[0,1]
	v_pk_mul_f32 v[4:5], v[10:11], v[4:5] op_sel_hi:[0,1]
                                        ; implicit-def: $vgpr10
	s_wait_kmcnt 0x0
	s_delay_alu instid0(VALU_DEP_3) | instskip(NEXT) | instid1(VALU_DEP_3)
	v_lshl_add_u64 v[6:7], v[6:7], 3, s[2:3]
	v_pk_fma_f32 v[0:1], v[2:3], v[0:1], v[12:13] op_sel_hi:[1,0,1]
	s_delay_alu instid0(VALU_DEP_3)
	v_pk_fma_f32 v[2:3], v[2:3], v[8:9], v[4:5] op_sel_hi:[1,0,1]
                                        ; implicit-def: $vgpr4_vgpr5
                                        ; implicit-def: $vgpr12
                                        ; implicit-def: $vgpr8
	global_store_b128 v[6:7], v[0:3], off
                                        ; implicit-def: $vgpr6
                                        ; implicit-def: $vgpr2_vgpr3
                                        ; implicit-def: $vgpr0
.LBB206_17:
	s_wait_xcnt 0x0
	s_and_not1_saveexec_b32 s0, s0
	s_cbranch_execz .LBB206_19
; %bb.18:
	v_dual_mov_b32 v19, v2 :: v_dual_lshlrev_b32 v6, 1, v6
	v_xor_b32_e32 v18, 0x80000000, v3
	s_delay_alu instid0(VALU_DEP_2) | instskip(NEXT) | instid1(VALU_DEP_2)
	v_ashrrev_i32_e32 v7, 31, v6
	v_pk_mul_f32 v[12:13], v[12:13], v[18:19] op_sel_hi:[0,1]
	v_pk_mul_f32 v[10:11], v[10:11], v[18:19] op_sel_hi:[0,1]
	s_delay_alu instid0(VALU_DEP_2) | instskip(NEXT) | instid1(VALU_DEP_2)
	v_pk_fma_f32 v[0:1], v[2:3], v[0:1], v[12:13] op_sel_hi:[1,0,1]
	v_pk_fma_f32 v[2:3], v[2:3], v[8:9], v[10:11] op_sel_hi:[1,0,1]
	v_mov_b32_e32 v9, v4
	s_wait_kmcnt 0x0
	v_lshl_add_u64 v[6:7], v[6:7], 3, s[2:3]
	v_xor_b32_e32 v8, 0x80000000, v5
	global_load_b128 v[14:17], v[6:7], off
	s_wait_loadcnt 0x0
	v_pk_fma_f32 v[0:1], v[4:5], v[14:15], v[0:1] op_sel_hi:[1,0,1]
	v_pk_fma_f32 v[2:3], v[4:5], v[16:17], v[2:3] op_sel_hi:[1,0,1]
	v_mov_b32_e32 v4, v17
	s_delay_alu instid0(VALU_DEP_3) | instskip(NEXT) | instid1(VALU_DEP_2)
	v_pk_fma_f32 v[0:1], v[8:9], v[14:15], v[0:1] op_sel:[0,1,0]
	v_pk_fma_f32 v[2:3], v[8:9], v[4:5], v[2:3] op_sel_hi:[1,0,1]
	global_store_b128 v[6:7], v[0:3], off
.LBB206_19:
	s_sendmsg sendmsg(MSG_DEALLOC_VGPRS)
	s_endpgm
	.section	.rodata,"a",@progbits
	.p2align	6, 0x0
	.amdhsa_kernel _ZN9rocsparseL19gebsrmvn_2xn_kernelILj128ELj12ELj64E21rocsparse_complex_numIfEEEvi20rocsparse_direction_NS_24const_host_device_scalarIT2_EEPKiS8_PKS5_SA_S6_PS5_21rocsparse_index_base_b
		.amdhsa_group_segment_fixed_size 0
		.amdhsa_private_segment_fixed_size 0
		.amdhsa_kernarg_size 72
		.amdhsa_user_sgpr_count 2
		.amdhsa_user_sgpr_dispatch_ptr 0
		.amdhsa_user_sgpr_queue_ptr 0
		.amdhsa_user_sgpr_kernarg_segment_ptr 1
		.amdhsa_user_sgpr_dispatch_id 0
		.amdhsa_user_sgpr_kernarg_preload_length 0
		.amdhsa_user_sgpr_kernarg_preload_offset 0
		.amdhsa_user_sgpr_private_segment_size 0
		.amdhsa_wavefront_size32 1
		.amdhsa_uses_dynamic_stack 0
		.amdhsa_enable_private_segment 0
		.amdhsa_system_sgpr_workgroup_id_x 1
		.amdhsa_system_sgpr_workgroup_id_y 0
		.amdhsa_system_sgpr_workgroup_id_z 0
		.amdhsa_system_sgpr_workgroup_info 0
		.amdhsa_system_vgpr_workitem_id 0
		.amdhsa_next_free_vgpr 92
		.amdhsa_next_free_sgpr 14
		.amdhsa_named_barrier_count 0
		.amdhsa_reserve_vcc 1
		.amdhsa_float_round_mode_32 0
		.amdhsa_float_round_mode_16_64 0
		.amdhsa_float_denorm_mode_32 3
		.amdhsa_float_denorm_mode_16_64 3
		.amdhsa_fp16_overflow 0
		.amdhsa_memory_ordered 1
		.amdhsa_forward_progress 1
		.amdhsa_inst_pref_size 29
		.amdhsa_round_robin_scheduling 0
		.amdhsa_exception_fp_ieee_invalid_op 0
		.amdhsa_exception_fp_denorm_src 0
		.amdhsa_exception_fp_ieee_div_zero 0
		.amdhsa_exception_fp_ieee_overflow 0
		.amdhsa_exception_fp_ieee_underflow 0
		.amdhsa_exception_fp_ieee_inexact 0
		.amdhsa_exception_int_div_zero 0
	.end_amdhsa_kernel
	.section	.text._ZN9rocsparseL19gebsrmvn_2xn_kernelILj128ELj12ELj64E21rocsparse_complex_numIfEEEvi20rocsparse_direction_NS_24const_host_device_scalarIT2_EEPKiS8_PKS5_SA_S6_PS5_21rocsparse_index_base_b,"axG",@progbits,_ZN9rocsparseL19gebsrmvn_2xn_kernelILj128ELj12ELj64E21rocsparse_complex_numIfEEEvi20rocsparse_direction_NS_24const_host_device_scalarIT2_EEPKiS8_PKS5_SA_S6_PS5_21rocsparse_index_base_b,comdat
.Lfunc_end206:
	.size	_ZN9rocsparseL19gebsrmvn_2xn_kernelILj128ELj12ELj64E21rocsparse_complex_numIfEEEvi20rocsparse_direction_NS_24const_host_device_scalarIT2_EEPKiS8_PKS5_SA_S6_PS5_21rocsparse_index_base_b, .Lfunc_end206-_ZN9rocsparseL19gebsrmvn_2xn_kernelILj128ELj12ELj64E21rocsparse_complex_numIfEEEvi20rocsparse_direction_NS_24const_host_device_scalarIT2_EEPKiS8_PKS5_SA_S6_PS5_21rocsparse_index_base_b
                                        ; -- End function
	.set _ZN9rocsparseL19gebsrmvn_2xn_kernelILj128ELj12ELj64E21rocsparse_complex_numIfEEEvi20rocsparse_direction_NS_24const_host_device_scalarIT2_EEPKiS8_PKS5_SA_S6_PS5_21rocsparse_index_base_b.num_vgpr, 92
	.set _ZN9rocsparseL19gebsrmvn_2xn_kernelILj128ELj12ELj64E21rocsparse_complex_numIfEEEvi20rocsparse_direction_NS_24const_host_device_scalarIT2_EEPKiS8_PKS5_SA_S6_PS5_21rocsparse_index_base_b.num_agpr, 0
	.set _ZN9rocsparseL19gebsrmvn_2xn_kernelILj128ELj12ELj64E21rocsparse_complex_numIfEEEvi20rocsparse_direction_NS_24const_host_device_scalarIT2_EEPKiS8_PKS5_SA_S6_PS5_21rocsparse_index_base_b.numbered_sgpr, 14
	.set _ZN9rocsparseL19gebsrmvn_2xn_kernelILj128ELj12ELj64E21rocsparse_complex_numIfEEEvi20rocsparse_direction_NS_24const_host_device_scalarIT2_EEPKiS8_PKS5_SA_S6_PS5_21rocsparse_index_base_b.num_named_barrier, 0
	.set _ZN9rocsparseL19gebsrmvn_2xn_kernelILj128ELj12ELj64E21rocsparse_complex_numIfEEEvi20rocsparse_direction_NS_24const_host_device_scalarIT2_EEPKiS8_PKS5_SA_S6_PS5_21rocsparse_index_base_b.private_seg_size, 0
	.set _ZN9rocsparseL19gebsrmvn_2xn_kernelILj128ELj12ELj64E21rocsparse_complex_numIfEEEvi20rocsparse_direction_NS_24const_host_device_scalarIT2_EEPKiS8_PKS5_SA_S6_PS5_21rocsparse_index_base_b.uses_vcc, 1
	.set _ZN9rocsparseL19gebsrmvn_2xn_kernelILj128ELj12ELj64E21rocsparse_complex_numIfEEEvi20rocsparse_direction_NS_24const_host_device_scalarIT2_EEPKiS8_PKS5_SA_S6_PS5_21rocsparse_index_base_b.uses_flat_scratch, 1
	.set _ZN9rocsparseL19gebsrmvn_2xn_kernelILj128ELj12ELj64E21rocsparse_complex_numIfEEEvi20rocsparse_direction_NS_24const_host_device_scalarIT2_EEPKiS8_PKS5_SA_S6_PS5_21rocsparse_index_base_b.has_dyn_sized_stack, 0
	.set _ZN9rocsparseL19gebsrmvn_2xn_kernelILj128ELj12ELj64E21rocsparse_complex_numIfEEEvi20rocsparse_direction_NS_24const_host_device_scalarIT2_EEPKiS8_PKS5_SA_S6_PS5_21rocsparse_index_base_b.has_recursion, 0
	.set _ZN9rocsparseL19gebsrmvn_2xn_kernelILj128ELj12ELj64E21rocsparse_complex_numIfEEEvi20rocsparse_direction_NS_24const_host_device_scalarIT2_EEPKiS8_PKS5_SA_S6_PS5_21rocsparse_index_base_b.has_indirect_call, 0
	.section	.AMDGPU.csdata,"",@progbits
; Kernel info:
; codeLenInByte = 3612
; TotalNumSgprs: 16
; NumVgprs: 92
; ScratchSize: 0
; MemoryBound: 0
; FloatMode: 240
; IeeeMode: 1
; LDSByteSize: 0 bytes/workgroup (compile time only)
; SGPRBlocks: 0
; VGPRBlocks: 5
; NumSGPRsForWavesPerEU: 16
; NumVGPRsForWavesPerEU: 92
; NamedBarCnt: 0
; Occupancy: 10
; WaveLimiterHint : 1
; COMPUTE_PGM_RSRC2:SCRATCH_EN: 0
; COMPUTE_PGM_RSRC2:USER_SGPR: 2
; COMPUTE_PGM_RSRC2:TRAP_HANDLER: 0
; COMPUTE_PGM_RSRC2:TGID_X_EN: 1
; COMPUTE_PGM_RSRC2:TGID_Y_EN: 0
; COMPUTE_PGM_RSRC2:TGID_Z_EN: 0
; COMPUTE_PGM_RSRC2:TIDIG_COMP_CNT: 0
	.section	.text._ZN9rocsparseL19gebsrmvn_2xn_kernelILj128ELj13ELj4E21rocsparse_complex_numIfEEEvi20rocsparse_direction_NS_24const_host_device_scalarIT2_EEPKiS8_PKS5_SA_S6_PS5_21rocsparse_index_base_b,"axG",@progbits,_ZN9rocsparseL19gebsrmvn_2xn_kernelILj128ELj13ELj4E21rocsparse_complex_numIfEEEvi20rocsparse_direction_NS_24const_host_device_scalarIT2_EEPKiS8_PKS5_SA_S6_PS5_21rocsparse_index_base_b,comdat
	.globl	_ZN9rocsparseL19gebsrmvn_2xn_kernelILj128ELj13ELj4E21rocsparse_complex_numIfEEEvi20rocsparse_direction_NS_24const_host_device_scalarIT2_EEPKiS8_PKS5_SA_S6_PS5_21rocsparse_index_base_b ; -- Begin function _ZN9rocsparseL19gebsrmvn_2xn_kernelILj128ELj13ELj4E21rocsparse_complex_numIfEEEvi20rocsparse_direction_NS_24const_host_device_scalarIT2_EEPKiS8_PKS5_SA_S6_PS5_21rocsparse_index_base_b
	.p2align	8
	.type	_ZN9rocsparseL19gebsrmvn_2xn_kernelILj128ELj13ELj4E21rocsparse_complex_numIfEEEvi20rocsparse_direction_NS_24const_host_device_scalarIT2_EEPKiS8_PKS5_SA_S6_PS5_21rocsparse_index_base_b,@function
_ZN9rocsparseL19gebsrmvn_2xn_kernelILj128ELj13ELj4E21rocsparse_complex_numIfEEEvi20rocsparse_direction_NS_24const_host_device_scalarIT2_EEPKiS8_PKS5_SA_S6_PS5_21rocsparse_index_base_b: ; @_ZN9rocsparseL19gebsrmvn_2xn_kernelILj128ELj13ELj4E21rocsparse_complex_numIfEEEvi20rocsparse_direction_NS_24const_host_device_scalarIT2_EEPKiS8_PKS5_SA_S6_PS5_21rocsparse_index_base_b
; %bb.0:
	s_clause 0x2
	s_load_b64 s[12:13], s[0:1], 0x40
	s_load_b64 s[2:3], s[0:1], 0x8
	;; [unrolled: 1-line block ×3, first 2 shown]
	v_mov_b32_e32 v1, 0
	s_add_nc_u64 s[6:7], s[0:1], 8
	s_add_nc_u64 s[8:9], s[0:1], 48
	s_wait_kmcnt 0x0
	s_bitcmp1_b32 s13, 0
	s_cselect_b32 s3, s7, s3
	s_cselect_b32 s2, s6, s2
	s_cselect_b32 s5, s9, s5
	s_cselect_b32 s4, s8, s4
	s_clause 0x1
	flat_load_b64 v[2:3], v1, s[2:3]
	flat_load_b64 v[4:5], v1, s[4:5]
	s_wait_loadcnt_dscnt 0x101
	v_cmp_eq_f32_e32 vcc_lo, 0, v2
	v_cmp_eq_f32_e64 s2, 0, v3
	s_wait_loadcnt_dscnt 0x0
	v_cmp_eq_f32_e64 s3, 1.0, v4
	v_cmp_eq_f32_e64 s4, 0, v5
	s_and_b32 s2, vcc_lo, s2
	s_and_b32 s3, s3, s4
	s_delay_alu instid0(SALU_CYCLE_1) | instskip(NEXT) | instid1(SALU_CYCLE_1)
	s_and_b32 s2, s2, s3
	s_xor_b32 s2, s2, -1
	s_delay_alu instid0(SALU_CYCLE_1)
	s_and_saveexec_b32 s3, s2
	s_cbranch_execz .LBB207_19
; %bb.1:
	s_load_b64 s[2:3], s[0:1], 0x0
	s_bfe_u32 s4, ttmp6, 0x4000c
	s_and_b32 s5, ttmp6, 15
	s_add_co_i32 s4, s4, 1
	s_getreg_b32 s6, hwreg(HW_REG_IB_STS2, 6, 4)
	s_mul_i32 s4, ttmp9, s4
	v_lshrrev_b32_e32 v1, 2, v0
	s_add_co_i32 s5, s5, s4
	s_cmp_eq_u32 s6, 0
	s_cselect_b32 s4, ttmp9, s5
	s_delay_alu instid0(VALU_DEP_1) | instid1(SALU_CYCLE_1)
	v_lshl_or_b32 v6, s4, 5, v1
	s_wait_kmcnt 0x0
	s_delay_alu instid0(VALU_DEP_1)
	v_cmp_gt_i32_e32 vcc_lo, s2, v6
	s_and_b32 exec_lo, exec_lo, vcc_lo
	s_cbranch_execz .LBB207_19
; %bb.2:
	s_load_b256 s[4:11], s[0:1], 0x10
	v_ashrrev_i32_e32 v7, 31, v6
	s_cmp_lg_u32 s3, 0
	s_wait_kmcnt 0x0
	s_delay_alu instid0(VALU_DEP_1)
	v_lshl_add_u64 v[8:9], v[6:7], 2, s[4:5]
	v_and_b32_e32 v7, 3, v0
	global_load_b64 v[8:9], v[8:9], off
	s_wait_loadcnt 0x0
	v_subrev_nc_u32_e32 v0, s12, v8
	v_subrev_nc_u32_e32 v12, s12, v9
	s_delay_alu instid0(VALU_DEP_2) | instskip(NEXT) | instid1(VALU_DEP_1)
	v_add_nc_u32_e32 v13, v0, v7
	v_cmp_lt_i32_e64 s2, v13, v12
	s_cbranch_scc0 .LBB207_8
; %bb.3:
	v_mov_b32_e32 v1, 0
	s_delay_alu instid0(VALU_DEP_1)
	v_dual_mov_b32 v0, v1 :: v_dual_mov_b32 v9, v1
	v_mov_b32_e32 v8, v1
	s_and_saveexec_b32 s3, s2
	s_cbranch_execz .LBB207_7
; %bb.4:
	v_mul_lo_u32 v10, v13, 26
	v_dual_mov_b32 v11, 0 :: v_dual_mov_b32 v14, v13
	s_mov_b32 s4, 0
	s_delay_alu instid0(VALU_DEP_1)
	v_dual_mov_b32 v8, v11 :: v_dual_mov_b32 v9, v11
	v_dual_mov_b32 v0, v11 :: v_dual_mov_b32 v1, v11
.LBB207_5:                              ; =>This Inner Loop Header: Depth=1
	global_load_b32 v15, v14, s[6:7] scale_offset
	v_lshl_add_u64 v[20:21], v[10:11], 3, s[8:9]
	v_dual_mov_b32 v23, v11 :: v_dual_add_nc_u32 v22, 2, v10
	v_dual_mov_b32 v25, v11 :: v_dual_mov_b32 v33, v11
	v_dual_mov_b32 v41, v11 :: v_dual_mov_b32 v49, v11
	s_delay_alu instid0(VALU_DEP_3)
	v_lshl_add_u64 v[26:27], v[22:23], 3, s[8:9]
	v_dual_mov_b32 v57, v11 :: v_dual_mov_b32 v29, v11
	v_dual_mov_b32 v37, v11 :: v_dual_mov_b32 v45, v11
	;; [unrolled: 1-line block ×3, first 2 shown]
	s_wait_xcnt 0x0
	v_add_nc_u32_e32 v14, 4, v14
	s_delay_alu instid0(VALU_DEP_1) | instskip(SKIP_3) | instid1(VALU_DEP_1)
	v_cmp_ge_i32_e32 vcc_lo, v14, v12
	s_or_b32 s4, vcc_lo, s4
	s_wait_loadcnt 0x0
	v_subrev_nc_u32_e32 v15, s12, v15
	v_mul_lo_u32 v15, v15, 13
	global_load_b128 v[16:19], v[20:21], off
	global_load_b64 v[68:69], v15, s[10:11] scale_offset
	v_dual_add_nc_u32 v24, 4, v10 :: v_dual_add_nc_u32 v28, 1, v15
	global_load_b128 v[20:23], v[26:27], off
	global_load_b64 v[70:71], v28, s[10:11] scale_offset
	s_wait_xcnt 0x0
	v_add_nc_u32_e32 v28, 6, v10
	v_lshl_add_u64 v[30:31], v[24:25], 3, s[8:9]
	v_add_nc_u32_e32 v32, 2, v15
	global_load_b128 v[24:27], v[30:31], off
	global_load_b64 v[72:73], v32, s[10:11] scale_offset
	v_lshl_add_u64 v[34:35], v[28:29], 3, s[8:9]
	s_wait_xcnt 0x0
	v_dual_add_nc_u32 v32, 8, v10 :: v_dual_add_nc_u32 v36, 3, v15
	global_load_b128 v[28:31], v[34:35], off
	global_load_b64 v[74:75], v36, s[10:11] scale_offset
	s_wait_xcnt 0x0
	v_add_nc_u32_e32 v36, 10, v10
	v_lshl_add_u64 v[38:39], v[32:33], 3, s[8:9]
	v_add_nc_u32_e32 v40, 4, v15
	global_load_b128 v[32:35], v[38:39], off
	global_load_b64 v[76:77], v40, s[10:11] scale_offset
	v_lshl_add_u64 v[42:43], v[36:37], 3, s[8:9]
	s_wait_xcnt 0x0
	;; [unrolled: 11-line block ×5, first 2 shown]
	v_dual_add_nc_u32 v64, 24, v10 :: v_dual_add_nc_u32 v92, 11, v15
	v_dual_mov_b32 v65, v11 :: v_dual_add_nc_u32 v15, 12, v15
	global_load_b128 v[60:63], v[66:67], off
	global_load_b64 v[90:91], v92, s[10:11] scale_offset
	v_add_nc_u32_e32 v10, 0x68, v10
	s_wait_xcnt 0x0
	v_lshl_add_u64 v[92:93], v[64:65], 3, s[8:9]
	global_load_b128 v[64:67], v[92:93], off
	global_load_b64 v[94:95], v15, s[10:11] scale_offset
	s_wait_loadcnt 0x19
	s_wait_xcnt 0x1
	v_xor_b32_e32 v92, 0x80000000, v19
	v_mov_b32_e32 v93, v18
	s_wait_loadcnt 0x18
	v_pk_fma_f32 v[0:1], v[16:17], v[68:69], v[0:1] op_sel_hi:[1,0,1]
	v_pk_fma_f32 v[8:9], v[18:19], v[68:69], v[8:9] op_sel_hi:[1,0,1]
	s_delay_alu instid0(VALU_DEP_2) | instskip(SKIP_2) | instid1(VALU_DEP_3)
	v_pk_fma_f32 v[0:1], v[16:17], v[68:69], v[0:1] op_sel:[1,1,0] op_sel_hi:[0,1,1] neg_lo:[1,0,0]
	s_wait_loadcnt 0x17
	v_mov_b32_e32 v17, v22
	v_pk_fma_f32 v[8:9], v[92:93], v[68:69], v[8:9] op_sel:[0,1,0]
	v_xor_b32_e32 v16, 0x80000000, v23
	s_wait_loadcnt 0x16
	v_pk_fma_f32 v[0:1], v[20:21], v[70:71], v[0:1] op_sel_hi:[1,0,1]
	s_delay_alu instid0(VALU_DEP_3) | instskip(NEXT) | instid1(VALU_DEP_2)
	v_pk_fma_f32 v[8:9], v[22:23], v[70:71], v[8:9] op_sel_hi:[1,0,1]
	v_pk_fma_f32 v[0:1], v[20:21], v[70:71], v[0:1] op_sel:[1,1,0] op_sel_hi:[0,1,1] neg_lo:[1,0,0]
	s_delay_alu instid0(VALU_DEP_2)
	v_pk_fma_f32 v[8:9], v[16:17], v[70:71], v[8:9] op_sel:[0,1,0]
	s_wait_loadcnt 0x15
	v_xor_b32_e32 v16, 0x80000000, v27
	v_mov_b32_e32 v17, v26
	s_wait_loadcnt 0x14
	v_pk_fma_f32 v[0:1], v[24:25], v[72:73], v[0:1] op_sel_hi:[1,0,1]
	v_pk_fma_f32 v[8:9], v[26:27], v[72:73], v[8:9] op_sel_hi:[1,0,1]
	s_delay_alu instid0(VALU_DEP_2) | instskip(NEXT) | instid1(VALU_DEP_2)
	v_pk_fma_f32 v[0:1], v[24:25], v[72:73], v[0:1] op_sel:[1,1,0] op_sel_hi:[0,1,1] neg_lo:[1,0,0]
	v_pk_fma_f32 v[8:9], v[16:17], v[72:73], v[8:9] op_sel:[0,1,0]
	s_wait_loadcnt 0x13
	v_xor_b32_e32 v16, 0x80000000, v31
	v_mov_b32_e32 v17, v30
	s_wait_loadcnt 0x12
	v_pk_fma_f32 v[0:1], v[28:29], v[74:75], v[0:1] op_sel_hi:[1,0,1]
	v_pk_fma_f32 v[8:9], v[30:31], v[74:75], v[8:9] op_sel_hi:[1,0,1]
	s_delay_alu instid0(VALU_DEP_2) | instskip(NEXT) | instid1(VALU_DEP_2)
	v_pk_fma_f32 v[0:1], v[28:29], v[74:75], v[0:1] op_sel:[1,1,0] op_sel_hi:[0,1,1] neg_lo:[1,0,0]
	;; [unrolled: 9-line block ×11, first 2 shown]
	v_pk_fma_f32 v[8:9], v[16:17], v[94:95], v[8:9] op_sel:[0,1,0]
	s_and_not1_b32 exec_lo, exec_lo, s4
	s_cbranch_execnz .LBB207_5
; %bb.6:
	s_or_b32 exec_lo, exec_lo, s4
.LBB207_7:
	s_delay_alu instid0(SALU_CYCLE_1)
	s_or_b32 exec_lo, exec_lo, s3
	s_cbranch_execz .LBB207_9
	s_branch .LBB207_14
.LBB207_8:
                                        ; implicit-def: $vgpr1
                                        ; implicit-def: $vgpr9
.LBB207_9:
	v_mov_b32_e32 v1, 0
	s_delay_alu instid0(VALU_DEP_1)
	v_dual_mov_b32 v0, v1 :: v_dual_mov_b32 v9, v1
	v_mov_b32_e32 v8, v1
	s_and_saveexec_b32 s3, s2
	s_cbranch_execz .LBB207_13
; %bb.10:
	v_mad_u32 v14, v13, 26, 25
	v_mov_b32_e32 v11, 0
	s_mov_b32 s2, 0
	s_delay_alu instid0(VALU_DEP_1)
	v_dual_mov_b32 v8, v11 :: v_dual_mov_b32 v9, v11
	v_dual_mov_b32 v0, v11 :: v_dual_mov_b32 v1, v11
.LBB207_11:                             ; =>This Inner Loop Header: Depth=1
	global_load_b32 v15, v13, s[6:7] scale_offset
	v_subrev_nc_u32_e32 v10, 25, v14
	v_dual_add_nc_u32 v26, -12, v14 :: v_dual_add_nc_u32 v27, -11, v14
	v_subrev_nc_u32_e32 v36, 22, v14
	v_dual_add_nc_u32 v37, -10, v14 :: v_dual_add_nc_u32 v42, -9, v14
	s_delay_alu instid0(VALU_DEP_4)
	v_lshl_add_u64 v[20:21], v[10:11], 3, s[8:9]
	v_add_nc_u32_e32 v48, -8, v14
	s_clause 0x2
	global_load_b64 v[22:23], v27, s[8:9] scale_offset
	global_load_b128 v[16:19], v[20:21], off
	global_load_b64 v[24:25], v26, s[8:9] scale_offset
	v_subrev_nc_u32_e32 v54, 19, v14
	v_subrev_nc_u32_e32 v61, 18, v14
	v_add_nc_u32_e32 v60, -6, v14
	v_subrev_nc_u32_e32 v72, 17, v14
	v_dual_add_nc_u32 v73, -4, v14 :: v_dual_add_nc_u32 v74, -16, v14
	v_dual_add_nc_u32 v80, -3, v14 :: v_dual_add_nc_u32 v75, -15, v14
	;; [unrolled: 1-line block ×3, first 2 shown]
	s_wait_xcnt 0x3
	v_add_nc_u32_e32 v13, 4, v13
	s_delay_alu instid0(VALU_DEP_1) | instskip(SKIP_3) | instid1(VALU_DEP_1)
	v_cmp_ge_i32_e32 vcc_lo, v13, v12
	s_or_b32 s2, vcc_lo, s2
	s_wait_loadcnt 0x3
	v_subrev_nc_u32_e32 v10, s12, v15
	v_mul_lo_u32 v10, v10, 13
	global_load_b64 v[20:21], v10, s[10:11] scale_offset
	v_dual_add_nc_u32 v15, 1, v10 :: v_dual_add_nc_u32 v38, 2, v10
	v_dual_add_nc_u32 v43, 3, v10 :: v_dual_add_nc_u32 v49, 4, v10
	;; [unrolled: 1-line block ×3, first 2 shown]
	global_load_b64 v[26:27], v15, s[10:11] scale_offset
	s_wait_xcnt 0x0
	v_subrev_nc_u32_e32 v15, 23, v14
	s_clause 0x2
	global_load_b64 v[28:29], v15, s[8:9] scale_offset
	global_load_b64 v[30:31], v36, s[8:9] scale_offset
	;; [unrolled: 1-line block ×4, first 2 shown]
	s_wait_xcnt 0x3
	v_subrev_nc_u32_e32 v15, 21, v14
	s_clause 0x1
	global_load_b64 v[36:37], v15, s[8:9] scale_offset
	global_load_b64 v[38:39], v42, s[8:9] scale_offset
	;; [unrolled: 1-line block ×3, first 2 shown]
	s_wait_xcnt 0x2
	v_subrev_nc_u32_e32 v15, 20, v14
	s_clause 0x1
	global_load_b64 v[42:43], v15, s[8:9] scale_offset
	global_load_b64 v[44:45], v48, s[8:9] scale_offset
	;; [unrolled: 1-line block ×3, first 2 shown]
	s_wait_xcnt 0x2
	v_add_nc_u32_e32 v15, -7, v14
	s_clause 0x1
	global_load_b64 v[48:49], v54, s[8:9] scale_offset
	global_load_b64 v[50:51], v15, s[8:9] scale_offset
	;; [unrolled: 1-line block ×3, first 2 shown]
	s_wait_xcnt 0x1
	v_add_nc_u32_e32 v15, -5, v14
	s_clause 0x1
	global_load_b64 v[54:55], v61, s[8:9] scale_offset
	global_load_b64 v[56:57], v60, s[8:9] scale_offset
	;; [unrolled: 1-line block ×3, first 2 shown]
	v_add_nc_u32_e32 v76, 7, v10
	s_clause 0x1
	global_load_b64 v[60:61], v15, s[8:9] scale_offset
	global_load_b64 v[62:63], v72, s[8:9] scale_offset
	;; [unrolled: 1-line block ×3, first 2 shown]
	s_clause 0x2
	global_load_b64 v[66:67], v74, s[8:9] scale_offset
	global_load_b64 v[68:69], v73, s[8:9] scale_offset
	;; [unrolled: 1-line block ×3, first 2 shown]
	s_wait_xcnt 0x5
	v_add_nc_u32_e32 v15, 8, v10
	s_clause 0x2
	global_load_b64 v[72:73], v80, s[8:9] scale_offset
	global_load_b64 v[74:75], v82, s[8:9] scale_offset
	;; [unrolled: 1-line block ×4, first 2 shown]
	s_wait_xcnt 0x0
	v_dual_add_nc_u32 v15, 9, v10 :: v_dual_add_nc_u32 v80, 10, v10
	v_add_nc_u32_e32 v82, -1, v14
	v_dual_add_nc_u32 v83, 11, v10 :: v_dual_add_nc_u32 v10, 12, v10
	s_wait_loadcnt 0x1b
	v_pk_fma_f32 v[8:9], v[24:25], v[20:21], v[8:9] op_sel_hi:[1,0,1]
	v_pk_fma_f32 v[0:1], v[16:17], v[20:21], v[0:1] op_sel_hi:[1,0,1]
	s_delay_alu instid0(VALU_DEP_2)
	v_pk_fma_f32 v[8:9], v[24:25], v[20:21], v[8:9] op_sel:[1,1,0] op_sel_hi:[0,1,1] neg_lo:[1,0,0]
	global_load_b64 v[24:25], v15, s[10:11] scale_offset
	v_pk_fma_f32 v[0:1], v[16:17], v[20:21], v[0:1] op_sel:[1,1,0] op_sel_hi:[0,1,1] neg_lo:[1,0,0]
	global_load_b64 v[20:21], v80, s[10:11] scale_offset
	v_xor_b32_e32 v16, 0x80000000, v19
	s_wait_xcnt 0x1
	v_dual_mov_b32 v17, v18 :: v_dual_add_nc_u32 v15, -13, v14
	s_wait_loadcnt 0x1c
	v_pk_fma_f32 v[0:1], v[18:19], v[26:27], v[0:1] op_sel_hi:[1,0,1]
	v_pk_fma_f32 v[8:9], v[22:23], v[26:27], v[8:9] op_sel_hi:[1,0,1]
	global_load_b64 v[18:19], v15, s[8:9] scale_offset
	v_pk_fma_f32 v[0:1], v[16:17], v[26:27], v[0:1] op_sel:[0,1,0]
	global_load_b64 v[16:17], v82, s[8:9] scale_offset
	global_load_b64 v[80:81], v83, s[10:11] scale_offset
	v_pk_fma_f32 v[8:9], v[22:23], v[26:27], v[8:9] op_sel:[1,1,0] op_sel_hi:[0,1,1] neg_lo:[1,0,0]
	global_load_b64 v[22:23], v14, s[8:9] scale_offset
	global_load_b64 v[26:27], v10, s[10:11] scale_offset
	s_wait_xcnt 0x1
	v_add_nc_u32_e32 v14, 0x68, v14
	s_wait_loadcnt 0x1d
	v_pk_fma_f32 v[0:1], v[28:29], v[34:35], v[0:1] op_sel_hi:[1,0,1]
	v_pk_fma_f32 v[8:9], v[32:33], v[34:35], v[8:9] op_sel_hi:[1,0,1]
	s_delay_alu instid0(VALU_DEP_2) | instskip(NEXT) | instid1(VALU_DEP_2)
	v_pk_fma_f32 v[0:1], v[28:29], v[34:35], v[0:1] op_sel:[1,1,0] op_sel_hi:[0,1,1] neg_lo:[1,0,0]
	v_pk_fma_f32 v[8:9], v[32:33], v[34:35], v[8:9] op_sel:[1,1,0] op_sel_hi:[0,1,1] neg_lo:[1,0,0]
	s_wait_loadcnt 0x1a
	s_delay_alu instid0(VALU_DEP_2) | instskip(NEXT) | instid1(VALU_DEP_2)
	v_pk_fma_f32 v[0:1], v[30:31], v[40:41], v[0:1] op_sel_hi:[1,0,1]
	v_pk_fma_f32 v[8:9], v[38:39], v[40:41], v[8:9] op_sel_hi:[1,0,1]
	s_delay_alu instid0(VALU_DEP_2) | instskip(NEXT) | instid1(VALU_DEP_2)
	v_pk_fma_f32 v[0:1], v[30:31], v[40:41], v[0:1] op_sel:[1,1,0] op_sel_hi:[0,1,1] neg_lo:[1,0,0]
	v_pk_fma_f32 v[8:9], v[38:39], v[40:41], v[8:9] op_sel:[1,1,0] op_sel_hi:[0,1,1] neg_lo:[1,0,0]
	s_wait_loadcnt 0x17
	s_delay_alu instid0(VALU_DEP_2) | instskip(NEXT) | instid1(VALU_DEP_2)
	;; [unrolled: 7-line block ×10, first 2 shown]
	v_pk_fma_f32 v[0:1], v[18:19], v[26:27], v[0:1] op_sel_hi:[1,0,1]
	v_pk_fma_f32 v[8:9], v[22:23], v[26:27], v[8:9] op_sel_hi:[1,0,1]
	s_delay_alu instid0(VALU_DEP_2) | instskip(NEXT) | instid1(VALU_DEP_2)
	v_pk_fma_f32 v[0:1], v[18:19], v[26:27], v[0:1] op_sel:[1,1,0] op_sel_hi:[0,1,1] neg_lo:[1,0,0]
	v_pk_fma_f32 v[8:9], v[22:23], v[26:27], v[8:9] op_sel:[1,1,0] op_sel_hi:[0,1,1] neg_lo:[1,0,0]
	s_and_not1_b32 exec_lo, exec_lo, s2
	s_cbranch_execnz .LBB207_11
; %bb.12:
	s_or_b32 exec_lo, exec_lo, s2
.LBB207_13:
	s_delay_alu instid0(SALU_CYCLE_1)
	s_or_b32 exec_lo, exec_lo, s3
.LBB207_14:
	v_mbcnt_lo_u32_b32 v10, -1, 0
	s_delay_alu instid0(VALU_DEP_1) | instskip(SKIP_1) | instid1(VALU_DEP_1)
	v_xor_b32_e32 v15, 1, v10
	v_xor_b32_e32 v11, 2, v10
	v_cmp_gt_i32_e32 vcc_lo, 32, v11
	v_cndmask_b32_e32 v11, v10, v11, vcc_lo
	s_delay_alu instid0(VALU_DEP_4) | instskip(SKIP_2) | instid1(VALU_DEP_2)
	v_cmp_gt_i32_e32 vcc_lo, 32, v15
	v_cndmask_b32_e32 v10, v10, v15, vcc_lo
	v_cmp_eq_u32_e32 vcc_lo, 3, v7
	v_dual_lshlrev_b32 v15, 2, v10 :: v_dual_lshlrev_b32 v11, 2, v11
	ds_bpermute_b32 v12, v11, v0
	s_wait_dscnt 0x0
	v_add_f32_e32 v0, v0, v12
	ds_bpermute_b32 v13, v11, v1
	ds_bpermute_b32 v14, v11, v8
	ds_bpermute_b32 v11, v11, v9
	ds_bpermute_b32 v12, v15, v0
	s_wait_dscnt 0x2
	v_dual_add_f32 v10, v1, v13 :: v_dual_add_f32 v1, v8, v14
	s_wait_dscnt 0x1
	v_add_f32_e32 v9, v9, v11
	ds_bpermute_b32 v13, v15, v10
	ds_bpermute_b32 v8, v15, v1
	;; [unrolled: 1-line block ×3, first 2 shown]
	s_and_b32 exec_lo, exec_lo, vcc_lo
	s_cbranch_execz .LBB207_19
; %bb.15:
	s_load_b64 s[2:3], s[0:1], 0x38
	v_cmp_eq_f32_e32 vcc_lo, 0, v4
	s_wait_xcnt 0x0
	v_cmp_eq_f32_e64 s0, 0, v5
	s_wait_dscnt 0x2
	v_dual_add_f32 v0, v0, v12 :: v_dual_add_f32 v12, v10, v13
	s_wait_dscnt 0x1
	v_add_f32_e32 v8, v1, v8
	s_wait_dscnt 0x0
	v_add_f32_e32 v10, v9, v11
	s_and_b32 s0, vcc_lo, s0
	s_delay_alu instid0(SALU_CYCLE_1) | instskip(NEXT) | instid1(SALU_CYCLE_1)
	s_and_saveexec_b32 s1, s0
	s_xor_b32 s0, exec_lo, s1
	s_cbranch_execz .LBB207_17
; %bb.16:
	v_xor_b32_e32 v4, 0x80000000, v3
	v_dual_mov_b32 v5, v2 :: v_dual_lshlrev_b32 v6, 1, v6
	s_delay_alu instid0(VALU_DEP_1) | instskip(NEXT) | instid1(VALU_DEP_2)
	v_ashrrev_i32_e32 v7, 31, v6
	v_pk_mul_f32 v[12:13], v[12:13], v[4:5] op_sel_hi:[0,1]
	v_pk_mul_f32 v[4:5], v[10:11], v[4:5] op_sel_hi:[0,1]
                                        ; implicit-def: $vgpr10
	s_wait_kmcnt 0x0
	s_delay_alu instid0(VALU_DEP_3) | instskip(NEXT) | instid1(VALU_DEP_3)
	v_lshl_add_u64 v[6:7], v[6:7], 3, s[2:3]
	v_pk_fma_f32 v[0:1], v[2:3], v[0:1], v[12:13] op_sel_hi:[1,0,1]
	s_delay_alu instid0(VALU_DEP_3)
	v_pk_fma_f32 v[2:3], v[2:3], v[8:9], v[4:5] op_sel_hi:[1,0,1]
                                        ; implicit-def: $vgpr4_vgpr5
                                        ; implicit-def: $vgpr12
                                        ; implicit-def: $vgpr8
	global_store_b128 v[6:7], v[0:3], off
                                        ; implicit-def: $vgpr6
                                        ; implicit-def: $vgpr2_vgpr3
                                        ; implicit-def: $vgpr0
.LBB207_17:
	s_wait_xcnt 0x0
	s_and_not1_saveexec_b32 s0, s0
	s_cbranch_execz .LBB207_19
; %bb.18:
	v_dual_mov_b32 v19, v2 :: v_dual_lshlrev_b32 v6, 1, v6
	v_xor_b32_e32 v18, 0x80000000, v3
	s_delay_alu instid0(VALU_DEP_2) | instskip(NEXT) | instid1(VALU_DEP_2)
	v_ashrrev_i32_e32 v7, 31, v6
	v_pk_mul_f32 v[12:13], v[12:13], v[18:19] op_sel_hi:[0,1]
	v_pk_mul_f32 v[10:11], v[10:11], v[18:19] op_sel_hi:[0,1]
	s_delay_alu instid0(VALU_DEP_2) | instskip(NEXT) | instid1(VALU_DEP_2)
	v_pk_fma_f32 v[0:1], v[2:3], v[0:1], v[12:13] op_sel_hi:[1,0,1]
	v_pk_fma_f32 v[2:3], v[2:3], v[8:9], v[10:11] op_sel_hi:[1,0,1]
	v_mov_b32_e32 v9, v4
	s_wait_kmcnt 0x0
	v_lshl_add_u64 v[6:7], v[6:7], 3, s[2:3]
	v_xor_b32_e32 v8, 0x80000000, v5
	global_load_b128 v[14:17], v[6:7], off
	s_wait_loadcnt 0x0
	v_pk_fma_f32 v[0:1], v[4:5], v[14:15], v[0:1] op_sel_hi:[1,0,1]
	v_pk_fma_f32 v[2:3], v[4:5], v[16:17], v[2:3] op_sel_hi:[1,0,1]
	v_mov_b32_e32 v4, v17
	s_delay_alu instid0(VALU_DEP_3) | instskip(NEXT) | instid1(VALU_DEP_2)
	v_pk_fma_f32 v[0:1], v[8:9], v[14:15], v[0:1] op_sel:[0,1,0]
	v_pk_fma_f32 v[2:3], v[8:9], v[4:5], v[2:3] op_sel_hi:[1,0,1]
	global_store_b128 v[6:7], v[0:3], off
.LBB207_19:
	s_sendmsg sendmsg(MSG_DEALLOC_VGPRS)
	s_endpgm
	.section	.rodata,"a",@progbits
	.p2align	6, 0x0
	.amdhsa_kernel _ZN9rocsparseL19gebsrmvn_2xn_kernelILj128ELj13ELj4E21rocsparse_complex_numIfEEEvi20rocsparse_direction_NS_24const_host_device_scalarIT2_EEPKiS8_PKS5_SA_S6_PS5_21rocsparse_index_base_b
		.amdhsa_group_segment_fixed_size 0
		.amdhsa_private_segment_fixed_size 0
		.amdhsa_kernarg_size 72
		.amdhsa_user_sgpr_count 2
		.amdhsa_user_sgpr_dispatch_ptr 0
		.amdhsa_user_sgpr_queue_ptr 0
		.amdhsa_user_sgpr_kernarg_segment_ptr 1
		.amdhsa_user_sgpr_dispatch_id 0
		.amdhsa_user_sgpr_kernarg_preload_length 0
		.amdhsa_user_sgpr_kernarg_preload_offset 0
		.amdhsa_user_sgpr_private_segment_size 0
		.amdhsa_wavefront_size32 1
		.amdhsa_uses_dynamic_stack 0
		.amdhsa_enable_private_segment 0
		.amdhsa_system_sgpr_workgroup_id_x 1
		.amdhsa_system_sgpr_workgroup_id_y 0
		.amdhsa_system_sgpr_workgroup_id_z 0
		.amdhsa_system_sgpr_workgroup_info 0
		.amdhsa_system_vgpr_workitem_id 0
		.amdhsa_next_free_vgpr 96
		.amdhsa_next_free_sgpr 14
		.amdhsa_named_barrier_count 0
		.amdhsa_reserve_vcc 1
		.amdhsa_float_round_mode_32 0
		.amdhsa_float_round_mode_16_64 0
		.amdhsa_float_denorm_mode_32 3
		.amdhsa_float_denorm_mode_16_64 3
		.amdhsa_fp16_overflow 0
		.amdhsa_memory_ordered 1
		.amdhsa_forward_progress 1
		.amdhsa_inst_pref_size 30
		.amdhsa_round_robin_scheduling 0
		.amdhsa_exception_fp_ieee_invalid_op 0
		.amdhsa_exception_fp_denorm_src 0
		.amdhsa_exception_fp_ieee_div_zero 0
		.amdhsa_exception_fp_ieee_overflow 0
		.amdhsa_exception_fp_ieee_underflow 0
		.amdhsa_exception_fp_ieee_inexact 0
		.amdhsa_exception_int_div_zero 0
	.end_amdhsa_kernel
	.section	.text._ZN9rocsparseL19gebsrmvn_2xn_kernelILj128ELj13ELj4E21rocsparse_complex_numIfEEEvi20rocsparse_direction_NS_24const_host_device_scalarIT2_EEPKiS8_PKS5_SA_S6_PS5_21rocsparse_index_base_b,"axG",@progbits,_ZN9rocsparseL19gebsrmvn_2xn_kernelILj128ELj13ELj4E21rocsparse_complex_numIfEEEvi20rocsparse_direction_NS_24const_host_device_scalarIT2_EEPKiS8_PKS5_SA_S6_PS5_21rocsparse_index_base_b,comdat
.Lfunc_end207:
	.size	_ZN9rocsparseL19gebsrmvn_2xn_kernelILj128ELj13ELj4E21rocsparse_complex_numIfEEEvi20rocsparse_direction_NS_24const_host_device_scalarIT2_EEPKiS8_PKS5_SA_S6_PS5_21rocsparse_index_base_b, .Lfunc_end207-_ZN9rocsparseL19gebsrmvn_2xn_kernelILj128ELj13ELj4E21rocsparse_complex_numIfEEEvi20rocsparse_direction_NS_24const_host_device_scalarIT2_EEPKiS8_PKS5_SA_S6_PS5_21rocsparse_index_base_b
                                        ; -- End function
	.set _ZN9rocsparseL19gebsrmvn_2xn_kernelILj128ELj13ELj4E21rocsparse_complex_numIfEEEvi20rocsparse_direction_NS_24const_host_device_scalarIT2_EEPKiS8_PKS5_SA_S6_PS5_21rocsparse_index_base_b.num_vgpr, 96
	.set _ZN9rocsparseL19gebsrmvn_2xn_kernelILj128ELj13ELj4E21rocsparse_complex_numIfEEEvi20rocsparse_direction_NS_24const_host_device_scalarIT2_EEPKiS8_PKS5_SA_S6_PS5_21rocsparse_index_base_b.num_agpr, 0
	.set _ZN9rocsparseL19gebsrmvn_2xn_kernelILj128ELj13ELj4E21rocsparse_complex_numIfEEEvi20rocsparse_direction_NS_24const_host_device_scalarIT2_EEPKiS8_PKS5_SA_S6_PS5_21rocsparse_index_base_b.numbered_sgpr, 14
	.set _ZN9rocsparseL19gebsrmvn_2xn_kernelILj128ELj13ELj4E21rocsparse_complex_numIfEEEvi20rocsparse_direction_NS_24const_host_device_scalarIT2_EEPKiS8_PKS5_SA_S6_PS5_21rocsparse_index_base_b.num_named_barrier, 0
	.set _ZN9rocsparseL19gebsrmvn_2xn_kernelILj128ELj13ELj4E21rocsparse_complex_numIfEEEvi20rocsparse_direction_NS_24const_host_device_scalarIT2_EEPKiS8_PKS5_SA_S6_PS5_21rocsparse_index_base_b.private_seg_size, 0
	.set _ZN9rocsparseL19gebsrmvn_2xn_kernelILj128ELj13ELj4E21rocsparse_complex_numIfEEEvi20rocsparse_direction_NS_24const_host_device_scalarIT2_EEPKiS8_PKS5_SA_S6_PS5_21rocsparse_index_base_b.uses_vcc, 1
	.set _ZN9rocsparseL19gebsrmvn_2xn_kernelILj128ELj13ELj4E21rocsparse_complex_numIfEEEvi20rocsparse_direction_NS_24const_host_device_scalarIT2_EEPKiS8_PKS5_SA_S6_PS5_21rocsparse_index_base_b.uses_flat_scratch, 1
	.set _ZN9rocsparseL19gebsrmvn_2xn_kernelILj128ELj13ELj4E21rocsparse_complex_numIfEEEvi20rocsparse_direction_NS_24const_host_device_scalarIT2_EEPKiS8_PKS5_SA_S6_PS5_21rocsparse_index_base_b.has_dyn_sized_stack, 0
	.set _ZN9rocsparseL19gebsrmvn_2xn_kernelILj128ELj13ELj4E21rocsparse_complex_numIfEEEvi20rocsparse_direction_NS_24const_host_device_scalarIT2_EEPKiS8_PKS5_SA_S6_PS5_21rocsparse_index_base_b.has_recursion, 0
	.set _ZN9rocsparseL19gebsrmvn_2xn_kernelILj128ELj13ELj4E21rocsparse_complex_numIfEEEvi20rocsparse_direction_NS_24const_host_device_scalarIT2_EEPKiS8_PKS5_SA_S6_PS5_21rocsparse_index_base_b.has_indirect_call, 0
	.section	.AMDGPU.csdata,"",@progbits
; Kernel info:
; codeLenInByte = 3792
; TotalNumSgprs: 16
; NumVgprs: 96
; ScratchSize: 0
; MemoryBound: 0
; FloatMode: 240
; IeeeMode: 1
; LDSByteSize: 0 bytes/workgroup (compile time only)
; SGPRBlocks: 0
; VGPRBlocks: 5
; NumSGPRsForWavesPerEU: 16
; NumVGPRsForWavesPerEU: 96
; NamedBarCnt: 0
; Occupancy: 10
; WaveLimiterHint : 1
; COMPUTE_PGM_RSRC2:SCRATCH_EN: 0
; COMPUTE_PGM_RSRC2:USER_SGPR: 2
; COMPUTE_PGM_RSRC2:TRAP_HANDLER: 0
; COMPUTE_PGM_RSRC2:TGID_X_EN: 1
; COMPUTE_PGM_RSRC2:TGID_Y_EN: 0
; COMPUTE_PGM_RSRC2:TGID_Z_EN: 0
; COMPUTE_PGM_RSRC2:TIDIG_COMP_CNT: 0
	.section	.text._ZN9rocsparseL19gebsrmvn_2xn_kernelILj128ELj13ELj8E21rocsparse_complex_numIfEEEvi20rocsparse_direction_NS_24const_host_device_scalarIT2_EEPKiS8_PKS5_SA_S6_PS5_21rocsparse_index_base_b,"axG",@progbits,_ZN9rocsparseL19gebsrmvn_2xn_kernelILj128ELj13ELj8E21rocsparse_complex_numIfEEEvi20rocsparse_direction_NS_24const_host_device_scalarIT2_EEPKiS8_PKS5_SA_S6_PS5_21rocsparse_index_base_b,comdat
	.globl	_ZN9rocsparseL19gebsrmvn_2xn_kernelILj128ELj13ELj8E21rocsparse_complex_numIfEEEvi20rocsparse_direction_NS_24const_host_device_scalarIT2_EEPKiS8_PKS5_SA_S6_PS5_21rocsparse_index_base_b ; -- Begin function _ZN9rocsparseL19gebsrmvn_2xn_kernelILj128ELj13ELj8E21rocsparse_complex_numIfEEEvi20rocsparse_direction_NS_24const_host_device_scalarIT2_EEPKiS8_PKS5_SA_S6_PS5_21rocsparse_index_base_b
	.p2align	8
	.type	_ZN9rocsparseL19gebsrmvn_2xn_kernelILj128ELj13ELj8E21rocsparse_complex_numIfEEEvi20rocsparse_direction_NS_24const_host_device_scalarIT2_EEPKiS8_PKS5_SA_S6_PS5_21rocsparse_index_base_b,@function
_ZN9rocsparseL19gebsrmvn_2xn_kernelILj128ELj13ELj8E21rocsparse_complex_numIfEEEvi20rocsparse_direction_NS_24const_host_device_scalarIT2_EEPKiS8_PKS5_SA_S6_PS5_21rocsparse_index_base_b: ; @_ZN9rocsparseL19gebsrmvn_2xn_kernelILj128ELj13ELj8E21rocsparse_complex_numIfEEEvi20rocsparse_direction_NS_24const_host_device_scalarIT2_EEPKiS8_PKS5_SA_S6_PS5_21rocsparse_index_base_b
; %bb.0:
	s_clause 0x2
	s_load_b64 s[12:13], s[0:1], 0x40
	s_load_b64 s[2:3], s[0:1], 0x8
	;; [unrolled: 1-line block ×3, first 2 shown]
	v_mov_b32_e32 v1, 0
	s_add_nc_u64 s[6:7], s[0:1], 8
	s_add_nc_u64 s[8:9], s[0:1], 48
	s_wait_kmcnt 0x0
	s_bitcmp1_b32 s13, 0
	s_cselect_b32 s3, s7, s3
	s_cselect_b32 s2, s6, s2
	;; [unrolled: 1-line block ×4, first 2 shown]
	s_clause 0x1
	flat_load_b64 v[2:3], v1, s[2:3]
	flat_load_b64 v[4:5], v1, s[4:5]
	s_wait_loadcnt_dscnt 0x101
	v_cmp_eq_f32_e32 vcc_lo, 0, v2
	v_cmp_eq_f32_e64 s2, 0, v3
	s_wait_loadcnt_dscnt 0x0
	v_cmp_eq_f32_e64 s3, 1.0, v4
	v_cmp_eq_f32_e64 s4, 0, v5
	s_and_b32 s2, vcc_lo, s2
	s_and_b32 s3, s3, s4
	s_delay_alu instid0(SALU_CYCLE_1) | instskip(NEXT) | instid1(SALU_CYCLE_1)
	s_and_b32 s2, s2, s3
	s_xor_b32 s2, s2, -1
	s_delay_alu instid0(SALU_CYCLE_1)
	s_and_saveexec_b32 s3, s2
	s_cbranch_execz .LBB208_19
; %bb.1:
	s_load_b64 s[2:3], s[0:1], 0x0
	s_bfe_u32 s4, ttmp6, 0x4000c
	s_and_b32 s5, ttmp6, 15
	s_add_co_i32 s4, s4, 1
	s_getreg_b32 s6, hwreg(HW_REG_IB_STS2, 6, 4)
	s_mul_i32 s4, ttmp9, s4
	v_lshrrev_b32_e32 v1, 3, v0
	s_add_co_i32 s5, s5, s4
	s_cmp_eq_u32 s6, 0
	s_cselect_b32 s4, ttmp9, s5
	s_delay_alu instid0(VALU_DEP_1) | instid1(SALU_CYCLE_1)
	v_lshl_or_b32 v6, s4, 4, v1
	s_wait_kmcnt 0x0
	s_delay_alu instid0(VALU_DEP_1)
	v_cmp_gt_i32_e32 vcc_lo, s2, v6
	s_and_b32 exec_lo, exec_lo, vcc_lo
	s_cbranch_execz .LBB208_19
; %bb.2:
	s_load_b256 s[4:11], s[0:1], 0x10
	v_ashrrev_i32_e32 v7, 31, v6
	s_cmp_lg_u32 s3, 0
	s_wait_kmcnt 0x0
	s_delay_alu instid0(VALU_DEP_1)
	v_lshl_add_u64 v[8:9], v[6:7], 2, s[4:5]
	v_and_b32_e32 v7, 7, v0
	global_load_b64 v[8:9], v[8:9], off
	s_wait_loadcnt 0x0
	v_subrev_nc_u32_e32 v0, s12, v8
	v_subrev_nc_u32_e32 v12, s12, v9
	s_delay_alu instid0(VALU_DEP_2) | instskip(NEXT) | instid1(VALU_DEP_1)
	v_add_nc_u32_e32 v13, v0, v7
	v_cmp_lt_i32_e64 s2, v13, v12
	s_cbranch_scc0 .LBB208_8
; %bb.3:
	v_mov_b32_e32 v1, 0
	s_delay_alu instid0(VALU_DEP_1)
	v_dual_mov_b32 v0, v1 :: v_dual_mov_b32 v9, v1
	v_mov_b32_e32 v8, v1
	s_and_saveexec_b32 s3, s2
	s_cbranch_execz .LBB208_7
; %bb.4:
	v_mul_lo_u32 v10, v13, 26
	v_dual_mov_b32 v11, 0 :: v_dual_mov_b32 v14, v13
	s_mov_b32 s4, 0
	s_delay_alu instid0(VALU_DEP_1)
	v_dual_mov_b32 v8, v11 :: v_dual_mov_b32 v9, v11
	v_dual_mov_b32 v0, v11 :: v_dual_mov_b32 v1, v11
.LBB208_5:                              ; =>This Inner Loop Header: Depth=1
	global_load_b32 v15, v14, s[6:7] scale_offset
	v_lshl_add_u64 v[20:21], v[10:11], 3, s[8:9]
	v_dual_mov_b32 v23, v11 :: v_dual_add_nc_u32 v22, 2, v10
	v_dual_mov_b32 v25, v11 :: v_dual_mov_b32 v33, v11
	v_dual_mov_b32 v41, v11 :: v_dual_mov_b32 v49, v11
	s_delay_alu instid0(VALU_DEP_3)
	v_lshl_add_u64 v[26:27], v[22:23], 3, s[8:9]
	v_dual_mov_b32 v57, v11 :: v_dual_mov_b32 v29, v11
	v_dual_mov_b32 v37, v11 :: v_dual_mov_b32 v45, v11
	;; [unrolled: 1-line block ×3, first 2 shown]
	s_wait_xcnt 0x0
	v_add_nc_u32_e32 v14, 8, v14
	s_delay_alu instid0(VALU_DEP_1) | instskip(SKIP_3) | instid1(VALU_DEP_1)
	v_cmp_ge_i32_e32 vcc_lo, v14, v12
	s_or_b32 s4, vcc_lo, s4
	s_wait_loadcnt 0x0
	v_subrev_nc_u32_e32 v15, s12, v15
	v_mul_lo_u32 v15, v15, 13
	global_load_b128 v[16:19], v[20:21], off
	global_load_b64 v[68:69], v15, s[10:11] scale_offset
	v_dual_add_nc_u32 v24, 4, v10 :: v_dual_add_nc_u32 v28, 1, v15
	global_load_b128 v[20:23], v[26:27], off
	global_load_b64 v[70:71], v28, s[10:11] scale_offset
	s_wait_xcnt 0x0
	v_add_nc_u32_e32 v28, 6, v10
	v_lshl_add_u64 v[30:31], v[24:25], 3, s[8:9]
	v_add_nc_u32_e32 v32, 2, v15
	global_load_b128 v[24:27], v[30:31], off
	global_load_b64 v[72:73], v32, s[10:11] scale_offset
	v_lshl_add_u64 v[34:35], v[28:29], 3, s[8:9]
	s_wait_xcnt 0x0
	v_dual_add_nc_u32 v32, 8, v10 :: v_dual_add_nc_u32 v36, 3, v15
	global_load_b128 v[28:31], v[34:35], off
	global_load_b64 v[74:75], v36, s[10:11] scale_offset
	s_wait_xcnt 0x0
	v_add_nc_u32_e32 v36, 10, v10
	v_lshl_add_u64 v[38:39], v[32:33], 3, s[8:9]
	v_add_nc_u32_e32 v40, 4, v15
	global_load_b128 v[32:35], v[38:39], off
	global_load_b64 v[76:77], v40, s[10:11] scale_offset
	v_lshl_add_u64 v[42:43], v[36:37], 3, s[8:9]
	s_wait_xcnt 0x0
	;; [unrolled: 11-line block ×5, first 2 shown]
	v_dual_add_nc_u32 v64, 24, v10 :: v_dual_add_nc_u32 v92, 11, v15
	v_dual_mov_b32 v65, v11 :: v_dual_add_nc_u32 v15, 12, v15
	global_load_b128 v[60:63], v[66:67], off
	global_load_b64 v[90:91], v92, s[10:11] scale_offset
	v_add_nc_u32_e32 v10, 0xd0, v10
	s_wait_xcnt 0x0
	v_lshl_add_u64 v[92:93], v[64:65], 3, s[8:9]
	global_load_b128 v[64:67], v[92:93], off
	global_load_b64 v[94:95], v15, s[10:11] scale_offset
	s_wait_loadcnt 0x19
	s_wait_xcnt 0x1
	v_xor_b32_e32 v92, 0x80000000, v19
	v_mov_b32_e32 v93, v18
	s_wait_loadcnt 0x18
	v_pk_fma_f32 v[0:1], v[16:17], v[68:69], v[0:1] op_sel_hi:[1,0,1]
	v_pk_fma_f32 v[8:9], v[18:19], v[68:69], v[8:9] op_sel_hi:[1,0,1]
	s_delay_alu instid0(VALU_DEP_2) | instskip(SKIP_2) | instid1(VALU_DEP_3)
	v_pk_fma_f32 v[0:1], v[16:17], v[68:69], v[0:1] op_sel:[1,1,0] op_sel_hi:[0,1,1] neg_lo:[1,0,0]
	s_wait_loadcnt 0x17
	v_mov_b32_e32 v17, v22
	v_pk_fma_f32 v[8:9], v[92:93], v[68:69], v[8:9] op_sel:[0,1,0]
	v_xor_b32_e32 v16, 0x80000000, v23
	s_wait_loadcnt 0x16
	v_pk_fma_f32 v[0:1], v[20:21], v[70:71], v[0:1] op_sel_hi:[1,0,1]
	s_delay_alu instid0(VALU_DEP_3) | instskip(NEXT) | instid1(VALU_DEP_2)
	v_pk_fma_f32 v[8:9], v[22:23], v[70:71], v[8:9] op_sel_hi:[1,0,1]
	v_pk_fma_f32 v[0:1], v[20:21], v[70:71], v[0:1] op_sel:[1,1,0] op_sel_hi:[0,1,1] neg_lo:[1,0,0]
	s_delay_alu instid0(VALU_DEP_2)
	v_pk_fma_f32 v[8:9], v[16:17], v[70:71], v[8:9] op_sel:[0,1,0]
	s_wait_loadcnt 0x15
	v_xor_b32_e32 v16, 0x80000000, v27
	v_mov_b32_e32 v17, v26
	s_wait_loadcnt 0x14
	v_pk_fma_f32 v[0:1], v[24:25], v[72:73], v[0:1] op_sel_hi:[1,0,1]
	v_pk_fma_f32 v[8:9], v[26:27], v[72:73], v[8:9] op_sel_hi:[1,0,1]
	s_delay_alu instid0(VALU_DEP_2) | instskip(NEXT) | instid1(VALU_DEP_2)
	v_pk_fma_f32 v[0:1], v[24:25], v[72:73], v[0:1] op_sel:[1,1,0] op_sel_hi:[0,1,1] neg_lo:[1,0,0]
	v_pk_fma_f32 v[8:9], v[16:17], v[72:73], v[8:9] op_sel:[0,1,0]
	s_wait_loadcnt 0x13
	v_xor_b32_e32 v16, 0x80000000, v31
	v_mov_b32_e32 v17, v30
	s_wait_loadcnt 0x12
	v_pk_fma_f32 v[0:1], v[28:29], v[74:75], v[0:1] op_sel_hi:[1,0,1]
	v_pk_fma_f32 v[8:9], v[30:31], v[74:75], v[8:9] op_sel_hi:[1,0,1]
	s_delay_alu instid0(VALU_DEP_2) | instskip(NEXT) | instid1(VALU_DEP_2)
	v_pk_fma_f32 v[0:1], v[28:29], v[74:75], v[0:1] op_sel:[1,1,0] op_sel_hi:[0,1,1] neg_lo:[1,0,0]
	;; [unrolled: 9-line block ×11, first 2 shown]
	v_pk_fma_f32 v[8:9], v[16:17], v[94:95], v[8:9] op_sel:[0,1,0]
	s_and_not1_b32 exec_lo, exec_lo, s4
	s_cbranch_execnz .LBB208_5
; %bb.6:
	s_or_b32 exec_lo, exec_lo, s4
.LBB208_7:
	s_delay_alu instid0(SALU_CYCLE_1)
	s_or_b32 exec_lo, exec_lo, s3
	s_cbranch_execz .LBB208_9
	s_branch .LBB208_14
.LBB208_8:
                                        ; implicit-def: $vgpr1
                                        ; implicit-def: $vgpr9
.LBB208_9:
	v_mov_b32_e32 v1, 0
	s_delay_alu instid0(VALU_DEP_1)
	v_dual_mov_b32 v0, v1 :: v_dual_mov_b32 v9, v1
	v_mov_b32_e32 v8, v1
	s_and_saveexec_b32 s3, s2
	s_cbranch_execz .LBB208_13
; %bb.10:
	v_mad_u32 v14, v13, 26, 25
	v_mov_b32_e32 v11, 0
	s_mov_b32 s2, 0
	s_delay_alu instid0(VALU_DEP_1)
	v_dual_mov_b32 v8, v11 :: v_dual_mov_b32 v9, v11
	v_dual_mov_b32 v0, v11 :: v_dual_mov_b32 v1, v11
.LBB208_11:                             ; =>This Inner Loop Header: Depth=1
	global_load_b32 v15, v13, s[6:7] scale_offset
	v_subrev_nc_u32_e32 v10, 25, v14
	v_dual_add_nc_u32 v26, -12, v14 :: v_dual_add_nc_u32 v27, -11, v14
	v_subrev_nc_u32_e32 v36, 22, v14
	v_dual_add_nc_u32 v37, -10, v14 :: v_dual_add_nc_u32 v42, -9, v14
	s_delay_alu instid0(VALU_DEP_4)
	v_lshl_add_u64 v[20:21], v[10:11], 3, s[8:9]
	v_add_nc_u32_e32 v48, -8, v14
	s_clause 0x2
	global_load_b64 v[22:23], v27, s[8:9] scale_offset
	global_load_b128 v[16:19], v[20:21], off
	global_load_b64 v[24:25], v26, s[8:9] scale_offset
	v_subrev_nc_u32_e32 v54, 19, v14
	v_subrev_nc_u32_e32 v61, 18, v14
	v_add_nc_u32_e32 v60, -6, v14
	v_subrev_nc_u32_e32 v72, 17, v14
	v_dual_add_nc_u32 v73, -4, v14 :: v_dual_add_nc_u32 v74, -16, v14
	v_dual_add_nc_u32 v80, -3, v14 :: v_dual_add_nc_u32 v75, -15, v14
	;; [unrolled: 1-line block ×3, first 2 shown]
	s_wait_xcnt 0x3
	v_add_nc_u32_e32 v13, 8, v13
	s_delay_alu instid0(VALU_DEP_1) | instskip(SKIP_3) | instid1(VALU_DEP_1)
	v_cmp_ge_i32_e32 vcc_lo, v13, v12
	s_or_b32 s2, vcc_lo, s2
	s_wait_loadcnt 0x3
	v_subrev_nc_u32_e32 v10, s12, v15
	v_mul_lo_u32 v10, v10, 13
	global_load_b64 v[20:21], v10, s[10:11] scale_offset
	v_dual_add_nc_u32 v15, 1, v10 :: v_dual_add_nc_u32 v38, 2, v10
	v_dual_add_nc_u32 v43, 3, v10 :: v_dual_add_nc_u32 v49, 4, v10
	;; [unrolled: 1-line block ×3, first 2 shown]
	global_load_b64 v[26:27], v15, s[10:11] scale_offset
	s_wait_xcnt 0x0
	v_subrev_nc_u32_e32 v15, 23, v14
	s_clause 0x2
	global_load_b64 v[28:29], v15, s[8:9] scale_offset
	global_load_b64 v[30:31], v36, s[8:9] scale_offset
	;; [unrolled: 1-line block ×4, first 2 shown]
	s_wait_xcnt 0x3
	v_subrev_nc_u32_e32 v15, 21, v14
	s_clause 0x1
	global_load_b64 v[36:37], v15, s[8:9] scale_offset
	global_load_b64 v[38:39], v42, s[8:9] scale_offset
	;; [unrolled: 1-line block ×3, first 2 shown]
	s_wait_xcnt 0x2
	v_subrev_nc_u32_e32 v15, 20, v14
	s_clause 0x1
	global_load_b64 v[42:43], v15, s[8:9] scale_offset
	global_load_b64 v[44:45], v48, s[8:9] scale_offset
	global_load_b64 v[46:47], v49, s[10:11] scale_offset
	s_wait_xcnt 0x2
	v_add_nc_u32_e32 v15, -7, v14
	s_clause 0x1
	global_load_b64 v[48:49], v54, s[8:9] scale_offset
	global_load_b64 v[50:51], v15, s[8:9] scale_offset
	;; [unrolled: 1-line block ×3, first 2 shown]
	s_wait_xcnt 0x1
	v_add_nc_u32_e32 v15, -5, v14
	s_clause 0x1
	global_load_b64 v[54:55], v61, s[8:9] scale_offset
	global_load_b64 v[56:57], v60, s[8:9] scale_offset
	;; [unrolled: 1-line block ×3, first 2 shown]
	v_add_nc_u32_e32 v76, 7, v10
	s_clause 0x1
	global_load_b64 v[60:61], v15, s[8:9] scale_offset
	global_load_b64 v[62:63], v72, s[8:9] scale_offset
	;; [unrolled: 1-line block ×3, first 2 shown]
	s_clause 0x2
	global_load_b64 v[66:67], v74, s[8:9] scale_offset
	global_load_b64 v[68:69], v73, s[8:9] scale_offset
	;; [unrolled: 1-line block ×3, first 2 shown]
	s_wait_xcnt 0x5
	v_add_nc_u32_e32 v15, 8, v10
	s_clause 0x2
	global_load_b64 v[72:73], v80, s[8:9] scale_offset
	global_load_b64 v[74:75], v82, s[8:9] scale_offset
	;; [unrolled: 1-line block ×4, first 2 shown]
	s_wait_xcnt 0x0
	v_dual_add_nc_u32 v15, 9, v10 :: v_dual_add_nc_u32 v80, 10, v10
	v_add_nc_u32_e32 v82, -1, v14
	v_dual_add_nc_u32 v83, 11, v10 :: v_dual_add_nc_u32 v10, 12, v10
	s_wait_loadcnt 0x1b
	v_pk_fma_f32 v[8:9], v[24:25], v[20:21], v[8:9] op_sel_hi:[1,0,1]
	v_pk_fma_f32 v[0:1], v[16:17], v[20:21], v[0:1] op_sel_hi:[1,0,1]
	s_delay_alu instid0(VALU_DEP_2)
	v_pk_fma_f32 v[8:9], v[24:25], v[20:21], v[8:9] op_sel:[1,1,0] op_sel_hi:[0,1,1] neg_lo:[1,0,0]
	global_load_b64 v[24:25], v15, s[10:11] scale_offset
	v_pk_fma_f32 v[0:1], v[16:17], v[20:21], v[0:1] op_sel:[1,1,0] op_sel_hi:[0,1,1] neg_lo:[1,0,0]
	global_load_b64 v[20:21], v80, s[10:11] scale_offset
	v_xor_b32_e32 v16, 0x80000000, v19
	s_wait_xcnt 0x1
	v_dual_mov_b32 v17, v18 :: v_dual_add_nc_u32 v15, -13, v14
	s_wait_loadcnt 0x1c
	v_pk_fma_f32 v[0:1], v[18:19], v[26:27], v[0:1] op_sel_hi:[1,0,1]
	v_pk_fma_f32 v[8:9], v[22:23], v[26:27], v[8:9] op_sel_hi:[1,0,1]
	global_load_b64 v[18:19], v15, s[8:9] scale_offset
	v_pk_fma_f32 v[0:1], v[16:17], v[26:27], v[0:1] op_sel:[0,1,0]
	global_load_b64 v[16:17], v82, s[8:9] scale_offset
	global_load_b64 v[80:81], v83, s[10:11] scale_offset
	v_pk_fma_f32 v[8:9], v[22:23], v[26:27], v[8:9] op_sel:[1,1,0] op_sel_hi:[0,1,1] neg_lo:[1,0,0]
	global_load_b64 v[22:23], v14, s[8:9] scale_offset
	global_load_b64 v[26:27], v10, s[10:11] scale_offset
	s_wait_xcnt 0x1
	v_add_nc_u32_e32 v14, 0xd0, v14
	s_wait_loadcnt 0x1d
	v_pk_fma_f32 v[0:1], v[28:29], v[34:35], v[0:1] op_sel_hi:[1,0,1]
	v_pk_fma_f32 v[8:9], v[32:33], v[34:35], v[8:9] op_sel_hi:[1,0,1]
	s_delay_alu instid0(VALU_DEP_2) | instskip(NEXT) | instid1(VALU_DEP_2)
	v_pk_fma_f32 v[0:1], v[28:29], v[34:35], v[0:1] op_sel:[1,1,0] op_sel_hi:[0,1,1] neg_lo:[1,0,0]
	v_pk_fma_f32 v[8:9], v[32:33], v[34:35], v[8:9] op_sel:[1,1,0] op_sel_hi:[0,1,1] neg_lo:[1,0,0]
	s_wait_loadcnt 0x1a
	s_delay_alu instid0(VALU_DEP_2) | instskip(NEXT) | instid1(VALU_DEP_2)
	v_pk_fma_f32 v[0:1], v[30:31], v[40:41], v[0:1] op_sel_hi:[1,0,1]
	v_pk_fma_f32 v[8:9], v[38:39], v[40:41], v[8:9] op_sel_hi:[1,0,1]
	s_delay_alu instid0(VALU_DEP_2) | instskip(NEXT) | instid1(VALU_DEP_2)
	v_pk_fma_f32 v[0:1], v[30:31], v[40:41], v[0:1] op_sel:[1,1,0] op_sel_hi:[0,1,1] neg_lo:[1,0,0]
	v_pk_fma_f32 v[8:9], v[38:39], v[40:41], v[8:9] op_sel:[1,1,0] op_sel_hi:[0,1,1] neg_lo:[1,0,0]
	s_wait_loadcnt 0x17
	s_delay_alu instid0(VALU_DEP_2) | instskip(NEXT) | instid1(VALU_DEP_2)
	;; [unrolled: 7-line block ×10, first 2 shown]
	v_pk_fma_f32 v[0:1], v[18:19], v[26:27], v[0:1] op_sel_hi:[1,0,1]
	v_pk_fma_f32 v[8:9], v[22:23], v[26:27], v[8:9] op_sel_hi:[1,0,1]
	s_delay_alu instid0(VALU_DEP_2) | instskip(NEXT) | instid1(VALU_DEP_2)
	v_pk_fma_f32 v[0:1], v[18:19], v[26:27], v[0:1] op_sel:[1,1,0] op_sel_hi:[0,1,1] neg_lo:[1,0,0]
	v_pk_fma_f32 v[8:9], v[22:23], v[26:27], v[8:9] op_sel:[1,1,0] op_sel_hi:[0,1,1] neg_lo:[1,0,0]
	s_and_not1_b32 exec_lo, exec_lo, s2
	s_cbranch_execnz .LBB208_11
; %bb.12:
	s_or_b32 exec_lo, exec_lo, s2
.LBB208_13:
	s_delay_alu instid0(SALU_CYCLE_1)
	s_or_b32 exec_lo, exec_lo, s3
.LBB208_14:
	v_mbcnt_lo_u32_b32 v10, -1, 0
	s_delay_alu instid0(VALU_DEP_1) | instskip(SKIP_1) | instid1(VALU_DEP_1)
	v_xor_b32_e32 v15, 2, v10
	v_xor_b32_e32 v11, 4, v10
	v_cmp_gt_i32_e32 vcc_lo, 32, v11
	v_cndmask_b32_e32 v11, v10, v11, vcc_lo
	s_delay_alu instid0(VALU_DEP_1)
	v_lshlrev_b32_e32 v11, 2, v11
	ds_bpermute_b32 v13, v11, v1
	s_wait_dscnt 0x0
	v_add_f32_e32 v1, v1, v13
	ds_bpermute_b32 v12, v11, v0
	ds_bpermute_b32 v14, v11, v8
	;; [unrolled: 1-line block ×3, first 2 shown]
	s_wait_dscnt 0x2
	v_add_f32_e32 v0, v0, v12
	s_wait_dscnt 0x0
	v_dual_add_f32 v12, v8, v14 :: v_dual_add_f32 v9, v9, v11
	v_cmp_gt_i32_e32 vcc_lo, 32, v15
	v_cndmask_b32_e32 v15, v10, v15, vcc_lo
	s_delay_alu instid0(VALU_DEP_1)
	v_lshlrev_b32_e32 v15, 2, v15
	ds_bpermute_b32 v8, v15, v0
	ds_bpermute_b32 v11, v15, v1
	;; [unrolled: 1-line block ×4, first 2 shown]
	s_wait_dscnt 0x3
	v_dual_add_f32 v0, v0, v8 :: v_dual_bitop2_b32 v15, 1, v10 bitop3:0x14
	s_delay_alu instid0(VALU_DEP_1)
	v_cmp_gt_i32_e32 vcc_lo, 32, v15
	s_wait_dscnt 0x1
	v_dual_add_f32 v8, v1, v11 :: v_dual_add_f32 v1, v12, v13
	s_wait_dscnt 0x0
	v_dual_add_f32 v9, v9, v14 :: v_dual_cndmask_b32 v10, v10, v15
	v_cmp_eq_u32_e32 vcc_lo, 7, v7
	s_delay_alu instid0(VALU_DEP_2)
	v_lshlrev_b32_e32 v15, 2, v10
	ds_bpermute_b32 v12, v15, v0
	ds_bpermute_b32 v13, v15, v8
	;; [unrolled: 1-line block ×4, first 2 shown]
	s_and_b32 exec_lo, exec_lo, vcc_lo
	s_cbranch_execz .LBB208_19
; %bb.15:
	s_load_b64 s[2:3], s[0:1], 0x38
	v_cmp_eq_f32_e32 vcc_lo, 0, v4
	s_wait_xcnt 0x0
	v_cmp_eq_f32_e64 s0, 0, v5
	s_wait_dscnt 0x3
	v_add_f32_e32 v0, v0, v12
	s_wait_dscnt 0x1
	v_dual_add_f32 v12, v8, v13 :: v_dual_add_f32 v8, v1, v10
	s_wait_dscnt 0x0
	v_add_f32_e32 v10, v9, v11
	s_and_b32 s0, vcc_lo, s0
	s_delay_alu instid0(SALU_CYCLE_1) | instskip(NEXT) | instid1(SALU_CYCLE_1)
	s_and_saveexec_b32 s1, s0
	s_xor_b32 s0, exec_lo, s1
	s_cbranch_execz .LBB208_17
; %bb.16:
	v_xor_b32_e32 v4, 0x80000000, v3
	v_dual_mov_b32 v5, v2 :: v_dual_lshlrev_b32 v6, 1, v6
	s_delay_alu instid0(VALU_DEP_1) | instskip(NEXT) | instid1(VALU_DEP_2)
	v_ashrrev_i32_e32 v7, 31, v6
	v_pk_mul_f32 v[12:13], v[12:13], v[4:5] op_sel_hi:[0,1]
	v_pk_mul_f32 v[4:5], v[10:11], v[4:5] op_sel_hi:[0,1]
                                        ; implicit-def: $vgpr10
	s_wait_kmcnt 0x0
	s_delay_alu instid0(VALU_DEP_3) | instskip(NEXT) | instid1(VALU_DEP_3)
	v_lshl_add_u64 v[6:7], v[6:7], 3, s[2:3]
	v_pk_fma_f32 v[0:1], v[2:3], v[0:1], v[12:13] op_sel_hi:[1,0,1]
	s_delay_alu instid0(VALU_DEP_3)
	v_pk_fma_f32 v[2:3], v[2:3], v[8:9], v[4:5] op_sel_hi:[1,0,1]
                                        ; implicit-def: $vgpr4_vgpr5
                                        ; implicit-def: $vgpr12
                                        ; implicit-def: $vgpr8
	global_store_b128 v[6:7], v[0:3], off
                                        ; implicit-def: $vgpr6
                                        ; implicit-def: $vgpr2_vgpr3
                                        ; implicit-def: $vgpr0
.LBB208_17:
	s_wait_xcnt 0x0
	s_and_not1_saveexec_b32 s0, s0
	s_cbranch_execz .LBB208_19
; %bb.18:
	v_dual_mov_b32 v19, v2 :: v_dual_lshlrev_b32 v6, 1, v6
	v_xor_b32_e32 v18, 0x80000000, v3
	s_delay_alu instid0(VALU_DEP_2) | instskip(NEXT) | instid1(VALU_DEP_2)
	v_ashrrev_i32_e32 v7, 31, v6
	v_pk_mul_f32 v[12:13], v[12:13], v[18:19] op_sel_hi:[0,1]
	v_pk_mul_f32 v[10:11], v[10:11], v[18:19] op_sel_hi:[0,1]
	s_delay_alu instid0(VALU_DEP_2) | instskip(NEXT) | instid1(VALU_DEP_2)
	v_pk_fma_f32 v[0:1], v[2:3], v[0:1], v[12:13] op_sel_hi:[1,0,1]
	v_pk_fma_f32 v[2:3], v[2:3], v[8:9], v[10:11] op_sel_hi:[1,0,1]
	v_mov_b32_e32 v9, v4
	s_wait_kmcnt 0x0
	v_lshl_add_u64 v[6:7], v[6:7], 3, s[2:3]
	v_xor_b32_e32 v8, 0x80000000, v5
	global_load_b128 v[14:17], v[6:7], off
	s_wait_loadcnt 0x0
	v_pk_fma_f32 v[0:1], v[4:5], v[14:15], v[0:1] op_sel_hi:[1,0,1]
	v_pk_fma_f32 v[2:3], v[4:5], v[16:17], v[2:3] op_sel_hi:[1,0,1]
	v_mov_b32_e32 v4, v17
	s_delay_alu instid0(VALU_DEP_3) | instskip(NEXT) | instid1(VALU_DEP_2)
	v_pk_fma_f32 v[0:1], v[8:9], v[14:15], v[0:1] op_sel:[0,1,0]
	v_pk_fma_f32 v[2:3], v[8:9], v[4:5], v[2:3] op_sel_hi:[1,0,1]
	global_store_b128 v[6:7], v[0:3], off
.LBB208_19:
	s_sendmsg sendmsg(MSG_DEALLOC_VGPRS)
	s_endpgm
	.section	.rodata,"a",@progbits
	.p2align	6, 0x0
	.amdhsa_kernel _ZN9rocsparseL19gebsrmvn_2xn_kernelILj128ELj13ELj8E21rocsparse_complex_numIfEEEvi20rocsparse_direction_NS_24const_host_device_scalarIT2_EEPKiS8_PKS5_SA_S6_PS5_21rocsparse_index_base_b
		.amdhsa_group_segment_fixed_size 0
		.amdhsa_private_segment_fixed_size 0
		.amdhsa_kernarg_size 72
		.amdhsa_user_sgpr_count 2
		.amdhsa_user_sgpr_dispatch_ptr 0
		.amdhsa_user_sgpr_queue_ptr 0
		.amdhsa_user_sgpr_kernarg_segment_ptr 1
		.amdhsa_user_sgpr_dispatch_id 0
		.amdhsa_user_sgpr_kernarg_preload_length 0
		.amdhsa_user_sgpr_kernarg_preload_offset 0
		.amdhsa_user_sgpr_private_segment_size 0
		.amdhsa_wavefront_size32 1
		.amdhsa_uses_dynamic_stack 0
		.amdhsa_enable_private_segment 0
		.amdhsa_system_sgpr_workgroup_id_x 1
		.amdhsa_system_sgpr_workgroup_id_y 0
		.amdhsa_system_sgpr_workgroup_id_z 0
		.amdhsa_system_sgpr_workgroup_info 0
		.amdhsa_system_vgpr_workitem_id 0
		.amdhsa_next_free_vgpr 96
		.amdhsa_next_free_sgpr 14
		.amdhsa_named_barrier_count 0
		.amdhsa_reserve_vcc 1
		.amdhsa_float_round_mode_32 0
		.amdhsa_float_round_mode_16_64 0
		.amdhsa_float_denorm_mode_32 3
		.amdhsa_float_denorm_mode_16_64 3
		.amdhsa_fp16_overflow 0
		.amdhsa_memory_ordered 1
		.amdhsa_forward_progress 1
		.amdhsa_inst_pref_size 31
		.amdhsa_round_robin_scheduling 0
		.amdhsa_exception_fp_ieee_invalid_op 0
		.amdhsa_exception_fp_denorm_src 0
		.amdhsa_exception_fp_ieee_div_zero 0
		.amdhsa_exception_fp_ieee_overflow 0
		.amdhsa_exception_fp_ieee_underflow 0
		.amdhsa_exception_fp_ieee_inexact 0
		.amdhsa_exception_int_div_zero 0
	.end_amdhsa_kernel
	.section	.text._ZN9rocsparseL19gebsrmvn_2xn_kernelILj128ELj13ELj8E21rocsparse_complex_numIfEEEvi20rocsparse_direction_NS_24const_host_device_scalarIT2_EEPKiS8_PKS5_SA_S6_PS5_21rocsparse_index_base_b,"axG",@progbits,_ZN9rocsparseL19gebsrmvn_2xn_kernelILj128ELj13ELj8E21rocsparse_complex_numIfEEEvi20rocsparse_direction_NS_24const_host_device_scalarIT2_EEPKiS8_PKS5_SA_S6_PS5_21rocsparse_index_base_b,comdat
.Lfunc_end208:
	.size	_ZN9rocsparseL19gebsrmvn_2xn_kernelILj128ELj13ELj8E21rocsparse_complex_numIfEEEvi20rocsparse_direction_NS_24const_host_device_scalarIT2_EEPKiS8_PKS5_SA_S6_PS5_21rocsparse_index_base_b, .Lfunc_end208-_ZN9rocsparseL19gebsrmvn_2xn_kernelILj128ELj13ELj8E21rocsparse_complex_numIfEEEvi20rocsparse_direction_NS_24const_host_device_scalarIT2_EEPKiS8_PKS5_SA_S6_PS5_21rocsparse_index_base_b
                                        ; -- End function
	.set _ZN9rocsparseL19gebsrmvn_2xn_kernelILj128ELj13ELj8E21rocsparse_complex_numIfEEEvi20rocsparse_direction_NS_24const_host_device_scalarIT2_EEPKiS8_PKS5_SA_S6_PS5_21rocsparse_index_base_b.num_vgpr, 96
	.set _ZN9rocsparseL19gebsrmvn_2xn_kernelILj128ELj13ELj8E21rocsparse_complex_numIfEEEvi20rocsparse_direction_NS_24const_host_device_scalarIT2_EEPKiS8_PKS5_SA_S6_PS5_21rocsparse_index_base_b.num_agpr, 0
	.set _ZN9rocsparseL19gebsrmvn_2xn_kernelILj128ELj13ELj8E21rocsparse_complex_numIfEEEvi20rocsparse_direction_NS_24const_host_device_scalarIT2_EEPKiS8_PKS5_SA_S6_PS5_21rocsparse_index_base_b.numbered_sgpr, 14
	.set _ZN9rocsparseL19gebsrmvn_2xn_kernelILj128ELj13ELj8E21rocsparse_complex_numIfEEEvi20rocsparse_direction_NS_24const_host_device_scalarIT2_EEPKiS8_PKS5_SA_S6_PS5_21rocsparse_index_base_b.num_named_barrier, 0
	.set _ZN9rocsparseL19gebsrmvn_2xn_kernelILj128ELj13ELj8E21rocsparse_complex_numIfEEEvi20rocsparse_direction_NS_24const_host_device_scalarIT2_EEPKiS8_PKS5_SA_S6_PS5_21rocsparse_index_base_b.private_seg_size, 0
	.set _ZN9rocsparseL19gebsrmvn_2xn_kernelILj128ELj13ELj8E21rocsparse_complex_numIfEEEvi20rocsparse_direction_NS_24const_host_device_scalarIT2_EEPKiS8_PKS5_SA_S6_PS5_21rocsparse_index_base_b.uses_vcc, 1
	.set _ZN9rocsparseL19gebsrmvn_2xn_kernelILj128ELj13ELj8E21rocsparse_complex_numIfEEEvi20rocsparse_direction_NS_24const_host_device_scalarIT2_EEPKiS8_PKS5_SA_S6_PS5_21rocsparse_index_base_b.uses_flat_scratch, 1
	.set _ZN9rocsparseL19gebsrmvn_2xn_kernelILj128ELj13ELj8E21rocsparse_complex_numIfEEEvi20rocsparse_direction_NS_24const_host_device_scalarIT2_EEPKiS8_PKS5_SA_S6_PS5_21rocsparse_index_base_b.has_dyn_sized_stack, 0
	.set _ZN9rocsparseL19gebsrmvn_2xn_kernelILj128ELj13ELj8E21rocsparse_complex_numIfEEEvi20rocsparse_direction_NS_24const_host_device_scalarIT2_EEPKiS8_PKS5_SA_S6_PS5_21rocsparse_index_base_b.has_recursion, 0
	.set _ZN9rocsparseL19gebsrmvn_2xn_kernelILj128ELj13ELj8E21rocsparse_complex_numIfEEEvi20rocsparse_direction_NS_24const_host_device_scalarIT2_EEPKiS8_PKS5_SA_S6_PS5_21rocsparse_index_base_b.has_indirect_call, 0
	.section	.AMDGPU.csdata,"",@progbits
; Kernel info:
; codeLenInByte = 3880
; TotalNumSgprs: 16
; NumVgprs: 96
; ScratchSize: 0
; MemoryBound: 0
; FloatMode: 240
; IeeeMode: 1
; LDSByteSize: 0 bytes/workgroup (compile time only)
; SGPRBlocks: 0
; VGPRBlocks: 5
; NumSGPRsForWavesPerEU: 16
; NumVGPRsForWavesPerEU: 96
; NamedBarCnt: 0
; Occupancy: 10
; WaveLimiterHint : 1
; COMPUTE_PGM_RSRC2:SCRATCH_EN: 0
; COMPUTE_PGM_RSRC2:USER_SGPR: 2
; COMPUTE_PGM_RSRC2:TRAP_HANDLER: 0
; COMPUTE_PGM_RSRC2:TGID_X_EN: 1
; COMPUTE_PGM_RSRC2:TGID_Y_EN: 0
; COMPUTE_PGM_RSRC2:TGID_Z_EN: 0
; COMPUTE_PGM_RSRC2:TIDIG_COMP_CNT: 0
	.section	.text._ZN9rocsparseL19gebsrmvn_2xn_kernelILj128ELj13ELj16E21rocsparse_complex_numIfEEEvi20rocsparse_direction_NS_24const_host_device_scalarIT2_EEPKiS8_PKS5_SA_S6_PS5_21rocsparse_index_base_b,"axG",@progbits,_ZN9rocsparseL19gebsrmvn_2xn_kernelILj128ELj13ELj16E21rocsparse_complex_numIfEEEvi20rocsparse_direction_NS_24const_host_device_scalarIT2_EEPKiS8_PKS5_SA_S6_PS5_21rocsparse_index_base_b,comdat
	.globl	_ZN9rocsparseL19gebsrmvn_2xn_kernelILj128ELj13ELj16E21rocsparse_complex_numIfEEEvi20rocsparse_direction_NS_24const_host_device_scalarIT2_EEPKiS8_PKS5_SA_S6_PS5_21rocsparse_index_base_b ; -- Begin function _ZN9rocsparseL19gebsrmvn_2xn_kernelILj128ELj13ELj16E21rocsparse_complex_numIfEEEvi20rocsparse_direction_NS_24const_host_device_scalarIT2_EEPKiS8_PKS5_SA_S6_PS5_21rocsparse_index_base_b
	.p2align	8
	.type	_ZN9rocsparseL19gebsrmvn_2xn_kernelILj128ELj13ELj16E21rocsparse_complex_numIfEEEvi20rocsparse_direction_NS_24const_host_device_scalarIT2_EEPKiS8_PKS5_SA_S6_PS5_21rocsparse_index_base_b,@function
_ZN9rocsparseL19gebsrmvn_2xn_kernelILj128ELj13ELj16E21rocsparse_complex_numIfEEEvi20rocsparse_direction_NS_24const_host_device_scalarIT2_EEPKiS8_PKS5_SA_S6_PS5_21rocsparse_index_base_b: ; @_ZN9rocsparseL19gebsrmvn_2xn_kernelILj128ELj13ELj16E21rocsparse_complex_numIfEEEvi20rocsparse_direction_NS_24const_host_device_scalarIT2_EEPKiS8_PKS5_SA_S6_PS5_21rocsparse_index_base_b
; %bb.0:
	s_clause 0x2
	s_load_b64 s[12:13], s[0:1], 0x40
	s_load_b64 s[2:3], s[0:1], 0x8
	;; [unrolled: 1-line block ×3, first 2 shown]
	v_mov_b32_e32 v1, 0
	s_add_nc_u64 s[6:7], s[0:1], 8
	s_add_nc_u64 s[8:9], s[0:1], 48
	s_wait_kmcnt 0x0
	s_bitcmp1_b32 s13, 0
	s_cselect_b32 s3, s7, s3
	s_cselect_b32 s2, s6, s2
	;; [unrolled: 1-line block ×4, first 2 shown]
	s_clause 0x1
	flat_load_b64 v[2:3], v1, s[2:3]
	flat_load_b64 v[4:5], v1, s[4:5]
	s_wait_loadcnt_dscnt 0x101
	v_cmp_eq_f32_e32 vcc_lo, 0, v2
	v_cmp_eq_f32_e64 s2, 0, v3
	s_wait_loadcnt_dscnt 0x0
	v_cmp_eq_f32_e64 s3, 1.0, v4
	v_cmp_eq_f32_e64 s4, 0, v5
	s_and_b32 s2, vcc_lo, s2
	s_and_b32 s3, s3, s4
	s_delay_alu instid0(SALU_CYCLE_1) | instskip(NEXT) | instid1(SALU_CYCLE_1)
	s_and_b32 s2, s2, s3
	s_xor_b32 s2, s2, -1
	s_delay_alu instid0(SALU_CYCLE_1)
	s_and_saveexec_b32 s3, s2
	s_cbranch_execz .LBB209_19
; %bb.1:
	s_load_b64 s[2:3], s[0:1], 0x0
	s_bfe_u32 s4, ttmp6, 0x4000c
	s_and_b32 s5, ttmp6, 15
	s_add_co_i32 s4, s4, 1
	s_getreg_b32 s6, hwreg(HW_REG_IB_STS2, 6, 4)
	s_mul_i32 s4, ttmp9, s4
	v_lshrrev_b32_e32 v1, 4, v0
	s_add_co_i32 s5, s5, s4
	s_cmp_eq_u32 s6, 0
	s_cselect_b32 s4, ttmp9, s5
	s_delay_alu instid0(VALU_DEP_1) | instid1(SALU_CYCLE_1)
	v_lshl_or_b32 v6, s4, 3, v1
	s_wait_kmcnt 0x0
	s_delay_alu instid0(VALU_DEP_1)
	v_cmp_gt_i32_e32 vcc_lo, s2, v6
	s_and_b32 exec_lo, exec_lo, vcc_lo
	s_cbranch_execz .LBB209_19
; %bb.2:
	s_load_b256 s[4:11], s[0:1], 0x10
	v_ashrrev_i32_e32 v7, 31, v6
	s_cmp_lg_u32 s3, 0
	s_wait_kmcnt 0x0
	s_delay_alu instid0(VALU_DEP_1)
	v_lshl_add_u64 v[8:9], v[6:7], 2, s[4:5]
	v_and_b32_e32 v7, 15, v0
	global_load_b64 v[8:9], v[8:9], off
	s_wait_loadcnt 0x0
	v_subrev_nc_u32_e32 v0, s12, v8
	v_subrev_nc_u32_e32 v12, s12, v9
	s_delay_alu instid0(VALU_DEP_2) | instskip(NEXT) | instid1(VALU_DEP_1)
	v_add_nc_u32_e32 v13, v0, v7
	v_cmp_lt_i32_e64 s2, v13, v12
	s_cbranch_scc0 .LBB209_8
; %bb.3:
	v_mov_b32_e32 v1, 0
	s_delay_alu instid0(VALU_DEP_1)
	v_dual_mov_b32 v0, v1 :: v_dual_mov_b32 v9, v1
	v_mov_b32_e32 v8, v1
	s_and_saveexec_b32 s3, s2
	s_cbranch_execz .LBB209_7
; %bb.4:
	v_mul_lo_u32 v10, v13, 26
	v_dual_mov_b32 v11, 0 :: v_dual_mov_b32 v14, v13
	s_mov_b32 s4, 0
	s_delay_alu instid0(VALU_DEP_1)
	v_dual_mov_b32 v8, v11 :: v_dual_mov_b32 v9, v11
	v_dual_mov_b32 v0, v11 :: v_dual_mov_b32 v1, v11
.LBB209_5:                              ; =>This Inner Loop Header: Depth=1
	global_load_b32 v15, v14, s[6:7] scale_offset
	v_lshl_add_u64 v[20:21], v[10:11], 3, s[8:9]
	v_dual_mov_b32 v23, v11 :: v_dual_add_nc_u32 v22, 2, v10
	v_dual_mov_b32 v25, v11 :: v_dual_mov_b32 v33, v11
	v_dual_mov_b32 v41, v11 :: v_dual_mov_b32 v49, v11
	s_delay_alu instid0(VALU_DEP_3)
	v_lshl_add_u64 v[26:27], v[22:23], 3, s[8:9]
	v_dual_mov_b32 v57, v11 :: v_dual_mov_b32 v29, v11
	v_dual_mov_b32 v37, v11 :: v_dual_mov_b32 v45, v11
	;; [unrolled: 1-line block ×3, first 2 shown]
	s_wait_xcnt 0x0
	v_add_nc_u32_e32 v14, 16, v14
	s_delay_alu instid0(VALU_DEP_1) | instskip(SKIP_3) | instid1(VALU_DEP_1)
	v_cmp_ge_i32_e32 vcc_lo, v14, v12
	s_or_b32 s4, vcc_lo, s4
	s_wait_loadcnt 0x0
	v_subrev_nc_u32_e32 v15, s12, v15
	v_mul_lo_u32 v15, v15, 13
	global_load_b128 v[16:19], v[20:21], off
	global_load_b64 v[68:69], v15, s[10:11] scale_offset
	v_dual_add_nc_u32 v24, 4, v10 :: v_dual_add_nc_u32 v28, 1, v15
	global_load_b128 v[20:23], v[26:27], off
	global_load_b64 v[70:71], v28, s[10:11] scale_offset
	s_wait_xcnt 0x0
	v_add_nc_u32_e32 v28, 6, v10
	v_lshl_add_u64 v[30:31], v[24:25], 3, s[8:9]
	v_add_nc_u32_e32 v32, 2, v15
	global_load_b128 v[24:27], v[30:31], off
	global_load_b64 v[72:73], v32, s[10:11] scale_offset
	v_lshl_add_u64 v[34:35], v[28:29], 3, s[8:9]
	s_wait_xcnt 0x0
	v_dual_add_nc_u32 v32, 8, v10 :: v_dual_add_nc_u32 v36, 3, v15
	global_load_b128 v[28:31], v[34:35], off
	global_load_b64 v[74:75], v36, s[10:11] scale_offset
	s_wait_xcnt 0x0
	v_add_nc_u32_e32 v36, 10, v10
	v_lshl_add_u64 v[38:39], v[32:33], 3, s[8:9]
	v_add_nc_u32_e32 v40, 4, v15
	global_load_b128 v[32:35], v[38:39], off
	global_load_b64 v[76:77], v40, s[10:11] scale_offset
	v_lshl_add_u64 v[42:43], v[36:37], 3, s[8:9]
	s_wait_xcnt 0x0
	;; [unrolled: 11-line block ×5, first 2 shown]
	v_dual_add_nc_u32 v64, 24, v10 :: v_dual_add_nc_u32 v92, 11, v15
	v_dual_mov_b32 v65, v11 :: v_dual_add_nc_u32 v15, 12, v15
	global_load_b128 v[60:63], v[66:67], off
	global_load_b64 v[90:91], v92, s[10:11] scale_offset
	v_add_nc_u32_e32 v10, 0x1a0, v10
	s_wait_xcnt 0x0
	v_lshl_add_u64 v[92:93], v[64:65], 3, s[8:9]
	global_load_b128 v[64:67], v[92:93], off
	global_load_b64 v[94:95], v15, s[10:11] scale_offset
	s_wait_loadcnt 0x19
	s_wait_xcnt 0x1
	v_xor_b32_e32 v92, 0x80000000, v19
	v_mov_b32_e32 v93, v18
	s_wait_loadcnt 0x18
	v_pk_fma_f32 v[0:1], v[16:17], v[68:69], v[0:1] op_sel_hi:[1,0,1]
	v_pk_fma_f32 v[8:9], v[18:19], v[68:69], v[8:9] op_sel_hi:[1,0,1]
	s_delay_alu instid0(VALU_DEP_2) | instskip(SKIP_2) | instid1(VALU_DEP_3)
	v_pk_fma_f32 v[0:1], v[16:17], v[68:69], v[0:1] op_sel:[1,1,0] op_sel_hi:[0,1,1] neg_lo:[1,0,0]
	s_wait_loadcnt 0x17
	v_mov_b32_e32 v17, v22
	v_pk_fma_f32 v[8:9], v[92:93], v[68:69], v[8:9] op_sel:[0,1,0]
	v_xor_b32_e32 v16, 0x80000000, v23
	s_wait_loadcnt 0x16
	v_pk_fma_f32 v[0:1], v[20:21], v[70:71], v[0:1] op_sel_hi:[1,0,1]
	s_delay_alu instid0(VALU_DEP_3) | instskip(NEXT) | instid1(VALU_DEP_2)
	v_pk_fma_f32 v[8:9], v[22:23], v[70:71], v[8:9] op_sel_hi:[1,0,1]
	v_pk_fma_f32 v[0:1], v[20:21], v[70:71], v[0:1] op_sel:[1,1,0] op_sel_hi:[0,1,1] neg_lo:[1,0,0]
	s_delay_alu instid0(VALU_DEP_2)
	v_pk_fma_f32 v[8:9], v[16:17], v[70:71], v[8:9] op_sel:[0,1,0]
	s_wait_loadcnt 0x15
	v_xor_b32_e32 v16, 0x80000000, v27
	v_mov_b32_e32 v17, v26
	s_wait_loadcnt 0x14
	v_pk_fma_f32 v[0:1], v[24:25], v[72:73], v[0:1] op_sel_hi:[1,0,1]
	v_pk_fma_f32 v[8:9], v[26:27], v[72:73], v[8:9] op_sel_hi:[1,0,1]
	s_delay_alu instid0(VALU_DEP_2) | instskip(NEXT) | instid1(VALU_DEP_2)
	v_pk_fma_f32 v[0:1], v[24:25], v[72:73], v[0:1] op_sel:[1,1,0] op_sel_hi:[0,1,1] neg_lo:[1,0,0]
	v_pk_fma_f32 v[8:9], v[16:17], v[72:73], v[8:9] op_sel:[0,1,0]
	s_wait_loadcnt 0x13
	v_xor_b32_e32 v16, 0x80000000, v31
	v_mov_b32_e32 v17, v30
	s_wait_loadcnt 0x12
	v_pk_fma_f32 v[0:1], v[28:29], v[74:75], v[0:1] op_sel_hi:[1,0,1]
	v_pk_fma_f32 v[8:9], v[30:31], v[74:75], v[8:9] op_sel_hi:[1,0,1]
	s_delay_alu instid0(VALU_DEP_2) | instskip(NEXT) | instid1(VALU_DEP_2)
	v_pk_fma_f32 v[0:1], v[28:29], v[74:75], v[0:1] op_sel:[1,1,0] op_sel_hi:[0,1,1] neg_lo:[1,0,0]
	;; [unrolled: 9-line block ×11, first 2 shown]
	v_pk_fma_f32 v[8:9], v[16:17], v[94:95], v[8:9] op_sel:[0,1,0]
	s_and_not1_b32 exec_lo, exec_lo, s4
	s_cbranch_execnz .LBB209_5
; %bb.6:
	s_or_b32 exec_lo, exec_lo, s4
.LBB209_7:
	s_delay_alu instid0(SALU_CYCLE_1)
	s_or_b32 exec_lo, exec_lo, s3
	s_cbranch_execz .LBB209_9
	s_branch .LBB209_14
.LBB209_8:
                                        ; implicit-def: $vgpr1
                                        ; implicit-def: $vgpr9
.LBB209_9:
	v_mov_b32_e32 v1, 0
	s_delay_alu instid0(VALU_DEP_1)
	v_dual_mov_b32 v0, v1 :: v_dual_mov_b32 v9, v1
	v_mov_b32_e32 v8, v1
	s_and_saveexec_b32 s3, s2
	s_cbranch_execz .LBB209_13
; %bb.10:
	v_mad_u32 v14, v13, 26, 25
	v_mov_b32_e32 v11, 0
	s_mov_b32 s2, 0
	s_delay_alu instid0(VALU_DEP_1)
	v_dual_mov_b32 v8, v11 :: v_dual_mov_b32 v9, v11
	v_dual_mov_b32 v0, v11 :: v_dual_mov_b32 v1, v11
.LBB209_11:                             ; =>This Inner Loop Header: Depth=1
	global_load_b32 v15, v13, s[6:7] scale_offset
	v_subrev_nc_u32_e32 v10, 25, v14
	v_dual_add_nc_u32 v26, -12, v14 :: v_dual_add_nc_u32 v27, -11, v14
	v_subrev_nc_u32_e32 v36, 22, v14
	v_dual_add_nc_u32 v37, -10, v14 :: v_dual_add_nc_u32 v42, -9, v14
	s_delay_alu instid0(VALU_DEP_4)
	v_lshl_add_u64 v[20:21], v[10:11], 3, s[8:9]
	v_add_nc_u32_e32 v48, -8, v14
	s_clause 0x2
	global_load_b64 v[22:23], v27, s[8:9] scale_offset
	global_load_b128 v[16:19], v[20:21], off
	global_load_b64 v[24:25], v26, s[8:9] scale_offset
	v_subrev_nc_u32_e32 v54, 19, v14
	v_subrev_nc_u32_e32 v61, 18, v14
	v_add_nc_u32_e32 v60, -6, v14
	v_subrev_nc_u32_e32 v72, 17, v14
	v_dual_add_nc_u32 v73, -4, v14 :: v_dual_add_nc_u32 v74, -16, v14
	v_dual_add_nc_u32 v80, -3, v14 :: v_dual_add_nc_u32 v75, -15, v14
	;; [unrolled: 1-line block ×3, first 2 shown]
	s_wait_xcnt 0x3
	v_add_nc_u32_e32 v13, 16, v13
	s_delay_alu instid0(VALU_DEP_1) | instskip(SKIP_3) | instid1(VALU_DEP_1)
	v_cmp_ge_i32_e32 vcc_lo, v13, v12
	s_or_b32 s2, vcc_lo, s2
	s_wait_loadcnt 0x3
	v_subrev_nc_u32_e32 v10, s12, v15
	v_mul_lo_u32 v10, v10, 13
	global_load_b64 v[20:21], v10, s[10:11] scale_offset
	v_dual_add_nc_u32 v15, 1, v10 :: v_dual_add_nc_u32 v38, 2, v10
	v_dual_add_nc_u32 v43, 3, v10 :: v_dual_add_nc_u32 v49, 4, v10
	;; [unrolled: 1-line block ×3, first 2 shown]
	global_load_b64 v[26:27], v15, s[10:11] scale_offset
	s_wait_xcnt 0x0
	v_subrev_nc_u32_e32 v15, 23, v14
	s_clause 0x2
	global_load_b64 v[28:29], v15, s[8:9] scale_offset
	global_load_b64 v[30:31], v36, s[8:9] scale_offset
	;; [unrolled: 1-line block ×4, first 2 shown]
	s_wait_xcnt 0x3
	v_subrev_nc_u32_e32 v15, 21, v14
	s_clause 0x1
	global_load_b64 v[36:37], v15, s[8:9] scale_offset
	global_load_b64 v[38:39], v42, s[8:9] scale_offset
	;; [unrolled: 1-line block ×3, first 2 shown]
	s_wait_xcnt 0x2
	v_subrev_nc_u32_e32 v15, 20, v14
	s_clause 0x1
	global_load_b64 v[42:43], v15, s[8:9] scale_offset
	global_load_b64 v[44:45], v48, s[8:9] scale_offset
	;; [unrolled: 1-line block ×3, first 2 shown]
	s_wait_xcnt 0x2
	v_add_nc_u32_e32 v15, -7, v14
	s_clause 0x1
	global_load_b64 v[48:49], v54, s[8:9] scale_offset
	global_load_b64 v[50:51], v15, s[8:9] scale_offset
	;; [unrolled: 1-line block ×3, first 2 shown]
	s_wait_xcnt 0x1
	v_add_nc_u32_e32 v15, -5, v14
	s_clause 0x1
	global_load_b64 v[54:55], v61, s[8:9] scale_offset
	global_load_b64 v[56:57], v60, s[8:9] scale_offset
	;; [unrolled: 1-line block ×3, first 2 shown]
	v_add_nc_u32_e32 v76, 7, v10
	s_clause 0x1
	global_load_b64 v[60:61], v15, s[8:9] scale_offset
	global_load_b64 v[62:63], v72, s[8:9] scale_offset
	;; [unrolled: 1-line block ×3, first 2 shown]
	s_clause 0x2
	global_load_b64 v[66:67], v74, s[8:9] scale_offset
	global_load_b64 v[68:69], v73, s[8:9] scale_offset
	global_load_b64 v[70:71], v75, s[8:9] scale_offset
	s_wait_xcnt 0x5
	v_add_nc_u32_e32 v15, 8, v10
	s_clause 0x2
	global_load_b64 v[72:73], v80, s[8:9] scale_offset
	global_load_b64 v[74:75], v82, s[8:9] scale_offset
	;; [unrolled: 1-line block ×4, first 2 shown]
	s_wait_xcnt 0x0
	v_dual_add_nc_u32 v15, 9, v10 :: v_dual_add_nc_u32 v80, 10, v10
	v_add_nc_u32_e32 v82, -1, v14
	v_dual_add_nc_u32 v83, 11, v10 :: v_dual_add_nc_u32 v10, 12, v10
	s_wait_loadcnt 0x1b
	v_pk_fma_f32 v[8:9], v[24:25], v[20:21], v[8:9] op_sel_hi:[1,0,1]
	v_pk_fma_f32 v[0:1], v[16:17], v[20:21], v[0:1] op_sel_hi:[1,0,1]
	s_delay_alu instid0(VALU_DEP_2)
	v_pk_fma_f32 v[8:9], v[24:25], v[20:21], v[8:9] op_sel:[1,1,0] op_sel_hi:[0,1,1] neg_lo:[1,0,0]
	global_load_b64 v[24:25], v15, s[10:11] scale_offset
	v_pk_fma_f32 v[0:1], v[16:17], v[20:21], v[0:1] op_sel:[1,1,0] op_sel_hi:[0,1,1] neg_lo:[1,0,0]
	global_load_b64 v[20:21], v80, s[10:11] scale_offset
	v_xor_b32_e32 v16, 0x80000000, v19
	s_wait_xcnt 0x1
	v_dual_mov_b32 v17, v18 :: v_dual_add_nc_u32 v15, -13, v14
	s_wait_loadcnt 0x1c
	v_pk_fma_f32 v[0:1], v[18:19], v[26:27], v[0:1] op_sel_hi:[1,0,1]
	v_pk_fma_f32 v[8:9], v[22:23], v[26:27], v[8:9] op_sel_hi:[1,0,1]
	global_load_b64 v[18:19], v15, s[8:9] scale_offset
	v_pk_fma_f32 v[0:1], v[16:17], v[26:27], v[0:1] op_sel:[0,1,0]
	global_load_b64 v[16:17], v82, s[8:9] scale_offset
	global_load_b64 v[80:81], v83, s[10:11] scale_offset
	v_pk_fma_f32 v[8:9], v[22:23], v[26:27], v[8:9] op_sel:[1,1,0] op_sel_hi:[0,1,1] neg_lo:[1,0,0]
	global_load_b64 v[22:23], v14, s[8:9] scale_offset
	global_load_b64 v[26:27], v10, s[10:11] scale_offset
	s_wait_xcnt 0x1
	v_add_nc_u32_e32 v14, 0x1a0, v14
	s_wait_loadcnt 0x1d
	v_pk_fma_f32 v[0:1], v[28:29], v[34:35], v[0:1] op_sel_hi:[1,0,1]
	v_pk_fma_f32 v[8:9], v[32:33], v[34:35], v[8:9] op_sel_hi:[1,0,1]
	s_delay_alu instid0(VALU_DEP_2) | instskip(NEXT) | instid1(VALU_DEP_2)
	v_pk_fma_f32 v[0:1], v[28:29], v[34:35], v[0:1] op_sel:[1,1,0] op_sel_hi:[0,1,1] neg_lo:[1,0,0]
	v_pk_fma_f32 v[8:9], v[32:33], v[34:35], v[8:9] op_sel:[1,1,0] op_sel_hi:[0,1,1] neg_lo:[1,0,0]
	s_wait_loadcnt 0x1a
	s_delay_alu instid0(VALU_DEP_2) | instskip(NEXT) | instid1(VALU_DEP_2)
	v_pk_fma_f32 v[0:1], v[30:31], v[40:41], v[0:1] op_sel_hi:[1,0,1]
	v_pk_fma_f32 v[8:9], v[38:39], v[40:41], v[8:9] op_sel_hi:[1,0,1]
	s_delay_alu instid0(VALU_DEP_2) | instskip(NEXT) | instid1(VALU_DEP_2)
	v_pk_fma_f32 v[0:1], v[30:31], v[40:41], v[0:1] op_sel:[1,1,0] op_sel_hi:[0,1,1] neg_lo:[1,0,0]
	v_pk_fma_f32 v[8:9], v[38:39], v[40:41], v[8:9] op_sel:[1,1,0] op_sel_hi:[0,1,1] neg_lo:[1,0,0]
	s_wait_loadcnt 0x17
	s_delay_alu instid0(VALU_DEP_2) | instskip(NEXT) | instid1(VALU_DEP_2)
	;; [unrolled: 7-line block ×10, first 2 shown]
	v_pk_fma_f32 v[0:1], v[18:19], v[26:27], v[0:1] op_sel_hi:[1,0,1]
	v_pk_fma_f32 v[8:9], v[22:23], v[26:27], v[8:9] op_sel_hi:[1,0,1]
	s_delay_alu instid0(VALU_DEP_2) | instskip(NEXT) | instid1(VALU_DEP_2)
	v_pk_fma_f32 v[0:1], v[18:19], v[26:27], v[0:1] op_sel:[1,1,0] op_sel_hi:[0,1,1] neg_lo:[1,0,0]
	v_pk_fma_f32 v[8:9], v[22:23], v[26:27], v[8:9] op_sel:[1,1,0] op_sel_hi:[0,1,1] neg_lo:[1,0,0]
	s_and_not1_b32 exec_lo, exec_lo, s2
	s_cbranch_execnz .LBB209_11
; %bb.12:
	s_or_b32 exec_lo, exec_lo, s2
.LBB209_13:
	s_delay_alu instid0(SALU_CYCLE_1)
	s_or_b32 exec_lo, exec_lo, s3
.LBB209_14:
	v_mbcnt_lo_u32_b32 v10, -1, 0
	s_delay_alu instid0(VALU_DEP_1) | instskip(SKIP_1) | instid1(VALU_DEP_1)
	v_xor_b32_e32 v15, 4, v10
	v_xor_b32_e32 v11, 8, v10
	v_cmp_gt_i32_e32 vcc_lo, 32, v11
	v_cndmask_b32_e32 v11, v10, v11, vcc_lo
	s_delay_alu instid0(VALU_DEP_1)
	v_lshlrev_b32_e32 v11, 2, v11
	ds_bpermute_b32 v13, v11, v1
	s_wait_dscnt 0x0
	v_add_f32_e32 v1, v1, v13
	ds_bpermute_b32 v12, v11, v0
	ds_bpermute_b32 v14, v11, v8
	;; [unrolled: 1-line block ×3, first 2 shown]
	s_wait_dscnt 0x2
	v_add_f32_e32 v0, v0, v12
	s_wait_dscnt 0x0
	v_dual_add_f32 v8, v8, v14 :: v_dual_add_f32 v9, v9, v11
	v_cmp_gt_i32_e32 vcc_lo, 32, v15
	v_cndmask_b32_e32 v15, v10, v15, vcc_lo
	s_delay_alu instid0(VALU_DEP_1)
	v_lshlrev_b32_e32 v15, 2, v15
	ds_bpermute_b32 v11, v15, v0
	ds_bpermute_b32 v12, v15, v1
	;; [unrolled: 1-line block ×4, first 2 shown]
	s_wait_dscnt 0x3
	v_dual_add_f32 v0, v0, v11 :: v_dual_bitop2_b32 v15, 2, v10 bitop3:0x14
	s_delay_alu instid0(VALU_DEP_1)
	v_cmp_gt_i32_e32 vcc_lo, 32, v15
	s_wait_dscnt 0x2
	v_add_f32_e32 v1, v1, v12
	s_wait_dscnt 0x0
	v_dual_add_f32 v9, v9, v14 :: v_dual_add_f32 v11, v8, v13
	v_cndmask_b32_e32 v15, v10, v15, vcc_lo
	s_delay_alu instid0(VALU_DEP_1)
	v_lshlrev_b32_e32 v15, 2, v15
	ds_bpermute_b32 v8, v15, v0
	ds_bpermute_b32 v12, v15, v1
	;; [unrolled: 1-line block ×4, first 2 shown]
	s_wait_dscnt 0x3
	v_dual_add_f32 v0, v0, v8 :: v_dual_bitop2_b32 v15, 1, v10 bitop3:0x14
	s_delay_alu instid0(VALU_DEP_1)
	v_cmp_gt_i32_e32 vcc_lo, 32, v15
	s_wait_dscnt 0x2
	v_dual_add_f32 v8, v1, v12 :: v_dual_cndmask_b32 v10, v10, v15, vcc_lo
	s_wait_dscnt 0x0
	v_dual_add_f32 v1, v11, v13 :: v_dual_add_f32 v9, v9, v14
	v_cmp_eq_u32_e32 vcc_lo, 15, v7
	s_delay_alu instid0(VALU_DEP_3)
	v_lshlrev_b32_e32 v15, 2, v10
	ds_bpermute_b32 v12, v15, v0
	ds_bpermute_b32 v13, v15, v8
	;; [unrolled: 1-line block ×4, first 2 shown]
	s_and_b32 exec_lo, exec_lo, vcc_lo
	s_cbranch_execz .LBB209_19
; %bb.15:
	s_load_b64 s[2:3], s[0:1], 0x38
	v_cmp_eq_f32_e32 vcc_lo, 0, v4
	s_wait_xcnt 0x0
	v_cmp_eq_f32_e64 s0, 0, v5
	s_wait_dscnt 0x3
	v_add_f32_e32 v0, v0, v12
	s_wait_dscnt 0x1
	v_dual_add_f32 v12, v8, v13 :: v_dual_add_f32 v8, v1, v10
	s_wait_dscnt 0x0
	v_add_f32_e32 v10, v9, v11
	s_and_b32 s0, vcc_lo, s0
	s_delay_alu instid0(SALU_CYCLE_1) | instskip(NEXT) | instid1(SALU_CYCLE_1)
	s_and_saveexec_b32 s1, s0
	s_xor_b32 s0, exec_lo, s1
	s_cbranch_execz .LBB209_17
; %bb.16:
	v_xor_b32_e32 v4, 0x80000000, v3
	v_dual_mov_b32 v5, v2 :: v_dual_lshlrev_b32 v6, 1, v6
	s_delay_alu instid0(VALU_DEP_1) | instskip(NEXT) | instid1(VALU_DEP_2)
	v_ashrrev_i32_e32 v7, 31, v6
	v_pk_mul_f32 v[12:13], v[12:13], v[4:5] op_sel_hi:[0,1]
	v_pk_mul_f32 v[4:5], v[10:11], v[4:5] op_sel_hi:[0,1]
                                        ; implicit-def: $vgpr10
	s_wait_kmcnt 0x0
	s_delay_alu instid0(VALU_DEP_3) | instskip(NEXT) | instid1(VALU_DEP_3)
	v_lshl_add_u64 v[6:7], v[6:7], 3, s[2:3]
	v_pk_fma_f32 v[0:1], v[2:3], v[0:1], v[12:13] op_sel_hi:[1,0,1]
	s_delay_alu instid0(VALU_DEP_3)
	v_pk_fma_f32 v[2:3], v[2:3], v[8:9], v[4:5] op_sel_hi:[1,0,1]
                                        ; implicit-def: $vgpr4_vgpr5
                                        ; implicit-def: $vgpr12
                                        ; implicit-def: $vgpr8
	global_store_b128 v[6:7], v[0:3], off
                                        ; implicit-def: $vgpr6
                                        ; implicit-def: $vgpr2_vgpr3
                                        ; implicit-def: $vgpr0
.LBB209_17:
	s_wait_xcnt 0x0
	s_and_not1_saveexec_b32 s0, s0
	s_cbranch_execz .LBB209_19
; %bb.18:
	v_dual_mov_b32 v19, v2 :: v_dual_lshlrev_b32 v6, 1, v6
	v_xor_b32_e32 v18, 0x80000000, v3
	s_delay_alu instid0(VALU_DEP_2) | instskip(NEXT) | instid1(VALU_DEP_2)
	v_ashrrev_i32_e32 v7, 31, v6
	v_pk_mul_f32 v[12:13], v[12:13], v[18:19] op_sel_hi:[0,1]
	v_pk_mul_f32 v[10:11], v[10:11], v[18:19] op_sel_hi:[0,1]
	s_delay_alu instid0(VALU_DEP_2) | instskip(NEXT) | instid1(VALU_DEP_2)
	v_pk_fma_f32 v[0:1], v[2:3], v[0:1], v[12:13] op_sel_hi:[1,0,1]
	v_pk_fma_f32 v[2:3], v[2:3], v[8:9], v[10:11] op_sel_hi:[1,0,1]
	v_mov_b32_e32 v9, v4
	s_wait_kmcnt 0x0
	v_lshl_add_u64 v[6:7], v[6:7], 3, s[2:3]
	v_xor_b32_e32 v8, 0x80000000, v5
	global_load_b128 v[14:17], v[6:7], off
	s_wait_loadcnt 0x0
	v_pk_fma_f32 v[0:1], v[4:5], v[14:15], v[0:1] op_sel_hi:[1,0,1]
	v_pk_fma_f32 v[2:3], v[4:5], v[16:17], v[2:3] op_sel_hi:[1,0,1]
	v_mov_b32_e32 v4, v17
	s_delay_alu instid0(VALU_DEP_3) | instskip(NEXT) | instid1(VALU_DEP_2)
	v_pk_fma_f32 v[0:1], v[8:9], v[14:15], v[0:1] op_sel:[0,1,0]
	v_pk_fma_f32 v[2:3], v[8:9], v[4:5], v[2:3] op_sel_hi:[1,0,1]
	global_store_b128 v[6:7], v[0:3], off
.LBB209_19:
	s_sendmsg sendmsg(MSG_DEALLOC_VGPRS)
	s_endpgm
	.section	.rodata,"a",@progbits
	.p2align	6, 0x0
	.amdhsa_kernel _ZN9rocsparseL19gebsrmvn_2xn_kernelILj128ELj13ELj16E21rocsparse_complex_numIfEEEvi20rocsparse_direction_NS_24const_host_device_scalarIT2_EEPKiS8_PKS5_SA_S6_PS5_21rocsparse_index_base_b
		.amdhsa_group_segment_fixed_size 0
		.amdhsa_private_segment_fixed_size 0
		.amdhsa_kernarg_size 72
		.amdhsa_user_sgpr_count 2
		.amdhsa_user_sgpr_dispatch_ptr 0
		.amdhsa_user_sgpr_queue_ptr 0
		.amdhsa_user_sgpr_kernarg_segment_ptr 1
		.amdhsa_user_sgpr_dispatch_id 0
		.amdhsa_user_sgpr_kernarg_preload_length 0
		.amdhsa_user_sgpr_kernarg_preload_offset 0
		.amdhsa_user_sgpr_private_segment_size 0
		.amdhsa_wavefront_size32 1
		.amdhsa_uses_dynamic_stack 0
		.amdhsa_enable_private_segment 0
		.amdhsa_system_sgpr_workgroup_id_x 1
		.amdhsa_system_sgpr_workgroup_id_y 0
		.amdhsa_system_sgpr_workgroup_id_z 0
		.amdhsa_system_sgpr_workgroup_info 0
		.amdhsa_system_vgpr_workitem_id 0
		.amdhsa_next_free_vgpr 96
		.amdhsa_next_free_sgpr 14
		.amdhsa_named_barrier_count 0
		.amdhsa_reserve_vcc 1
		.amdhsa_float_round_mode_32 0
		.amdhsa_float_round_mode_16_64 0
		.amdhsa_float_denorm_mode_32 3
		.amdhsa_float_denorm_mode_16_64 3
		.amdhsa_fp16_overflow 0
		.amdhsa_memory_ordered 1
		.amdhsa_forward_progress 1
		.amdhsa_inst_pref_size 32
		.amdhsa_round_robin_scheduling 0
		.amdhsa_exception_fp_ieee_invalid_op 0
		.amdhsa_exception_fp_denorm_src 0
		.amdhsa_exception_fp_ieee_div_zero 0
		.amdhsa_exception_fp_ieee_overflow 0
		.amdhsa_exception_fp_ieee_underflow 0
		.amdhsa_exception_fp_ieee_inexact 0
		.amdhsa_exception_int_div_zero 0
	.end_amdhsa_kernel
	.section	.text._ZN9rocsparseL19gebsrmvn_2xn_kernelILj128ELj13ELj16E21rocsparse_complex_numIfEEEvi20rocsparse_direction_NS_24const_host_device_scalarIT2_EEPKiS8_PKS5_SA_S6_PS5_21rocsparse_index_base_b,"axG",@progbits,_ZN9rocsparseL19gebsrmvn_2xn_kernelILj128ELj13ELj16E21rocsparse_complex_numIfEEEvi20rocsparse_direction_NS_24const_host_device_scalarIT2_EEPKiS8_PKS5_SA_S6_PS5_21rocsparse_index_base_b,comdat
.Lfunc_end209:
	.size	_ZN9rocsparseL19gebsrmvn_2xn_kernelILj128ELj13ELj16E21rocsparse_complex_numIfEEEvi20rocsparse_direction_NS_24const_host_device_scalarIT2_EEPKiS8_PKS5_SA_S6_PS5_21rocsparse_index_base_b, .Lfunc_end209-_ZN9rocsparseL19gebsrmvn_2xn_kernelILj128ELj13ELj16E21rocsparse_complex_numIfEEEvi20rocsparse_direction_NS_24const_host_device_scalarIT2_EEPKiS8_PKS5_SA_S6_PS5_21rocsparse_index_base_b
                                        ; -- End function
	.set _ZN9rocsparseL19gebsrmvn_2xn_kernelILj128ELj13ELj16E21rocsparse_complex_numIfEEEvi20rocsparse_direction_NS_24const_host_device_scalarIT2_EEPKiS8_PKS5_SA_S6_PS5_21rocsparse_index_base_b.num_vgpr, 96
	.set _ZN9rocsparseL19gebsrmvn_2xn_kernelILj128ELj13ELj16E21rocsparse_complex_numIfEEEvi20rocsparse_direction_NS_24const_host_device_scalarIT2_EEPKiS8_PKS5_SA_S6_PS5_21rocsparse_index_base_b.num_agpr, 0
	.set _ZN9rocsparseL19gebsrmvn_2xn_kernelILj128ELj13ELj16E21rocsparse_complex_numIfEEEvi20rocsparse_direction_NS_24const_host_device_scalarIT2_EEPKiS8_PKS5_SA_S6_PS5_21rocsparse_index_base_b.numbered_sgpr, 14
	.set _ZN9rocsparseL19gebsrmvn_2xn_kernelILj128ELj13ELj16E21rocsparse_complex_numIfEEEvi20rocsparse_direction_NS_24const_host_device_scalarIT2_EEPKiS8_PKS5_SA_S6_PS5_21rocsparse_index_base_b.num_named_barrier, 0
	.set _ZN9rocsparseL19gebsrmvn_2xn_kernelILj128ELj13ELj16E21rocsparse_complex_numIfEEEvi20rocsparse_direction_NS_24const_host_device_scalarIT2_EEPKiS8_PKS5_SA_S6_PS5_21rocsparse_index_base_b.private_seg_size, 0
	.set _ZN9rocsparseL19gebsrmvn_2xn_kernelILj128ELj13ELj16E21rocsparse_complex_numIfEEEvi20rocsparse_direction_NS_24const_host_device_scalarIT2_EEPKiS8_PKS5_SA_S6_PS5_21rocsparse_index_base_b.uses_vcc, 1
	.set _ZN9rocsparseL19gebsrmvn_2xn_kernelILj128ELj13ELj16E21rocsparse_complex_numIfEEEvi20rocsparse_direction_NS_24const_host_device_scalarIT2_EEPKiS8_PKS5_SA_S6_PS5_21rocsparse_index_base_b.uses_flat_scratch, 1
	.set _ZN9rocsparseL19gebsrmvn_2xn_kernelILj128ELj13ELj16E21rocsparse_complex_numIfEEEvi20rocsparse_direction_NS_24const_host_device_scalarIT2_EEPKiS8_PKS5_SA_S6_PS5_21rocsparse_index_base_b.has_dyn_sized_stack, 0
	.set _ZN9rocsparseL19gebsrmvn_2xn_kernelILj128ELj13ELj16E21rocsparse_complex_numIfEEEvi20rocsparse_direction_NS_24const_host_device_scalarIT2_EEPKiS8_PKS5_SA_S6_PS5_21rocsparse_index_base_b.has_recursion, 0
	.set _ZN9rocsparseL19gebsrmvn_2xn_kernelILj128ELj13ELj16E21rocsparse_complex_numIfEEEvi20rocsparse_direction_NS_24const_host_device_scalarIT2_EEPKiS8_PKS5_SA_S6_PS5_21rocsparse_index_base_b.has_indirect_call, 0
	.section	.AMDGPU.csdata,"",@progbits
; Kernel info:
; codeLenInByte = 3980
; TotalNumSgprs: 16
; NumVgprs: 96
; ScratchSize: 0
; MemoryBound: 0
; FloatMode: 240
; IeeeMode: 1
; LDSByteSize: 0 bytes/workgroup (compile time only)
; SGPRBlocks: 0
; VGPRBlocks: 5
; NumSGPRsForWavesPerEU: 16
; NumVGPRsForWavesPerEU: 96
; NamedBarCnt: 0
; Occupancy: 10
; WaveLimiterHint : 1
; COMPUTE_PGM_RSRC2:SCRATCH_EN: 0
; COMPUTE_PGM_RSRC2:USER_SGPR: 2
; COMPUTE_PGM_RSRC2:TRAP_HANDLER: 0
; COMPUTE_PGM_RSRC2:TGID_X_EN: 1
; COMPUTE_PGM_RSRC2:TGID_Y_EN: 0
; COMPUTE_PGM_RSRC2:TGID_Z_EN: 0
; COMPUTE_PGM_RSRC2:TIDIG_COMP_CNT: 0
	.section	.text._ZN9rocsparseL19gebsrmvn_2xn_kernelILj128ELj13ELj32E21rocsparse_complex_numIfEEEvi20rocsparse_direction_NS_24const_host_device_scalarIT2_EEPKiS8_PKS5_SA_S6_PS5_21rocsparse_index_base_b,"axG",@progbits,_ZN9rocsparseL19gebsrmvn_2xn_kernelILj128ELj13ELj32E21rocsparse_complex_numIfEEEvi20rocsparse_direction_NS_24const_host_device_scalarIT2_EEPKiS8_PKS5_SA_S6_PS5_21rocsparse_index_base_b,comdat
	.globl	_ZN9rocsparseL19gebsrmvn_2xn_kernelILj128ELj13ELj32E21rocsparse_complex_numIfEEEvi20rocsparse_direction_NS_24const_host_device_scalarIT2_EEPKiS8_PKS5_SA_S6_PS5_21rocsparse_index_base_b ; -- Begin function _ZN9rocsparseL19gebsrmvn_2xn_kernelILj128ELj13ELj32E21rocsparse_complex_numIfEEEvi20rocsparse_direction_NS_24const_host_device_scalarIT2_EEPKiS8_PKS5_SA_S6_PS5_21rocsparse_index_base_b
	.p2align	8
	.type	_ZN9rocsparseL19gebsrmvn_2xn_kernelILj128ELj13ELj32E21rocsparse_complex_numIfEEEvi20rocsparse_direction_NS_24const_host_device_scalarIT2_EEPKiS8_PKS5_SA_S6_PS5_21rocsparse_index_base_b,@function
_ZN9rocsparseL19gebsrmvn_2xn_kernelILj128ELj13ELj32E21rocsparse_complex_numIfEEEvi20rocsparse_direction_NS_24const_host_device_scalarIT2_EEPKiS8_PKS5_SA_S6_PS5_21rocsparse_index_base_b: ; @_ZN9rocsparseL19gebsrmvn_2xn_kernelILj128ELj13ELj32E21rocsparse_complex_numIfEEEvi20rocsparse_direction_NS_24const_host_device_scalarIT2_EEPKiS8_PKS5_SA_S6_PS5_21rocsparse_index_base_b
; %bb.0:
	s_clause 0x2
	s_load_b64 s[12:13], s[0:1], 0x40
	s_load_b64 s[2:3], s[0:1], 0x8
	;; [unrolled: 1-line block ×3, first 2 shown]
	v_mov_b32_e32 v1, 0
	s_add_nc_u64 s[6:7], s[0:1], 8
	s_add_nc_u64 s[8:9], s[0:1], 48
	s_wait_kmcnt 0x0
	s_bitcmp1_b32 s13, 0
	s_cselect_b32 s3, s7, s3
	s_cselect_b32 s2, s6, s2
	;; [unrolled: 1-line block ×4, first 2 shown]
	s_clause 0x1
	flat_load_b64 v[2:3], v1, s[2:3]
	flat_load_b64 v[4:5], v1, s[4:5]
	s_wait_loadcnt_dscnt 0x101
	v_cmp_eq_f32_e32 vcc_lo, 0, v2
	v_cmp_eq_f32_e64 s2, 0, v3
	s_wait_loadcnt_dscnt 0x0
	v_cmp_eq_f32_e64 s3, 1.0, v4
	v_cmp_eq_f32_e64 s4, 0, v5
	s_and_b32 s2, vcc_lo, s2
	s_and_b32 s3, s3, s4
	s_delay_alu instid0(SALU_CYCLE_1) | instskip(NEXT) | instid1(SALU_CYCLE_1)
	s_and_b32 s2, s2, s3
	s_xor_b32 s2, s2, -1
	s_delay_alu instid0(SALU_CYCLE_1)
	s_and_saveexec_b32 s3, s2
	s_cbranch_execz .LBB210_19
; %bb.1:
	s_load_b64 s[2:3], s[0:1], 0x0
	s_bfe_u32 s4, ttmp6, 0x4000c
	s_and_b32 s5, ttmp6, 15
	s_add_co_i32 s4, s4, 1
	s_getreg_b32 s6, hwreg(HW_REG_IB_STS2, 6, 4)
	s_mul_i32 s4, ttmp9, s4
	v_lshrrev_b32_e32 v1, 5, v0
	s_add_co_i32 s5, s5, s4
	s_cmp_eq_u32 s6, 0
	s_cselect_b32 s4, ttmp9, s5
	s_delay_alu instid0(VALU_DEP_1) | instid1(SALU_CYCLE_1)
	v_lshl_or_b32 v6, s4, 2, v1
	s_wait_kmcnt 0x0
	s_delay_alu instid0(VALU_DEP_1)
	v_cmp_gt_i32_e32 vcc_lo, s2, v6
	s_and_b32 exec_lo, exec_lo, vcc_lo
	s_cbranch_execz .LBB210_19
; %bb.2:
	s_load_b256 s[4:11], s[0:1], 0x10
	v_ashrrev_i32_e32 v7, 31, v6
	s_cmp_lg_u32 s3, 0
	s_wait_kmcnt 0x0
	s_delay_alu instid0(VALU_DEP_1)
	v_lshl_add_u64 v[8:9], v[6:7], 2, s[4:5]
	v_and_b32_e32 v7, 31, v0
	global_load_b64 v[8:9], v[8:9], off
	s_wait_loadcnt 0x0
	v_subrev_nc_u32_e32 v0, s12, v8
	v_subrev_nc_u32_e32 v12, s12, v9
	s_delay_alu instid0(VALU_DEP_2) | instskip(NEXT) | instid1(VALU_DEP_1)
	v_add_nc_u32_e32 v13, v0, v7
	v_cmp_lt_i32_e64 s2, v13, v12
	s_cbranch_scc0 .LBB210_8
; %bb.3:
	v_mov_b32_e32 v1, 0
	s_delay_alu instid0(VALU_DEP_1)
	v_dual_mov_b32 v0, v1 :: v_dual_mov_b32 v9, v1
	v_mov_b32_e32 v8, v1
	s_and_saveexec_b32 s3, s2
	s_cbranch_execz .LBB210_7
; %bb.4:
	v_mul_lo_u32 v10, v13, 26
	v_dual_mov_b32 v11, 0 :: v_dual_mov_b32 v14, v13
	s_mov_b32 s4, 0
	s_delay_alu instid0(VALU_DEP_1)
	v_dual_mov_b32 v8, v11 :: v_dual_mov_b32 v9, v11
	v_dual_mov_b32 v0, v11 :: v_dual_mov_b32 v1, v11
.LBB210_5:                              ; =>This Inner Loop Header: Depth=1
	global_load_b32 v15, v14, s[6:7] scale_offset
	v_lshl_add_u64 v[20:21], v[10:11], 3, s[8:9]
	v_dual_mov_b32 v23, v11 :: v_dual_add_nc_u32 v22, 2, v10
	v_dual_mov_b32 v25, v11 :: v_dual_mov_b32 v33, v11
	v_dual_mov_b32 v41, v11 :: v_dual_mov_b32 v49, v11
	s_delay_alu instid0(VALU_DEP_3)
	v_lshl_add_u64 v[26:27], v[22:23], 3, s[8:9]
	v_dual_mov_b32 v57, v11 :: v_dual_mov_b32 v29, v11
	v_dual_mov_b32 v37, v11 :: v_dual_mov_b32 v45, v11
	;; [unrolled: 1-line block ×3, first 2 shown]
	s_wait_xcnt 0x0
	v_add_nc_u32_e32 v14, 32, v14
	s_delay_alu instid0(VALU_DEP_1) | instskip(SKIP_3) | instid1(VALU_DEP_1)
	v_cmp_ge_i32_e32 vcc_lo, v14, v12
	s_or_b32 s4, vcc_lo, s4
	s_wait_loadcnt 0x0
	v_subrev_nc_u32_e32 v15, s12, v15
	v_mul_lo_u32 v15, v15, 13
	global_load_b128 v[16:19], v[20:21], off
	global_load_b64 v[68:69], v15, s[10:11] scale_offset
	v_dual_add_nc_u32 v24, 4, v10 :: v_dual_add_nc_u32 v28, 1, v15
	global_load_b128 v[20:23], v[26:27], off
	global_load_b64 v[70:71], v28, s[10:11] scale_offset
	s_wait_xcnt 0x0
	v_add_nc_u32_e32 v28, 6, v10
	v_lshl_add_u64 v[30:31], v[24:25], 3, s[8:9]
	v_add_nc_u32_e32 v32, 2, v15
	global_load_b128 v[24:27], v[30:31], off
	global_load_b64 v[72:73], v32, s[10:11] scale_offset
	v_lshl_add_u64 v[34:35], v[28:29], 3, s[8:9]
	s_wait_xcnt 0x0
	v_dual_add_nc_u32 v32, 8, v10 :: v_dual_add_nc_u32 v36, 3, v15
	global_load_b128 v[28:31], v[34:35], off
	global_load_b64 v[74:75], v36, s[10:11] scale_offset
	s_wait_xcnt 0x0
	v_add_nc_u32_e32 v36, 10, v10
	v_lshl_add_u64 v[38:39], v[32:33], 3, s[8:9]
	v_add_nc_u32_e32 v40, 4, v15
	global_load_b128 v[32:35], v[38:39], off
	global_load_b64 v[76:77], v40, s[10:11] scale_offset
	v_lshl_add_u64 v[42:43], v[36:37], 3, s[8:9]
	s_wait_xcnt 0x0
	;; [unrolled: 11-line block ×5, first 2 shown]
	v_dual_add_nc_u32 v64, 24, v10 :: v_dual_add_nc_u32 v92, 11, v15
	v_dual_mov_b32 v65, v11 :: v_dual_add_nc_u32 v15, 12, v15
	global_load_b128 v[60:63], v[66:67], off
	global_load_b64 v[90:91], v92, s[10:11] scale_offset
	v_add_nc_u32_e32 v10, 0x340, v10
	s_wait_xcnt 0x0
	v_lshl_add_u64 v[92:93], v[64:65], 3, s[8:9]
	global_load_b128 v[64:67], v[92:93], off
	global_load_b64 v[94:95], v15, s[10:11] scale_offset
	s_wait_loadcnt 0x19
	s_wait_xcnt 0x1
	v_xor_b32_e32 v92, 0x80000000, v19
	v_mov_b32_e32 v93, v18
	s_wait_loadcnt 0x18
	v_pk_fma_f32 v[0:1], v[16:17], v[68:69], v[0:1] op_sel_hi:[1,0,1]
	v_pk_fma_f32 v[8:9], v[18:19], v[68:69], v[8:9] op_sel_hi:[1,0,1]
	s_delay_alu instid0(VALU_DEP_2) | instskip(SKIP_2) | instid1(VALU_DEP_3)
	v_pk_fma_f32 v[0:1], v[16:17], v[68:69], v[0:1] op_sel:[1,1,0] op_sel_hi:[0,1,1] neg_lo:[1,0,0]
	s_wait_loadcnt 0x17
	v_mov_b32_e32 v17, v22
	v_pk_fma_f32 v[8:9], v[92:93], v[68:69], v[8:9] op_sel:[0,1,0]
	v_xor_b32_e32 v16, 0x80000000, v23
	s_wait_loadcnt 0x16
	v_pk_fma_f32 v[0:1], v[20:21], v[70:71], v[0:1] op_sel_hi:[1,0,1]
	s_delay_alu instid0(VALU_DEP_3) | instskip(NEXT) | instid1(VALU_DEP_2)
	v_pk_fma_f32 v[8:9], v[22:23], v[70:71], v[8:9] op_sel_hi:[1,0,1]
	v_pk_fma_f32 v[0:1], v[20:21], v[70:71], v[0:1] op_sel:[1,1,0] op_sel_hi:[0,1,1] neg_lo:[1,0,0]
	s_delay_alu instid0(VALU_DEP_2)
	v_pk_fma_f32 v[8:9], v[16:17], v[70:71], v[8:9] op_sel:[0,1,0]
	s_wait_loadcnt 0x15
	v_xor_b32_e32 v16, 0x80000000, v27
	v_mov_b32_e32 v17, v26
	s_wait_loadcnt 0x14
	v_pk_fma_f32 v[0:1], v[24:25], v[72:73], v[0:1] op_sel_hi:[1,0,1]
	v_pk_fma_f32 v[8:9], v[26:27], v[72:73], v[8:9] op_sel_hi:[1,0,1]
	s_delay_alu instid0(VALU_DEP_2) | instskip(NEXT) | instid1(VALU_DEP_2)
	v_pk_fma_f32 v[0:1], v[24:25], v[72:73], v[0:1] op_sel:[1,1,0] op_sel_hi:[0,1,1] neg_lo:[1,0,0]
	v_pk_fma_f32 v[8:9], v[16:17], v[72:73], v[8:9] op_sel:[0,1,0]
	s_wait_loadcnt 0x13
	v_xor_b32_e32 v16, 0x80000000, v31
	v_mov_b32_e32 v17, v30
	s_wait_loadcnt 0x12
	v_pk_fma_f32 v[0:1], v[28:29], v[74:75], v[0:1] op_sel_hi:[1,0,1]
	v_pk_fma_f32 v[8:9], v[30:31], v[74:75], v[8:9] op_sel_hi:[1,0,1]
	s_delay_alu instid0(VALU_DEP_2) | instskip(NEXT) | instid1(VALU_DEP_2)
	v_pk_fma_f32 v[0:1], v[28:29], v[74:75], v[0:1] op_sel:[1,1,0] op_sel_hi:[0,1,1] neg_lo:[1,0,0]
	;; [unrolled: 9-line block ×11, first 2 shown]
	v_pk_fma_f32 v[8:9], v[16:17], v[94:95], v[8:9] op_sel:[0,1,0]
	s_and_not1_b32 exec_lo, exec_lo, s4
	s_cbranch_execnz .LBB210_5
; %bb.6:
	s_or_b32 exec_lo, exec_lo, s4
.LBB210_7:
	s_delay_alu instid0(SALU_CYCLE_1)
	s_or_b32 exec_lo, exec_lo, s3
	s_cbranch_execz .LBB210_9
	s_branch .LBB210_14
.LBB210_8:
                                        ; implicit-def: $vgpr1
                                        ; implicit-def: $vgpr9
.LBB210_9:
	v_mov_b32_e32 v1, 0
	s_delay_alu instid0(VALU_DEP_1)
	v_dual_mov_b32 v0, v1 :: v_dual_mov_b32 v9, v1
	v_mov_b32_e32 v8, v1
	s_and_saveexec_b32 s3, s2
	s_cbranch_execz .LBB210_13
; %bb.10:
	v_mad_u32 v14, v13, 26, 25
	v_mov_b32_e32 v11, 0
	s_mov_b32 s2, 0
	s_delay_alu instid0(VALU_DEP_1)
	v_dual_mov_b32 v8, v11 :: v_dual_mov_b32 v9, v11
	v_dual_mov_b32 v0, v11 :: v_dual_mov_b32 v1, v11
.LBB210_11:                             ; =>This Inner Loop Header: Depth=1
	global_load_b32 v15, v13, s[6:7] scale_offset
	v_subrev_nc_u32_e32 v10, 25, v14
	v_dual_add_nc_u32 v26, -12, v14 :: v_dual_add_nc_u32 v27, -11, v14
	v_subrev_nc_u32_e32 v36, 22, v14
	v_dual_add_nc_u32 v37, -10, v14 :: v_dual_add_nc_u32 v42, -9, v14
	s_delay_alu instid0(VALU_DEP_4)
	v_lshl_add_u64 v[20:21], v[10:11], 3, s[8:9]
	v_add_nc_u32_e32 v48, -8, v14
	s_clause 0x2
	global_load_b64 v[22:23], v27, s[8:9] scale_offset
	global_load_b128 v[16:19], v[20:21], off
	global_load_b64 v[24:25], v26, s[8:9] scale_offset
	v_subrev_nc_u32_e32 v54, 19, v14
	v_subrev_nc_u32_e32 v61, 18, v14
	v_add_nc_u32_e32 v60, -6, v14
	v_subrev_nc_u32_e32 v72, 17, v14
	v_dual_add_nc_u32 v73, -4, v14 :: v_dual_add_nc_u32 v74, -16, v14
	v_dual_add_nc_u32 v80, -3, v14 :: v_dual_add_nc_u32 v75, -15, v14
	;; [unrolled: 1-line block ×3, first 2 shown]
	s_wait_xcnt 0x3
	v_add_nc_u32_e32 v13, 32, v13
	s_delay_alu instid0(VALU_DEP_1) | instskip(SKIP_3) | instid1(VALU_DEP_1)
	v_cmp_ge_i32_e32 vcc_lo, v13, v12
	s_or_b32 s2, vcc_lo, s2
	s_wait_loadcnt 0x3
	v_subrev_nc_u32_e32 v10, s12, v15
	v_mul_lo_u32 v10, v10, 13
	global_load_b64 v[20:21], v10, s[10:11] scale_offset
	v_dual_add_nc_u32 v15, 1, v10 :: v_dual_add_nc_u32 v38, 2, v10
	v_dual_add_nc_u32 v43, 3, v10 :: v_dual_add_nc_u32 v49, 4, v10
	;; [unrolled: 1-line block ×3, first 2 shown]
	global_load_b64 v[26:27], v15, s[10:11] scale_offset
	s_wait_xcnt 0x0
	v_subrev_nc_u32_e32 v15, 23, v14
	s_clause 0x2
	global_load_b64 v[28:29], v15, s[8:9] scale_offset
	global_load_b64 v[30:31], v36, s[8:9] scale_offset
	;; [unrolled: 1-line block ×4, first 2 shown]
	s_wait_xcnt 0x3
	v_subrev_nc_u32_e32 v15, 21, v14
	s_clause 0x1
	global_load_b64 v[36:37], v15, s[8:9] scale_offset
	global_load_b64 v[38:39], v42, s[8:9] scale_offset
	;; [unrolled: 1-line block ×3, first 2 shown]
	s_wait_xcnt 0x2
	v_subrev_nc_u32_e32 v15, 20, v14
	s_clause 0x1
	global_load_b64 v[42:43], v15, s[8:9] scale_offset
	global_load_b64 v[44:45], v48, s[8:9] scale_offset
	;; [unrolled: 1-line block ×3, first 2 shown]
	s_wait_xcnt 0x2
	v_add_nc_u32_e32 v15, -7, v14
	s_clause 0x1
	global_load_b64 v[48:49], v54, s[8:9] scale_offset
	global_load_b64 v[50:51], v15, s[8:9] scale_offset
	;; [unrolled: 1-line block ×3, first 2 shown]
	s_wait_xcnt 0x1
	v_add_nc_u32_e32 v15, -5, v14
	s_clause 0x1
	global_load_b64 v[54:55], v61, s[8:9] scale_offset
	global_load_b64 v[56:57], v60, s[8:9] scale_offset
	;; [unrolled: 1-line block ×3, first 2 shown]
	v_add_nc_u32_e32 v76, 7, v10
	s_clause 0x1
	global_load_b64 v[60:61], v15, s[8:9] scale_offset
	global_load_b64 v[62:63], v72, s[8:9] scale_offset
	global_load_b64 v[64:65], v76, s[10:11] scale_offset
	s_clause 0x2
	global_load_b64 v[66:67], v74, s[8:9] scale_offset
	global_load_b64 v[68:69], v73, s[8:9] scale_offset
	global_load_b64 v[70:71], v75, s[8:9] scale_offset
	s_wait_xcnt 0x5
	v_add_nc_u32_e32 v15, 8, v10
	s_clause 0x2
	global_load_b64 v[72:73], v80, s[8:9] scale_offset
	global_load_b64 v[74:75], v82, s[8:9] scale_offset
	;; [unrolled: 1-line block ×4, first 2 shown]
	s_wait_xcnt 0x0
	v_dual_add_nc_u32 v15, 9, v10 :: v_dual_add_nc_u32 v80, 10, v10
	v_add_nc_u32_e32 v82, -1, v14
	v_dual_add_nc_u32 v83, 11, v10 :: v_dual_add_nc_u32 v10, 12, v10
	s_wait_loadcnt 0x1b
	v_pk_fma_f32 v[8:9], v[24:25], v[20:21], v[8:9] op_sel_hi:[1,0,1]
	v_pk_fma_f32 v[0:1], v[16:17], v[20:21], v[0:1] op_sel_hi:[1,0,1]
	s_delay_alu instid0(VALU_DEP_2)
	v_pk_fma_f32 v[8:9], v[24:25], v[20:21], v[8:9] op_sel:[1,1,0] op_sel_hi:[0,1,1] neg_lo:[1,0,0]
	global_load_b64 v[24:25], v15, s[10:11] scale_offset
	v_pk_fma_f32 v[0:1], v[16:17], v[20:21], v[0:1] op_sel:[1,1,0] op_sel_hi:[0,1,1] neg_lo:[1,0,0]
	global_load_b64 v[20:21], v80, s[10:11] scale_offset
	v_xor_b32_e32 v16, 0x80000000, v19
	s_wait_xcnt 0x1
	v_dual_mov_b32 v17, v18 :: v_dual_add_nc_u32 v15, -13, v14
	s_wait_loadcnt 0x1c
	v_pk_fma_f32 v[0:1], v[18:19], v[26:27], v[0:1] op_sel_hi:[1,0,1]
	v_pk_fma_f32 v[8:9], v[22:23], v[26:27], v[8:9] op_sel_hi:[1,0,1]
	global_load_b64 v[18:19], v15, s[8:9] scale_offset
	v_pk_fma_f32 v[0:1], v[16:17], v[26:27], v[0:1] op_sel:[0,1,0]
	global_load_b64 v[16:17], v82, s[8:9] scale_offset
	global_load_b64 v[80:81], v83, s[10:11] scale_offset
	v_pk_fma_f32 v[8:9], v[22:23], v[26:27], v[8:9] op_sel:[1,1,0] op_sel_hi:[0,1,1] neg_lo:[1,0,0]
	global_load_b64 v[22:23], v14, s[8:9] scale_offset
	global_load_b64 v[26:27], v10, s[10:11] scale_offset
	s_wait_xcnt 0x1
	v_add_nc_u32_e32 v14, 0x340, v14
	s_wait_loadcnt 0x1d
	v_pk_fma_f32 v[0:1], v[28:29], v[34:35], v[0:1] op_sel_hi:[1,0,1]
	v_pk_fma_f32 v[8:9], v[32:33], v[34:35], v[8:9] op_sel_hi:[1,0,1]
	s_delay_alu instid0(VALU_DEP_2) | instskip(NEXT) | instid1(VALU_DEP_2)
	v_pk_fma_f32 v[0:1], v[28:29], v[34:35], v[0:1] op_sel:[1,1,0] op_sel_hi:[0,1,1] neg_lo:[1,0,0]
	v_pk_fma_f32 v[8:9], v[32:33], v[34:35], v[8:9] op_sel:[1,1,0] op_sel_hi:[0,1,1] neg_lo:[1,0,0]
	s_wait_loadcnt 0x1a
	s_delay_alu instid0(VALU_DEP_2) | instskip(NEXT) | instid1(VALU_DEP_2)
	v_pk_fma_f32 v[0:1], v[30:31], v[40:41], v[0:1] op_sel_hi:[1,0,1]
	v_pk_fma_f32 v[8:9], v[38:39], v[40:41], v[8:9] op_sel_hi:[1,0,1]
	s_delay_alu instid0(VALU_DEP_2) | instskip(NEXT) | instid1(VALU_DEP_2)
	v_pk_fma_f32 v[0:1], v[30:31], v[40:41], v[0:1] op_sel:[1,1,0] op_sel_hi:[0,1,1] neg_lo:[1,0,0]
	v_pk_fma_f32 v[8:9], v[38:39], v[40:41], v[8:9] op_sel:[1,1,0] op_sel_hi:[0,1,1] neg_lo:[1,0,0]
	s_wait_loadcnt 0x17
	s_delay_alu instid0(VALU_DEP_2) | instskip(NEXT) | instid1(VALU_DEP_2)
	;; [unrolled: 7-line block ×10, first 2 shown]
	v_pk_fma_f32 v[0:1], v[18:19], v[26:27], v[0:1] op_sel_hi:[1,0,1]
	v_pk_fma_f32 v[8:9], v[22:23], v[26:27], v[8:9] op_sel_hi:[1,0,1]
	s_delay_alu instid0(VALU_DEP_2) | instskip(NEXT) | instid1(VALU_DEP_2)
	v_pk_fma_f32 v[0:1], v[18:19], v[26:27], v[0:1] op_sel:[1,1,0] op_sel_hi:[0,1,1] neg_lo:[1,0,0]
	v_pk_fma_f32 v[8:9], v[22:23], v[26:27], v[8:9] op_sel:[1,1,0] op_sel_hi:[0,1,1] neg_lo:[1,0,0]
	s_and_not1_b32 exec_lo, exec_lo, s2
	s_cbranch_execnz .LBB210_11
; %bb.12:
	s_or_b32 exec_lo, exec_lo, s2
.LBB210_13:
	s_delay_alu instid0(SALU_CYCLE_1)
	s_or_b32 exec_lo, exec_lo, s3
.LBB210_14:
	v_mbcnt_lo_u32_b32 v10, -1, 0
	s_delay_alu instid0(VALU_DEP_1) | instskip(SKIP_1) | instid1(VALU_DEP_1)
	v_xor_b32_e32 v15, 8, v10
	v_xor_b32_e32 v11, 16, v10
	v_cmp_gt_i32_e32 vcc_lo, 32, v11
	v_cndmask_b32_e32 v11, v10, v11, vcc_lo
	s_delay_alu instid0(VALU_DEP_1)
	v_lshlrev_b32_e32 v11, 2, v11
	ds_bpermute_b32 v13, v11, v1
	s_wait_dscnt 0x0
	v_add_f32_e32 v1, v1, v13
	ds_bpermute_b32 v12, v11, v0
	ds_bpermute_b32 v14, v11, v8
	;; [unrolled: 1-line block ×3, first 2 shown]
	s_wait_dscnt 0x2
	v_add_f32_e32 v0, v0, v12
	s_wait_dscnt 0x0
	v_dual_add_f32 v8, v8, v14 :: v_dual_add_f32 v9, v9, v11
	v_cmp_gt_i32_e32 vcc_lo, 32, v15
	v_cndmask_b32_e32 v15, v10, v15, vcc_lo
	s_delay_alu instid0(VALU_DEP_1)
	v_lshlrev_b32_e32 v15, 2, v15
	ds_bpermute_b32 v11, v15, v0
	ds_bpermute_b32 v12, v15, v1
	;; [unrolled: 1-line block ×4, first 2 shown]
	s_wait_dscnt 0x3
	v_dual_add_f32 v0, v0, v11 :: v_dual_bitop2_b32 v15, 4, v10 bitop3:0x14
	s_delay_alu instid0(VALU_DEP_1)
	v_cmp_gt_i32_e32 vcc_lo, 32, v15
	s_wait_dscnt 0x2
	v_add_f32_e32 v1, v1, v12
	s_wait_dscnt 0x0
	v_dual_add_f32 v9, v9, v14 :: v_dual_add_f32 v8, v8, v13
	v_cndmask_b32_e32 v15, v10, v15, vcc_lo
	s_delay_alu instid0(VALU_DEP_1)
	v_lshlrev_b32_e32 v15, 2, v15
	ds_bpermute_b32 v11, v15, v0
	ds_bpermute_b32 v12, v15, v1
	;; [unrolled: 1-line block ×4, first 2 shown]
	s_wait_dscnt 0x3
	v_dual_add_f32 v0, v0, v11 :: v_dual_bitop2_b32 v15, 2, v10 bitop3:0x14
	s_delay_alu instid0(VALU_DEP_1) | instskip(SKIP_4) | instid1(VALU_DEP_2)
	v_cmp_gt_i32_e32 vcc_lo, 32, v15
	s_wait_dscnt 0x2
	v_dual_add_f32 v1, v1, v12 :: v_dual_cndmask_b32 v15, v10, v15, vcc_lo
	s_wait_dscnt 0x0
	v_dual_add_f32 v11, v8, v13 :: v_dual_add_f32 v9, v9, v14
	v_lshlrev_b32_e32 v15, 2, v15
	ds_bpermute_b32 v8, v15, v0
	ds_bpermute_b32 v12, v15, v1
	;; [unrolled: 1-line block ×4, first 2 shown]
	s_wait_dscnt 0x3
	v_dual_add_f32 v0, v0, v8 :: v_dual_bitop2_b32 v15, 1, v10 bitop3:0x14
	s_delay_alu instid0(VALU_DEP_1)
	v_cmp_gt_i32_e32 vcc_lo, 32, v15
	s_wait_dscnt 0x1
	v_dual_add_f32 v8, v1, v12 :: v_dual_add_f32 v1, v11, v13
	s_wait_dscnt 0x0
	v_dual_add_f32 v9, v9, v14 :: v_dual_cndmask_b32 v10, v10, v15
	v_cmp_eq_u32_e32 vcc_lo, 31, v7
	s_delay_alu instid0(VALU_DEP_2)
	v_lshlrev_b32_e32 v15, 2, v10
	ds_bpermute_b32 v12, v15, v0
	ds_bpermute_b32 v13, v15, v8
	;; [unrolled: 1-line block ×4, first 2 shown]
	s_and_b32 exec_lo, exec_lo, vcc_lo
	s_cbranch_execz .LBB210_19
; %bb.15:
	s_load_b64 s[2:3], s[0:1], 0x38
	v_cmp_eq_f32_e32 vcc_lo, 0, v4
	s_wait_xcnt 0x0
	v_cmp_eq_f32_e64 s0, 0, v5
	s_wait_dscnt 0x3
	v_add_f32_e32 v0, v0, v12
	s_wait_dscnt 0x1
	v_dual_add_f32 v12, v8, v13 :: v_dual_add_f32 v8, v1, v10
	s_wait_dscnt 0x0
	v_add_f32_e32 v10, v9, v11
	s_and_b32 s0, vcc_lo, s0
	s_delay_alu instid0(SALU_CYCLE_1) | instskip(NEXT) | instid1(SALU_CYCLE_1)
	s_and_saveexec_b32 s1, s0
	s_xor_b32 s0, exec_lo, s1
	s_cbranch_execz .LBB210_17
; %bb.16:
	v_xor_b32_e32 v4, 0x80000000, v3
	v_dual_mov_b32 v5, v2 :: v_dual_lshlrev_b32 v6, 1, v6
	s_delay_alu instid0(VALU_DEP_1) | instskip(NEXT) | instid1(VALU_DEP_2)
	v_ashrrev_i32_e32 v7, 31, v6
	v_pk_mul_f32 v[12:13], v[12:13], v[4:5] op_sel_hi:[0,1]
	v_pk_mul_f32 v[4:5], v[10:11], v[4:5] op_sel_hi:[0,1]
                                        ; implicit-def: $vgpr10
	s_wait_kmcnt 0x0
	s_delay_alu instid0(VALU_DEP_3) | instskip(NEXT) | instid1(VALU_DEP_3)
	v_lshl_add_u64 v[6:7], v[6:7], 3, s[2:3]
	v_pk_fma_f32 v[0:1], v[2:3], v[0:1], v[12:13] op_sel_hi:[1,0,1]
	s_delay_alu instid0(VALU_DEP_3)
	v_pk_fma_f32 v[2:3], v[2:3], v[8:9], v[4:5] op_sel_hi:[1,0,1]
                                        ; implicit-def: $vgpr4_vgpr5
                                        ; implicit-def: $vgpr12
                                        ; implicit-def: $vgpr8
	global_store_b128 v[6:7], v[0:3], off
                                        ; implicit-def: $vgpr6
                                        ; implicit-def: $vgpr2_vgpr3
                                        ; implicit-def: $vgpr0
.LBB210_17:
	s_wait_xcnt 0x0
	s_and_not1_saveexec_b32 s0, s0
	s_cbranch_execz .LBB210_19
; %bb.18:
	v_dual_mov_b32 v19, v2 :: v_dual_lshlrev_b32 v6, 1, v6
	v_xor_b32_e32 v18, 0x80000000, v3
	s_delay_alu instid0(VALU_DEP_2) | instskip(NEXT) | instid1(VALU_DEP_2)
	v_ashrrev_i32_e32 v7, 31, v6
	v_pk_mul_f32 v[12:13], v[12:13], v[18:19] op_sel_hi:[0,1]
	v_pk_mul_f32 v[10:11], v[10:11], v[18:19] op_sel_hi:[0,1]
	s_delay_alu instid0(VALU_DEP_2) | instskip(NEXT) | instid1(VALU_DEP_2)
	v_pk_fma_f32 v[0:1], v[2:3], v[0:1], v[12:13] op_sel_hi:[1,0,1]
	v_pk_fma_f32 v[2:3], v[2:3], v[8:9], v[10:11] op_sel_hi:[1,0,1]
	v_mov_b32_e32 v9, v4
	s_wait_kmcnt 0x0
	v_lshl_add_u64 v[6:7], v[6:7], 3, s[2:3]
	v_xor_b32_e32 v8, 0x80000000, v5
	global_load_b128 v[14:17], v[6:7], off
	s_wait_loadcnt 0x0
	v_pk_fma_f32 v[0:1], v[4:5], v[14:15], v[0:1] op_sel_hi:[1,0,1]
	v_pk_fma_f32 v[2:3], v[4:5], v[16:17], v[2:3] op_sel_hi:[1,0,1]
	v_mov_b32_e32 v4, v17
	s_delay_alu instid0(VALU_DEP_3) | instskip(NEXT) | instid1(VALU_DEP_2)
	v_pk_fma_f32 v[0:1], v[8:9], v[14:15], v[0:1] op_sel:[0,1,0]
	v_pk_fma_f32 v[2:3], v[8:9], v[4:5], v[2:3] op_sel_hi:[1,0,1]
	global_store_b128 v[6:7], v[0:3], off
.LBB210_19:
	s_sendmsg sendmsg(MSG_DEALLOC_VGPRS)
	s_endpgm
	.section	.rodata,"a",@progbits
	.p2align	6, 0x0
	.amdhsa_kernel _ZN9rocsparseL19gebsrmvn_2xn_kernelILj128ELj13ELj32E21rocsparse_complex_numIfEEEvi20rocsparse_direction_NS_24const_host_device_scalarIT2_EEPKiS8_PKS5_SA_S6_PS5_21rocsparse_index_base_b
		.amdhsa_group_segment_fixed_size 0
		.amdhsa_private_segment_fixed_size 0
		.amdhsa_kernarg_size 72
		.amdhsa_user_sgpr_count 2
		.amdhsa_user_sgpr_dispatch_ptr 0
		.amdhsa_user_sgpr_queue_ptr 0
		.amdhsa_user_sgpr_kernarg_segment_ptr 1
		.amdhsa_user_sgpr_dispatch_id 0
		.amdhsa_user_sgpr_kernarg_preload_length 0
		.amdhsa_user_sgpr_kernarg_preload_offset 0
		.amdhsa_user_sgpr_private_segment_size 0
		.amdhsa_wavefront_size32 1
		.amdhsa_uses_dynamic_stack 0
		.amdhsa_enable_private_segment 0
		.amdhsa_system_sgpr_workgroup_id_x 1
		.amdhsa_system_sgpr_workgroup_id_y 0
		.amdhsa_system_sgpr_workgroup_id_z 0
		.amdhsa_system_sgpr_workgroup_info 0
		.amdhsa_system_vgpr_workitem_id 0
		.amdhsa_next_free_vgpr 96
		.amdhsa_next_free_sgpr 14
		.amdhsa_named_barrier_count 0
		.amdhsa_reserve_vcc 1
		.amdhsa_float_round_mode_32 0
		.amdhsa_float_round_mode_16_64 0
		.amdhsa_float_denorm_mode_32 3
		.amdhsa_float_denorm_mode_16_64 3
		.amdhsa_fp16_overflow 0
		.amdhsa_memory_ordered 1
		.amdhsa_forward_progress 1
		.amdhsa_inst_pref_size 32
		.amdhsa_round_robin_scheduling 0
		.amdhsa_exception_fp_ieee_invalid_op 0
		.amdhsa_exception_fp_denorm_src 0
		.amdhsa_exception_fp_ieee_div_zero 0
		.amdhsa_exception_fp_ieee_overflow 0
		.amdhsa_exception_fp_ieee_underflow 0
		.amdhsa_exception_fp_ieee_inexact 0
		.amdhsa_exception_int_div_zero 0
	.end_amdhsa_kernel
	.section	.text._ZN9rocsparseL19gebsrmvn_2xn_kernelILj128ELj13ELj32E21rocsparse_complex_numIfEEEvi20rocsparse_direction_NS_24const_host_device_scalarIT2_EEPKiS8_PKS5_SA_S6_PS5_21rocsparse_index_base_b,"axG",@progbits,_ZN9rocsparseL19gebsrmvn_2xn_kernelILj128ELj13ELj32E21rocsparse_complex_numIfEEEvi20rocsparse_direction_NS_24const_host_device_scalarIT2_EEPKiS8_PKS5_SA_S6_PS5_21rocsparse_index_base_b,comdat
.Lfunc_end210:
	.size	_ZN9rocsparseL19gebsrmvn_2xn_kernelILj128ELj13ELj32E21rocsparse_complex_numIfEEEvi20rocsparse_direction_NS_24const_host_device_scalarIT2_EEPKiS8_PKS5_SA_S6_PS5_21rocsparse_index_base_b, .Lfunc_end210-_ZN9rocsparseL19gebsrmvn_2xn_kernelILj128ELj13ELj32E21rocsparse_complex_numIfEEEvi20rocsparse_direction_NS_24const_host_device_scalarIT2_EEPKiS8_PKS5_SA_S6_PS5_21rocsparse_index_base_b
                                        ; -- End function
	.set _ZN9rocsparseL19gebsrmvn_2xn_kernelILj128ELj13ELj32E21rocsparse_complex_numIfEEEvi20rocsparse_direction_NS_24const_host_device_scalarIT2_EEPKiS8_PKS5_SA_S6_PS5_21rocsparse_index_base_b.num_vgpr, 96
	.set _ZN9rocsparseL19gebsrmvn_2xn_kernelILj128ELj13ELj32E21rocsparse_complex_numIfEEEvi20rocsparse_direction_NS_24const_host_device_scalarIT2_EEPKiS8_PKS5_SA_S6_PS5_21rocsparse_index_base_b.num_agpr, 0
	.set _ZN9rocsparseL19gebsrmvn_2xn_kernelILj128ELj13ELj32E21rocsparse_complex_numIfEEEvi20rocsparse_direction_NS_24const_host_device_scalarIT2_EEPKiS8_PKS5_SA_S6_PS5_21rocsparse_index_base_b.numbered_sgpr, 14
	.set _ZN9rocsparseL19gebsrmvn_2xn_kernelILj128ELj13ELj32E21rocsparse_complex_numIfEEEvi20rocsparse_direction_NS_24const_host_device_scalarIT2_EEPKiS8_PKS5_SA_S6_PS5_21rocsparse_index_base_b.num_named_barrier, 0
	.set _ZN9rocsparseL19gebsrmvn_2xn_kernelILj128ELj13ELj32E21rocsparse_complex_numIfEEEvi20rocsparse_direction_NS_24const_host_device_scalarIT2_EEPKiS8_PKS5_SA_S6_PS5_21rocsparse_index_base_b.private_seg_size, 0
	.set _ZN9rocsparseL19gebsrmvn_2xn_kernelILj128ELj13ELj32E21rocsparse_complex_numIfEEEvi20rocsparse_direction_NS_24const_host_device_scalarIT2_EEPKiS8_PKS5_SA_S6_PS5_21rocsparse_index_base_b.uses_vcc, 1
	.set _ZN9rocsparseL19gebsrmvn_2xn_kernelILj128ELj13ELj32E21rocsparse_complex_numIfEEEvi20rocsparse_direction_NS_24const_host_device_scalarIT2_EEPKiS8_PKS5_SA_S6_PS5_21rocsparse_index_base_b.uses_flat_scratch, 1
	.set _ZN9rocsparseL19gebsrmvn_2xn_kernelILj128ELj13ELj32E21rocsparse_complex_numIfEEEvi20rocsparse_direction_NS_24const_host_device_scalarIT2_EEPKiS8_PKS5_SA_S6_PS5_21rocsparse_index_base_b.has_dyn_sized_stack, 0
	.set _ZN9rocsparseL19gebsrmvn_2xn_kernelILj128ELj13ELj32E21rocsparse_complex_numIfEEEvi20rocsparse_direction_NS_24const_host_device_scalarIT2_EEPKiS8_PKS5_SA_S6_PS5_21rocsparse_index_base_b.has_recursion, 0
	.set _ZN9rocsparseL19gebsrmvn_2xn_kernelILj128ELj13ELj32E21rocsparse_complex_numIfEEEvi20rocsparse_direction_NS_24const_host_device_scalarIT2_EEPKiS8_PKS5_SA_S6_PS5_21rocsparse_index_base_b.has_indirect_call, 0
	.section	.AMDGPU.csdata,"",@progbits
; Kernel info:
; codeLenInByte = 4060
; TotalNumSgprs: 16
; NumVgprs: 96
; ScratchSize: 0
; MemoryBound: 0
; FloatMode: 240
; IeeeMode: 1
; LDSByteSize: 0 bytes/workgroup (compile time only)
; SGPRBlocks: 0
; VGPRBlocks: 5
; NumSGPRsForWavesPerEU: 16
; NumVGPRsForWavesPerEU: 96
; NamedBarCnt: 0
; Occupancy: 10
; WaveLimiterHint : 1
; COMPUTE_PGM_RSRC2:SCRATCH_EN: 0
; COMPUTE_PGM_RSRC2:USER_SGPR: 2
; COMPUTE_PGM_RSRC2:TRAP_HANDLER: 0
; COMPUTE_PGM_RSRC2:TGID_X_EN: 1
; COMPUTE_PGM_RSRC2:TGID_Y_EN: 0
; COMPUTE_PGM_RSRC2:TGID_Z_EN: 0
; COMPUTE_PGM_RSRC2:TIDIG_COMP_CNT: 0
	.section	.text._ZN9rocsparseL19gebsrmvn_2xn_kernelILj128ELj13ELj64E21rocsparse_complex_numIfEEEvi20rocsparse_direction_NS_24const_host_device_scalarIT2_EEPKiS8_PKS5_SA_S6_PS5_21rocsparse_index_base_b,"axG",@progbits,_ZN9rocsparseL19gebsrmvn_2xn_kernelILj128ELj13ELj64E21rocsparse_complex_numIfEEEvi20rocsparse_direction_NS_24const_host_device_scalarIT2_EEPKiS8_PKS5_SA_S6_PS5_21rocsparse_index_base_b,comdat
	.globl	_ZN9rocsparseL19gebsrmvn_2xn_kernelILj128ELj13ELj64E21rocsparse_complex_numIfEEEvi20rocsparse_direction_NS_24const_host_device_scalarIT2_EEPKiS8_PKS5_SA_S6_PS5_21rocsparse_index_base_b ; -- Begin function _ZN9rocsparseL19gebsrmvn_2xn_kernelILj128ELj13ELj64E21rocsparse_complex_numIfEEEvi20rocsparse_direction_NS_24const_host_device_scalarIT2_EEPKiS8_PKS5_SA_S6_PS5_21rocsparse_index_base_b
	.p2align	8
	.type	_ZN9rocsparseL19gebsrmvn_2xn_kernelILj128ELj13ELj64E21rocsparse_complex_numIfEEEvi20rocsparse_direction_NS_24const_host_device_scalarIT2_EEPKiS8_PKS5_SA_S6_PS5_21rocsparse_index_base_b,@function
_ZN9rocsparseL19gebsrmvn_2xn_kernelILj128ELj13ELj64E21rocsparse_complex_numIfEEEvi20rocsparse_direction_NS_24const_host_device_scalarIT2_EEPKiS8_PKS5_SA_S6_PS5_21rocsparse_index_base_b: ; @_ZN9rocsparseL19gebsrmvn_2xn_kernelILj128ELj13ELj64E21rocsparse_complex_numIfEEEvi20rocsparse_direction_NS_24const_host_device_scalarIT2_EEPKiS8_PKS5_SA_S6_PS5_21rocsparse_index_base_b
; %bb.0:
	s_clause 0x2
	s_load_b64 s[12:13], s[0:1], 0x40
	s_load_b64 s[2:3], s[0:1], 0x8
	;; [unrolled: 1-line block ×3, first 2 shown]
	v_mov_b32_e32 v1, 0
	s_add_nc_u64 s[6:7], s[0:1], 8
	s_add_nc_u64 s[8:9], s[0:1], 48
	s_wait_kmcnt 0x0
	s_bitcmp1_b32 s13, 0
	s_cselect_b32 s3, s7, s3
	s_cselect_b32 s2, s6, s2
	;; [unrolled: 1-line block ×4, first 2 shown]
	s_clause 0x1
	flat_load_b64 v[2:3], v1, s[2:3]
	flat_load_b64 v[4:5], v1, s[4:5]
	s_wait_loadcnt_dscnt 0x101
	v_cmp_eq_f32_e32 vcc_lo, 0, v2
	v_cmp_eq_f32_e64 s2, 0, v3
	s_wait_loadcnt_dscnt 0x0
	v_cmp_eq_f32_e64 s3, 1.0, v4
	v_cmp_eq_f32_e64 s4, 0, v5
	s_and_b32 s2, vcc_lo, s2
	s_and_b32 s3, s3, s4
	s_delay_alu instid0(SALU_CYCLE_1) | instskip(NEXT) | instid1(SALU_CYCLE_1)
	s_and_b32 s2, s2, s3
	s_xor_b32 s2, s2, -1
	s_delay_alu instid0(SALU_CYCLE_1)
	s_and_saveexec_b32 s3, s2
	s_cbranch_execz .LBB211_19
; %bb.1:
	s_load_b64 s[2:3], s[0:1], 0x0
	s_bfe_u32 s4, ttmp6, 0x4000c
	s_and_b32 s5, ttmp6, 15
	s_add_co_i32 s4, s4, 1
	s_getreg_b32 s6, hwreg(HW_REG_IB_STS2, 6, 4)
	s_mul_i32 s4, ttmp9, s4
	v_lshrrev_b32_e32 v1, 6, v0
	s_add_co_i32 s5, s5, s4
	s_cmp_eq_u32 s6, 0
	s_cselect_b32 s4, ttmp9, s5
	s_delay_alu instid0(VALU_DEP_1) | instid1(SALU_CYCLE_1)
	v_lshl_or_b32 v6, s4, 1, v1
	s_wait_kmcnt 0x0
	s_delay_alu instid0(VALU_DEP_1)
	v_cmp_gt_i32_e32 vcc_lo, s2, v6
	s_and_b32 exec_lo, exec_lo, vcc_lo
	s_cbranch_execz .LBB211_19
; %bb.2:
	s_load_b256 s[4:11], s[0:1], 0x10
	v_ashrrev_i32_e32 v7, 31, v6
	s_cmp_lg_u32 s3, 0
	s_wait_kmcnt 0x0
	s_delay_alu instid0(VALU_DEP_1)
	v_lshl_add_u64 v[8:9], v[6:7], 2, s[4:5]
	v_and_b32_e32 v7, 63, v0
	global_load_b64 v[8:9], v[8:9], off
	s_wait_loadcnt 0x0
	v_subrev_nc_u32_e32 v0, s12, v8
	v_subrev_nc_u32_e32 v12, s12, v9
	s_delay_alu instid0(VALU_DEP_2) | instskip(NEXT) | instid1(VALU_DEP_1)
	v_add_nc_u32_e32 v13, v0, v7
	v_cmp_lt_i32_e64 s2, v13, v12
	s_cbranch_scc0 .LBB211_8
; %bb.3:
	v_mov_b32_e32 v1, 0
	s_delay_alu instid0(VALU_DEP_1)
	v_dual_mov_b32 v0, v1 :: v_dual_mov_b32 v9, v1
	v_mov_b32_e32 v8, v1
	s_and_saveexec_b32 s3, s2
	s_cbranch_execz .LBB211_7
; %bb.4:
	v_mul_lo_u32 v10, v13, 26
	v_dual_mov_b32 v11, 0 :: v_dual_mov_b32 v14, v13
	s_mov_b32 s4, 0
	s_delay_alu instid0(VALU_DEP_1)
	v_dual_mov_b32 v8, v11 :: v_dual_mov_b32 v9, v11
	v_dual_mov_b32 v0, v11 :: v_dual_mov_b32 v1, v11
.LBB211_5:                              ; =>This Inner Loop Header: Depth=1
	global_load_b32 v15, v14, s[6:7] scale_offset
	v_lshl_add_u64 v[20:21], v[10:11], 3, s[8:9]
	v_dual_mov_b32 v23, v11 :: v_dual_add_nc_u32 v22, 2, v10
	v_dual_mov_b32 v25, v11 :: v_dual_mov_b32 v33, v11
	v_dual_mov_b32 v41, v11 :: v_dual_mov_b32 v49, v11
	s_delay_alu instid0(VALU_DEP_3)
	v_lshl_add_u64 v[26:27], v[22:23], 3, s[8:9]
	v_dual_mov_b32 v57, v11 :: v_dual_mov_b32 v29, v11
	v_dual_mov_b32 v37, v11 :: v_dual_mov_b32 v45, v11
	v_dual_mov_b32 v53, v11 :: v_dual_mov_b32 v61, v11
	s_wait_xcnt 0x0
	v_add_nc_u32_e32 v14, 64, v14
	s_delay_alu instid0(VALU_DEP_1) | instskip(SKIP_3) | instid1(VALU_DEP_1)
	v_cmp_ge_i32_e32 vcc_lo, v14, v12
	s_or_b32 s4, vcc_lo, s4
	s_wait_loadcnt 0x0
	v_subrev_nc_u32_e32 v15, s12, v15
	v_mul_lo_u32 v15, v15, 13
	global_load_b128 v[16:19], v[20:21], off
	global_load_b64 v[68:69], v15, s[10:11] scale_offset
	v_dual_add_nc_u32 v24, 4, v10 :: v_dual_add_nc_u32 v28, 1, v15
	global_load_b128 v[20:23], v[26:27], off
	global_load_b64 v[70:71], v28, s[10:11] scale_offset
	s_wait_xcnt 0x0
	v_add_nc_u32_e32 v28, 6, v10
	v_lshl_add_u64 v[30:31], v[24:25], 3, s[8:9]
	v_add_nc_u32_e32 v32, 2, v15
	global_load_b128 v[24:27], v[30:31], off
	global_load_b64 v[72:73], v32, s[10:11] scale_offset
	v_lshl_add_u64 v[34:35], v[28:29], 3, s[8:9]
	s_wait_xcnt 0x0
	v_dual_add_nc_u32 v32, 8, v10 :: v_dual_add_nc_u32 v36, 3, v15
	global_load_b128 v[28:31], v[34:35], off
	global_load_b64 v[74:75], v36, s[10:11] scale_offset
	s_wait_xcnt 0x0
	v_add_nc_u32_e32 v36, 10, v10
	v_lshl_add_u64 v[38:39], v[32:33], 3, s[8:9]
	v_add_nc_u32_e32 v40, 4, v15
	global_load_b128 v[32:35], v[38:39], off
	global_load_b64 v[76:77], v40, s[10:11] scale_offset
	v_lshl_add_u64 v[42:43], v[36:37], 3, s[8:9]
	s_wait_xcnt 0x0
	;; [unrolled: 11-line block ×5, first 2 shown]
	v_dual_add_nc_u32 v64, 24, v10 :: v_dual_add_nc_u32 v92, 11, v15
	v_dual_mov_b32 v65, v11 :: v_dual_add_nc_u32 v15, 12, v15
	global_load_b128 v[60:63], v[66:67], off
	global_load_b64 v[90:91], v92, s[10:11] scale_offset
	v_add_nc_u32_e32 v10, 0x680, v10
	s_wait_xcnt 0x0
	v_lshl_add_u64 v[92:93], v[64:65], 3, s[8:9]
	global_load_b128 v[64:67], v[92:93], off
	global_load_b64 v[94:95], v15, s[10:11] scale_offset
	s_wait_loadcnt 0x19
	s_wait_xcnt 0x1
	v_xor_b32_e32 v92, 0x80000000, v19
	v_mov_b32_e32 v93, v18
	s_wait_loadcnt 0x18
	v_pk_fma_f32 v[0:1], v[16:17], v[68:69], v[0:1] op_sel_hi:[1,0,1]
	v_pk_fma_f32 v[8:9], v[18:19], v[68:69], v[8:9] op_sel_hi:[1,0,1]
	s_delay_alu instid0(VALU_DEP_2) | instskip(SKIP_2) | instid1(VALU_DEP_3)
	v_pk_fma_f32 v[0:1], v[16:17], v[68:69], v[0:1] op_sel:[1,1,0] op_sel_hi:[0,1,1] neg_lo:[1,0,0]
	s_wait_loadcnt 0x17
	v_mov_b32_e32 v17, v22
	v_pk_fma_f32 v[8:9], v[92:93], v[68:69], v[8:9] op_sel:[0,1,0]
	v_xor_b32_e32 v16, 0x80000000, v23
	s_wait_loadcnt 0x16
	v_pk_fma_f32 v[0:1], v[20:21], v[70:71], v[0:1] op_sel_hi:[1,0,1]
	s_delay_alu instid0(VALU_DEP_3) | instskip(NEXT) | instid1(VALU_DEP_2)
	v_pk_fma_f32 v[8:9], v[22:23], v[70:71], v[8:9] op_sel_hi:[1,0,1]
	v_pk_fma_f32 v[0:1], v[20:21], v[70:71], v[0:1] op_sel:[1,1,0] op_sel_hi:[0,1,1] neg_lo:[1,0,0]
	s_delay_alu instid0(VALU_DEP_2)
	v_pk_fma_f32 v[8:9], v[16:17], v[70:71], v[8:9] op_sel:[0,1,0]
	s_wait_loadcnt 0x15
	v_xor_b32_e32 v16, 0x80000000, v27
	v_mov_b32_e32 v17, v26
	s_wait_loadcnt 0x14
	v_pk_fma_f32 v[0:1], v[24:25], v[72:73], v[0:1] op_sel_hi:[1,0,1]
	v_pk_fma_f32 v[8:9], v[26:27], v[72:73], v[8:9] op_sel_hi:[1,0,1]
	s_delay_alu instid0(VALU_DEP_2) | instskip(NEXT) | instid1(VALU_DEP_2)
	v_pk_fma_f32 v[0:1], v[24:25], v[72:73], v[0:1] op_sel:[1,1,0] op_sel_hi:[0,1,1] neg_lo:[1,0,0]
	v_pk_fma_f32 v[8:9], v[16:17], v[72:73], v[8:9] op_sel:[0,1,0]
	s_wait_loadcnt 0x13
	v_xor_b32_e32 v16, 0x80000000, v31
	v_mov_b32_e32 v17, v30
	s_wait_loadcnt 0x12
	v_pk_fma_f32 v[0:1], v[28:29], v[74:75], v[0:1] op_sel_hi:[1,0,1]
	v_pk_fma_f32 v[8:9], v[30:31], v[74:75], v[8:9] op_sel_hi:[1,0,1]
	s_delay_alu instid0(VALU_DEP_2) | instskip(NEXT) | instid1(VALU_DEP_2)
	v_pk_fma_f32 v[0:1], v[28:29], v[74:75], v[0:1] op_sel:[1,1,0] op_sel_hi:[0,1,1] neg_lo:[1,0,0]
	;; [unrolled: 9-line block ×11, first 2 shown]
	v_pk_fma_f32 v[8:9], v[16:17], v[94:95], v[8:9] op_sel:[0,1,0]
	s_and_not1_b32 exec_lo, exec_lo, s4
	s_cbranch_execnz .LBB211_5
; %bb.6:
	s_or_b32 exec_lo, exec_lo, s4
.LBB211_7:
	s_delay_alu instid0(SALU_CYCLE_1)
	s_or_b32 exec_lo, exec_lo, s3
	s_cbranch_execz .LBB211_9
	s_branch .LBB211_14
.LBB211_8:
                                        ; implicit-def: $vgpr1
                                        ; implicit-def: $vgpr9
.LBB211_9:
	v_mov_b32_e32 v1, 0
	s_delay_alu instid0(VALU_DEP_1)
	v_dual_mov_b32 v0, v1 :: v_dual_mov_b32 v9, v1
	v_mov_b32_e32 v8, v1
	s_and_saveexec_b32 s3, s2
	s_cbranch_execz .LBB211_13
; %bb.10:
	v_mad_u32 v14, v13, 26, 25
	v_mov_b32_e32 v11, 0
	s_mov_b32 s2, 0
	s_delay_alu instid0(VALU_DEP_1)
	v_dual_mov_b32 v8, v11 :: v_dual_mov_b32 v9, v11
	v_dual_mov_b32 v0, v11 :: v_dual_mov_b32 v1, v11
.LBB211_11:                             ; =>This Inner Loop Header: Depth=1
	global_load_b32 v15, v13, s[6:7] scale_offset
	v_subrev_nc_u32_e32 v10, 25, v14
	v_dual_add_nc_u32 v26, -12, v14 :: v_dual_add_nc_u32 v27, -11, v14
	v_subrev_nc_u32_e32 v36, 22, v14
	v_dual_add_nc_u32 v37, -10, v14 :: v_dual_add_nc_u32 v42, -9, v14
	s_delay_alu instid0(VALU_DEP_4)
	v_lshl_add_u64 v[20:21], v[10:11], 3, s[8:9]
	v_add_nc_u32_e32 v48, -8, v14
	s_clause 0x2
	global_load_b64 v[22:23], v27, s[8:9] scale_offset
	global_load_b128 v[16:19], v[20:21], off
	global_load_b64 v[24:25], v26, s[8:9] scale_offset
	v_subrev_nc_u32_e32 v54, 19, v14
	v_subrev_nc_u32_e32 v61, 18, v14
	v_add_nc_u32_e32 v60, -6, v14
	v_subrev_nc_u32_e32 v72, 17, v14
	v_dual_add_nc_u32 v73, -4, v14 :: v_dual_add_nc_u32 v74, -16, v14
	v_dual_add_nc_u32 v80, -3, v14 :: v_dual_add_nc_u32 v75, -15, v14
	v_dual_add_nc_u32 v81, -2, v14 :: v_dual_add_nc_u32 v82, -14, v14
	s_wait_xcnt 0x3
	v_add_nc_u32_e32 v13, 64, v13
	s_delay_alu instid0(VALU_DEP_1) | instskip(SKIP_3) | instid1(VALU_DEP_1)
	v_cmp_ge_i32_e32 vcc_lo, v13, v12
	s_or_b32 s2, vcc_lo, s2
	s_wait_loadcnt 0x3
	v_subrev_nc_u32_e32 v10, s12, v15
	v_mul_lo_u32 v10, v10, 13
	global_load_b64 v[20:21], v10, s[10:11] scale_offset
	v_dual_add_nc_u32 v15, 1, v10 :: v_dual_add_nc_u32 v38, 2, v10
	v_dual_add_nc_u32 v43, 3, v10 :: v_dual_add_nc_u32 v49, 4, v10
	;; [unrolled: 1-line block ×3, first 2 shown]
	global_load_b64 v[26:27], v15, s[10:11] scale_offset
	s_wait_xcnt 0x0
	v_subrev_nc_u32_e32 v15, 23, v14
	s_clause 0x2
	global_load_b64 v[28:29], v15, s[8:9] scale_offset
	global_load_b64 v[30:31], v36, s[8:9] scale_offset
	;; [unrolled: 1-line block ×4, first 2 shown]
	s_wait_xcnt 0x3
	v_subrev_nc_u32_e32 v15, 21, v14
	s_clause 0x1
	global_load_b64 v[36:37], v15, s[8:9] scale_offset
	global_load_b64 v[38:39], v42, s[8:9] scale_offset
	;; [unrolled: 1-line block ×3, first 2 shown]
	s_wait_xcnt 0x2
	v_subrev_nc_u32_e32 v15, 20, v14
	s_clause 0x1
	global_load_b64 v[42:43], v15, s[8:9] scale_offset
	global_load_b64 v[44:45], v48, s[8:9] scale_offset
	;; [unrolled: 1-line block ×3, first 2 shown]
	s_wait_xcnt 0x2
	v_add_nc_u32_e32 v15, -7, v14
	s_clause 0x1
	global_load_b64 v[48:49], v54, s[8:9] scale_offset
	global_load_b64 v[50:51], v15, s[8:9] scale_offset
	;; [unrolled: 1-line block ×3, first 2 shown]
	s_wait_xcnt 0x1
	v_add_nc_u32_e32 v15, -5, v14
	s_clause 0x1
	global_load_b64 v[54:55], v61, s[8:9] scale_offset
	global_load_b64 v[56:57], v60, s[8:9] scale_offset
	;; [unrolled: 1-line block ×3, first 2 shown]
	v_add_nc_u32_e32 v76, 7, v10
	s_clause 0x1
	global_load_b64 v[60:61], v15, s[8:9] scale_offset
	global_load_b64 v[62:63], v72, s[8:9] scale_offset
	;; [unrolled: 1-line block ×3, first 2 shown]
	s_clause 0x2
	global_load_b64 v[66:67], v74, s[8:9] scale_offset
	global_load_b64 v[68:69], v73, s[8:9] scale_offset
	;; [unrolled: 1-line block ×3, first 2 shown]
	s_wait_xcnt 0x5
	v_add_nc_u32_e32 v15, 8, v10
	s_clause 0x2
	global_load_b64 v[72:73], v80, s[8:9] scale_offset
	global_load_b64 v[74:75], v82, s[8:9] scale_offset
	;; [unrolled: 1-line block ×4, first 2 shown]
	s_wait_xcnt 0x0
	v_dual_add_nc_u32 v15, 9, v10 :: v_dual_add_nc_u32 v80, 10, v10
	v_add_nc_u32_e32 v82, -1, v14
	v_dual_add_nc_u32 v83, 11, v10 :: v_dual_add_nc_u32 v10, 12, v10
	s_wait_loadcnt 0x1b
	v_pk_fma_f32 v[8:9], v[24:25], v[20:21], v[8:9] op_sel_hi:[1,0,1]
	v_pk_fma_f32 v[0:1], v[16:17], v[20:21], v[0:1] op_sel_hi:[1,0,1]
	s_delay_alu instid0(VALU_DEP_2)
	v_pk_fma_f32 v[8:9], v[24:25], v[20:21], v[8:9] op_sel:[1,1,0] op_sel_hi:[0,1,1] neg_lo:[1,0,0]
	global_load_b64 v[24:25], v15, s[10:11] scale_offset
	v_pk_fma_f32 v[0:1], v[16:17], v[20:21], v[0:1] op_sel:[1,1,0] op_sel_hi:[0,1,1] neg_lo:[1,0,0]
	global_load_b64 v[20:21], v80, s[10:11] scale_offset
	v_xor_b32_e32 v16, 0x80000000, v19
	s_wait_xcnt 0x1
	v_dual_mov_b32 v17, v18 :: v_dual_add_nc_u32 v15, -13, v14
	s_wait_loadcnt 0x1c
	v_pk_fma_f32 v[0:1], v[18:19], v[26:27], v[0:1] op_sel_hi:[1,0,1]
	v_pk_fma_f32 v[8:9], v[22:23], v[26:27], v[8:9] op_sel_hi:[1,0,1]
	global_load_b64 v[18:19], v15, s[8:9] scale_offset
	v_pk_fma_f32 v[0:1], v[16:17], v[26:27], v[0:1] op_sel:[0,1,0]
	global_load_b64 v[16:17], v82, s[8:9] scale_offset
	global_load_b64 v[80:81], v83, s[10:11] scale_offset
	v_pk_fma_f32 v[8:9], v[22:23], v[26:27], v[8:9] op_sel:[1,1,0] op_sel_hi:[0,1,1] neg_lo:[1,0,0]
	global_load_b64 v[22:23], v14, s[8:9] scale_offset
	global_load_b64 v[26:27], v10, s[10:11] scale_offset
	s_wait_xcnt 0x1
	v_add_nc_u32_e32 v14, 0x680, v14
	s_wait_loadcnt 0x1d
	v_pk_fma_f32 v[0:1], v[28:29], v[34:35], v[0:1] op_sel_hi:[1,0,1]
	v_pk_fma_f32 v[8:9], v[32:33], v[34:35], v[8:9] op_sel_hi:[1,0,1]
	s_delay_alu instid0(VALU_DEP_2) | instskip(NEXT) | instid1(VALU_DEP_2)
	v_pk_fma_f32 v[0:1], v[28:29], v[34:35], v[0:1] op_sel:[1,1,0] op_sel_hi:[0,1,1] neg_lo:[1,0,0]
	v_pk_fma_f32 v[8:9], v[32:33], v[34:35], v[8:9] op_sel:[1,1,0] op_sel_hi:[0,1,1] neg_lo:[1,0,0]
	s_wait_loadcnt 0x1a
	s_delay_alu instid0(VALU_DEP_2) | instskip(NEXT) | instid1(VALU_DEP_2)
	v_pk_fma_f32 v[0:1], v[30:31], v[40:41], v[0:1] op_sel_hi:[1,0,1]
	v_pk_fma_f32 v[8:9], v[38:39], v[40:41], v[8:9] op_sel_hi:[1,0,1]
	s_delay_alu instid0(VALU_DEP_2) | instskip(NEXT) | instid1(VALU_DEP_2)
	v_pk_fma_f32 v[0:1], v[30:31], v[40:41], v[0:1] op_sel:[1,1,0] op_sel_hi:[0,1,1] neg_lo:[1,0,0]
	v_pk_fma_f32 v[8:9], v[38:39], v[40:41], v[8:9] op_sel:[1,1,0] op_sel_hi:[0,1,1] neg_lo:[1,0,0]
	s_wait_loadcnt 0x17
	s_delay_alu instid0(VALU_DEP_2) | instskip(NEXT) | instid1(VALU_DEP_2)
	;; [unrolled: 7-line block ×10, first 2 shown]
	v_pk_fma_f32 v[0:1], v[18:19], v[26:27], v[0:1] op_sel_hi:[1,0,1]
	v_pk_fma_f32 v[8:9], v[22:23], v[26:27], v[8:9] op_sel_hi:[1,0,1]
	s_delay_alu instid0(VALU_DEP_2) | instskip(NEXT) | instid1(VALU_DEP_2)
	v_pk_fma_f32 v[0:1], v[18:19], v[26:27], v[0:1] op_sel:[1,1,0] op_sel_hi:[0,1,1] neg_lo:[1,0,0]
	v_pk_fma_f32 v[8:9], v[22:23], v[26:27], v[8:9] op_sel:[1,1,0] op_sel_hi:[0,1,1] neg_lo:[1,0,0]
	s_and_not1_b32 exec_lo, exec_lo, s2
	s_cbranch_execnz .LBB211_11
; %bb.12:
	s_or_b32 exec_lo, exec_lo, s2
.LBB211_13:
	s_delay_alu instid0(SALU_CYCLE_1)
	s_or_b32 exec_lo, exec_lo, s3
.LBB211_14:
	v_mbcnt_lo_u32_b32 v10, -1, 0
	s_delay_alu instid0(VALU_DEP_1) | instskip(SKIP_1) | instid1(VALU_DEP_1)
	v_xor_b32_e32 v15, 16, v10
	v_or_b32_e32 v11, 32, v10
	v_cmp_gt_i32_e32 vcc_lo, 32, v11
	v_cndmask_b32_e32 v11, v10, v11, vcc_lo
	s_delay_alu instid0(VALU_DEP_1)
	v_lshlrev_b32_e32 v11, 2, v11
	ds_bpermute_b32 v13, v11, v1
	s_wait_dscnt 0x0
	v_add_f32_e32 v1, v1, v13
	ds_bpermute_b32 v12, v11, v0
	ds_bpermute_b32 v14, v11, v8
	;; [unrolled: 1-line block ×3, first 2 shown]
	s_wait_dscnt 0x2
	v_add_f32_e32 v0, v0, v12
	s_wait_dscnt 0x0
	v_dual_add_f32 v8, v8, v14 :: v_dual_add_f32 v9, v9, v11
	v_cmp_gt_i32_e32 vcc_lo, 32, v15
	v_cndmask_b32_e32 v15, v10, v15, vcc_lo
	s_delay_alu instid0(VALU_DEP_1)
	v_lshlrev_b32_e32 v15, 2, v15
	ds_bpermute_b32 v11, v15, v0
	ds_bpermute_b32 v12, v15, v1
	;; [unrolled: 1-line block ×4, first 2 shown]
	s_wait_dscnt 0x3
	v_dual_add_f32 v0, v0, v11 :: v_dual_bitop2_b32 v15, 8, v10 bitop3:0x14
	s_delay_alu instid0(VALU_DEP_1)
	v_cmp_gt_i32_e32 vcc_lo, 32, v15
	s_wait_dscnt 0x2
	v_add_f32_e32 v1, v1, v12
	s_wait_dscnt 0x0
	v_dual_add_f32 v9, v9, v14 :: v_dual_add_f32 v8, v8, v13
	v_cndmask_b32_e32 v15, v10, v15, vcc_lo
	s_delay_alu instid0(VALU_DEP_1)
	v_lshlrev_b32_e32 v15, 2, v15
	ds_bpermute_b32 v11, v15, v0
	ds_bpermute_b32 v12, v15, v1
	;; [unrolled: 1-line block ×4, first 2 shown]
	s_wait_dscnt 0x3
	v_dual_add_f32 v0, v0, v11 :: v_dual_bitop2_b32 v15, 4, v10 bitop3:0x14
	s_delay_alu instid0(VALU_DEP_1) | instskip(SKIP_4) | instid1(VALU_DEP_2)
	v_cmp_gt_i32_e32 vcc_lo, 32, v15
	s_wait_dscnt 0x2
	v_dual_add_f32 v1, v1, v12 :: v_dual_cndmask_b32 v15, v10, v15, vcc_lo
	s_wait_dscnt 0x0
	v_dual_add_f32 v8, v8, v13 :: v_dual_add_f32 v9, v9, v14
	v_lshlrev_b32_e32 v15, 2, v15
	ds_bpermute_b32 v11, v15, v0
	ds_bpermute_b32 v12, v15, v1
	;; [unrolled: 1-line block ×4, first 2 shown]
	s_wait_dscnt 0x3
	v_dual_add_f32 v0, v0, v11 :: v_dual_bitop2_b32 v15, 2, v10 bitop3:0x14
	s_delay_alu instid0(VALU_DEP_1) | instskip(SKIP_4) | instid1(VALU_DEP_1)
	v_cmp_gt_i32_e32 vcc_lo, 32, v15
	s_wait_dscnt 0x1
	v_dual_add_f32 v1, v1, v12 :: v_dual_add_f32 v11, v8, v13
	s_wait_dscnt 0x0
	v_dual_add_f32 v9, v9, v14 :: v_dual_cndmask_b32 v15, v10, v15, vcc_lo
	v_lshlrev_b32_e32 v15, 2, v15
	ds_bpermute_b32 v8, v15, v0
	ds_bpermute_b32 v12, v15, v1
	;; [unrolled: 1-line block ×4, first 2 shown]
	s_wait_dscnt 0x3
	v_dual_add_f32 v0, v0, v8 :: v_dual_bitop2_b32 v15, 1, v10 bitop3:0x14
	s_delay_alu instid0(VALU_DEP_1)
	v_cmp_gt_i32_e32 vcc_lo, 32, v15
	s_wait_dscnt 0x2
	v_dual_add_f32 v8, v1, v12 :: v_dual_cndmask_b32 v10, v10, v15, vcc_lo
	s_wait_dscnt 0x0
	v_dual_add_f32 v1, v11, v13 :: v_dual_add_f32 v9, v9, v14
	v_cmp_eq_u32_e32 vcc_lo, 63, v7
	s_delay_alu instid0(VALU_DEP_3)
	v_lshlrev_b32_e32 v15, 2, v10
	ds_bpermute_b32 v12, v15, v0
	ds_bpermute_b32 v13, v15, v8
	;; [unrolled: 1-line block ×4, first 2 shown]
	s_and_b32 exec_lo, exec_lo, vcc_lo
	s_cbranch_execz .LBB211_19
; %bb.15:
	s_load_b64 s[2:3], s[0:1], 0x38
	v_cmp_eq_f32_e32 vcc_lo, 0, v4
	s_wait_xcnt 0x0
	v_cmp_eq_f32_e64 s0, 0, v5
	s_wait_dscnt 0x3
	v_add_f32_e32 v0, v0, v12
	s_wait_dscnt 0x1
	v_dual_add_f32 v12, v8, v13 :: v_dual_add_f32 v8, v1, v10
	s_wait_dscnt 0x0
	v_add_f32_e32 v10, v9, v11
	s_and_b32 s0, vcc_lo, s0
	s_delay_alu instid0(SALU_CYCLE_1) | instskip(NEXT) | instid1(SALU_CYCLE_1)
	s_and_saveexec_b32 s1, s0
	s_xor_b32 s0, exec_lo, s1
	s_cbranch_execz .LBB211_17
; %bb.16:
	v_xor_b32_e32 v4, 0x80000000, v3
	v_dual_mov_b32 v5, v2 :: v_dual_lshlrev_b32 v6, 1, v6
	s_delay_alu instid0(VALU_DEP_1) | instskip(NEXT) | instid1(VALU_DEP_2)
	v_ashrrev_i32_e32 v7, 31, v6
	v_pk_mul_f32 v[12:13], v[12:13], v[4:5] op_sel_hi:[0,1]
	v_pk_mul_f32 v[4:5], v[10:11], v[4:5] op_sel_hi:[0,1]
                                        ; implicit-def: $vgpr10
	s_wait_kmcnt 0x0
	s_delay_alu instid0(VALU_DEP_3) | instskip(NEXT) | instid1(VALU_DEP_3)
	v_lshl_add_u64 v[6:7], v[6:7], 3, s[2:3]
	v_pk_fma_f32 v[0:1], v[2:3], v[0:1], v[12:13] op_sel_hi:[1,0,1]
	s_delay_alu instid0(VALU_DEP_3)
	v_pk_fma_f32 v[2:3], v[2:3], v[8:9], v[4:5] op_sel_hi:[1,0,1]
                                        ; implicit-def: $vgpr4_vgpr5
                                        ; implicit-def: $vgpr12
                                        ; implicit-def: $vgpr8
	global_store_b128 v[6:7], v[0:3], off
                                        ; implicit-def: $vgpr6
                                        ; implicit-def: $vgpr2_vgpr3
                                        ; implicit-def: $vgpr0
.LBB211_17:
	s_wait_xcnt 0x0
	s_and_not1_saveexec_b32 s0, s0
	s_cbranch_execz .LBB211_19
; %bb.18:
	v_dual_mov_b32 v19, v2 :: v_dual_lshlrev_b32 v6, 1, v6
	v_xor_b32_e32 v18, 0x80000000, v3
	s_delay_alu instid0(VALU_DEP_2) | instskip(NEXT) | instid1(VALU_DEP_2)
	v_ashrrev_i32_e32 v7, 31, v6
	v_pk_mul_f32 v[12:13], v[12:13], v[18:19] op_sel_hi:[0,1]
	v_pk_mul_f32 v[10:11], v[10:11], v[18:19] op_sel_hi:[0,1]
	s_delay_alu instid0(VALU_DEP_2) | instskip(NEXT) | instid1(VALU_DEP_2)
	v_pk_fma_f32 v[0:1], v[2:3], v[0:1], v[12:13] op_sel_hi:[1,0,1]
	v_pk_fma_f32 v[2:3], v[2:3], v[8:9], v[10:11] op_sel_hi:[1,0,1]
	v_mov_b32_e32 v9, v4
	s_wait_kmcnt 0x0
	v_lshl_add_u64 v[6:7], v[6:7], 3, s[2:3]
	v_xor_b32_e32 v8, 0x80000000, v5
	global_load_b128 v[14:17], v[6:7], off
	s_wait_loadcnt 0x0
	v_pk_fma_f32 v[0:1], v[4:5], v[14:15], v[0:1] op_sel_hi:[1,0,1]
	v_pk_fma_f32 v[2:3], v[4:5], v[16:17], v[2:3] op_sel_hi:[1,0,1]
	v_mov_b32_e32 v4, v17
	s_delay_alu instid0(VALU_DEP_3) | instskip(NEXT) | instid1(VALU_DEP_2)
	v_pk_fma_f32 v[0:1], v[8:9], v[14:15], v[0:1] op_sel:[0,1,0]
	v_pk_fma_f32 v[2:3], v[8:9], v[4:5], v[2:3] op_sel_hi:[1,0,1]
	global_store_b128 v[6:7], v[0:3], off
.LBB211_19:
	s_sendmsg sendmsg(MSG_DEALLOC_VGPRS)
	s_endpgm
	.section	.rodata,"a",@progbits
	.p2align	6, 0x0
	.amdhsa_kernel _ZN9rocsparseL19gebsrmvn_2xn_kernelILj128ELj13ELj64E21rocsparse_complex_numIfEEEvi20rocsparse_direction_NS_24const_host_device_scalarIT2_EEPKiS8_PKS5_SA_S6_PS5_21rocsparse_index_base_b
		.amdhsa_group_segment_fixed_size 0
		.amdhsa_private_segment_fixed_size 0
		.amdhsa_kernarg_size 72
		.amdhsa_user_sgpr_count 2
		.amdhsa_user_sgpr_dispatch_ptr 0
		.amdhsa_user_sgpr_queue_ptr 0
		.amdhsa_user_sgpr_kernarg_segment_ptr 1
		.amdhsa_user_sgpr_dispatch_id 0
		.amdhsa_user_sgpr_kernarg_preload_length 0
		.amdhsa_user_sgpr_kernarg_preload_offset 0
		.amdhsa_user_sgpr_private_segment_size 0
		.amdhsa_wavefront_size32 1
		.amdhsa_uses_dynamic_stack 0
		.amdhsa_enable_private_segment 0
		.amdhsa_system_sgpr_workgroup_id_x 1
		.amdhsa_system_sgpr_workgroup_id_y 0
		.amdhsa_system_sgpr_workgroup_id_z 0
		.amdhsa_system_sgpr_workgroup_info 0
		.amdhsa_system_vgpr_workitem_id 0
		.amdhsa_next_free_vgpr 96
		.amdhsa_next_free_sgpr 14
		.amdhsa_named_barrier_count 0
		.amdhsa_reserve_vcc 1
		.amdhsa_float_round_mode_32 0
		.amdhsa_float_round_mode_16_64 0
		.amdhsa_float_denorm_mode_32 3
		.amdhsa_float_denorm_mode_16_64 3
		.amdhsa_fp16_overflow 0
		.amdhsa_memory_ordered 1
		.amdhsa_forward_progress 1
		.amdhsa_inst_pref_size 33
		.amdhsa_round_robin_scheduling 0
		.amdhsa_exception_fp_ieee_invalid_op 0
		.amdhsa_exception_fp_denorm_src 0
		.amdhsa_exception_fp_ieee_div_zero 0
		.amdhsa_exception_fp_ieee_overflow 0
		.amdhsa_exception_fp_ieee_underflow 0
		.amdhsa_exception_fp_ieee_inexact 0
		.amdhsa_exception_int_div_zero 0
	.end_amdhsa_kernel
	.section	.text._ZN9rocsparseL19gebsrmvn_2xn_kernelILj128ELj13ELj64E21rocsparse_complex_numIfEEEvi20rocsparse_direction_NS_24const_host_device_scalarIT2_EEPKiS8_PKS5_SA_S6_PS5_21rocsparse_index_base_b,"axG",@progbits,_ZN9rocsparseL19gebsrmvn_2xn_kernelILj128ELj13ELj64E21rocsparse_complex_numIfEEEvi20rocsparse_direction_NS_24const_host_device_scalarIT2_EEPKiS8_PKS5_SA_S6_PS5_21rocsparse_index_base_b,comdat
.Lfunc_end211:
	.size	_ZN9rocsparseL19gebsrmvn_2xn_kernelILj128ELj13ELj64E21rocsparse_complex_numIfEEEvi20rocsparse_direction_NS_24const_host_device_scalarIT2_EEPKiS8_PKS5_SA_S6_PS5_21rocsparse_index_base_b, .Lfunc_end211-_ZN9rocsparseL19gebsrmvn_2xn_kernelILj128ELj13ELj64E21rocsparse_complex_numIfEEEvi20rocsparse_direction_NS_24const_host_device_scalarIT2_EEPKiS8_PKS5_SA_S6_PS5_21rocsparse_index_base_b
                                        ; -- End function
	.set _ZN9rocsparseL19gebsrmvn_2xn_kernelILj128ELj13ELj64E21rocsparse_complex_numIfEEEvi20rocsparse_direction_NS_24const_host_device_scalarIT2_EEPKiS8_PKS5_SA_S6_PS5_21rocsparse_index_base_b.num_vgpr, 96
	.set _ZN9rocsparseL19gebsrmvn_2xn_kernelILj128ELj13ELj64E21rocsparse_complex_numIfEEEvi20rocsparse_direction_NS_24const_host_device_scalarIT2_EEPKiS8_PKS5_SA_S6_PS5_21rocsparse_index_base_b.num_agpr, 0
	.set _ZN9rocsparseL19gebsrmvn_2xn_kernelILj128ELj13ELj64E21rocsparse_complex_numIfEEEvi20rocsparse_direction_NS_24const_host_device_scalarIT2_EEPKiS8_PKS5_SA_S6_PS5_21rocsparse_index_base_b.numbered_sgpr, 14
	.set _ZN9rocsparseL19gebsrmvn_2xn_kernelILj128ELj13ELj64E21rocsparse_complex_numIfEEEvi20rocsparse_direction_NS_24const_host_device_scalarIT2_EEPKiS8_PKS5_SA_S6_PS5_21rocsparse_index_base_b.num_named_barrier, 0
	.set _ZN9rocsparseL19gebsrmvn_2xn_kernelILj128ELj13ELj64E21rocsparse_complex_numIfEEEvi20rocsparse_direction_NS_24const_host_device_scalarIT2_EEPKiS8_PKS5_SA_S6_PS5_21rocsparse_index_base_b.private_seg_size, 0
	.set _ZN9rocsparseL19gebsrmvn_2xn_kernelILj128ELj13ELj64E21rocsparse_complex_numIfEEEvi20rocsparse_direction_NS_24const_host_device_scalarIT2_EEPKiS8_PKS5_SA_S6_PS5_21rocsparse_index_base_b.uses_vcc, 1
	.set _ZN9rocsparseL19gebsrmvn_2xn_kernelILj128ELj13ELj64E21rocsparse_complex_numIfEEEvi20rocsparse_direction_NS_24const_host_device_scalarIT2_EEPKiS8_PKS5_SA_S6_PS5_21rocsparse_index_base_b.uses_flat_scratch, 1
	.set _ZN9rocsparseL19gebsrmvn_2xn_kernelILj128ELj13ELj64E21rocsparse_complex_numIfEEEvi20rocsparse_direction_NS_24const_host_device_scalarIT2_EEPKiS8_PKS5_SA_S6_PS5_21rocsparse_index_base_b.has_dyn_sized_stack, 0
	.set _ZN9rocsparseL19gebsrmvn_2xn_kernelILj128ELj13ELj64E21rocsparse_complex_numIfEEEvi20rocsparse_direction_NS_24const_host_device_scalarIT2_EEPKiS8_PKS5_SA_S6_PS5_21rocsparse_index_base_b.has_recursion, 0
	.set _ZN9rocsparseL19gebsrmvn_2xn_kernelILj128ELj13ELj64E21rocsparse_complex_numIfEEEvi20rocsparse_direction_NS_24const_host_device_scalarIT2_EEPKiS8_PKS5_SA_S6_PS5_21rocsparse_index_base_b.has_indirect_call, 0
	.section	.AMDGPU.csdata,"",@progbits
; Kernel info:
; codeLenInByte = 4156
; TotalNumSgprs: 16
; NumVgprs: 96
; ScratchSize: 0
; MemoryBound: 0
; FloatMode: 240
; IeeeMode: 1
; LDSByteSize: 0 bytes/workgroup (compile time only)
; SGPRBlocks: 0
; VGPRBlocks: 5
; NumSGPRsForWavesPerEU: 16
; NumVGPRsForWavesPerEU: 96
; NamedBarCnt: 0
; Occupancy: 10
; WaveLimiterHint : 1
; COMPUTE_PGM_RSRC2:SCRATCH_EN: 0
; COMPUTE_PGM_RSRC2:USER_SGPR: 2
; COMPUTE_PGM_RSRC2:TRAP_HANDLER: 0
; COMPUTE_PGM_RSRC2:TGID_X_EN: 1
; COMPUTE_PGM_RSRC2:TGID_Y_EN: 0
; COMPUTE_PGM_RSRC2:TGID_Z_EN: 0
; COMPUTE_PGM_RSRC2:TIDIG_COMP_CNT: 0
	.section	.text._ZN9rocsparseL19gebsrmvn_2xn_kernelILj128ELj14ELj4E21rocsparse_complex_numIfEEEvi20rocsparse_direction_NS_24const_host_device_scalarIT2_EEPKiS8_PKS5_SA_S6_PS5_21rocsparse_index_base_b,"axG",@progbits,_ZN9rocsparseL19gebsrmvn_2xn_kernelILj128ELj14ELj4E21rocsparse_complex_numIfEEEvi20rocsparse_direction_NS_24const_host_device_scalarIT2_EEPKiS8_PKS5_SA_S6_PS5_21rocsparse_index_base_b,comdat
	.globl	_ZN9rocsparseL19gebsrmvn_2xn_kernelILj128ELj14ELj4E21rocsparse_complex_numIfEEEvi20rocsparse_direction_NS_24const_host_device_scalarIT2_EEPKiS8_PKS5_SA_S6_PS5_21rocsparse_index_base_b ; -- Begin function _ZN9rocsparseL19gebsrmvn_2xn_kernelILj128ELj14ELj4E21rocsparse_complex_numIfEEEvi20rocsparse_direction_NS_24const_host_device_scalarIT2_EEPKiS8_PKS5_SA_S6_PS5_21rocsparse_index_base_b
	.p2align	8
	.type	_ZN9rocsparseL19gebsrmvn_2xn_kernelILj128ELj14ELj4E21rocsparse_complex_numIfEEEvi20rocsparse_direction_NS_24const_host_device_scalarIT2_EEPKiS8_PKS5_SA_S6_PS5_21rocsparse_index_base_b,@function
_ZN9rocsparseL19gebsrmvn_2xn_kernelILj128ELj14ELj4E21rocsparse_complex_numIfEEEvi20rocsparse_direction_NS_24const_host_device_scalarIT2_EEPKiS8_PKS5_SA_S6_PS5_21rocsparse_index_base_b: ; @_ZN9rocsparseL19gebsrmvn_2xn_kernelILj128ELj14ELj4E21rocsparse_complex_numIfEEEvi20rocsparse_direction_NS_24const_host_device_scalarIT2_EEPKiS8_PKS5_SA_S6_PS5_21rocsparse_index_base_b
; %bb.0:
	s_clause 0x2
	s_load_b64 s[12:13], s[0:1], 0x40
	s_load_b64 s[2:3], s[0:1], 0x8
	s_load_b64 s[4:5], s[0:1], 0x30
	v_mov_b32_e32 v1, 0
	s_add_nc_u64 s[6:7], s[0:1], 8
	s_add_nc_u64 s[8:9], s[0:1], 48
	s_wait_kmcnt 0x0
	s_bitcmp1_b32 s13, 0
	s_cselect_b32 s3, s7, s3
	s_cselect_b32 s2, s6, s2
	;; [unrolled: 1-line block ×4, first 2 shown]
	s_clause 0x1
	flat_load_b64 v[2:3], v1, s[2:3]
	flat_load_b64 v[4:5], v1, s[4:5]
	s_wait_loadcnt_dscnt 0x101
	v_cmp_eq_f32_e32 vcc_lo, 0, v2
	v_cmp_eq_f32_e64 s2, 0, v3
	s_wait_loadcnt_dscnt 0x0
	v_cmp_eq_f32_e64 s3, 1.0, v4
	v_cmp_eq_f32_e64 s4, 0, v5
	s_and_b32 s2, vcc_lo, s2
	s_and_b32 s3, s3, s4
	s_delay_alu instid0(SALU_CYCLE_1) | instskip(NEXT) | instid1(SALU_CYCLE_1)
	s_and_b32 s2, s2, s3
	s_xor_b32 s2, s2, -1
	s_delay_alu instid0(SALU_CYCLE_1)
	s_and_saveexec_b32 s3, s2
	s_cbranch_execz .LBB212_19
; %bb.1:
	s_load_b64 s[2:3], s[0:1], 0x0
	s_bfe_u32 s4, ttmp6, 0x4000c
	s_and_b32 s5, ttmp6, 15
	s_add_co_i32 s4, s4, 1
	s_getreg_b32 s6, hwreg(HW_REG_IB_STS2, 6, 4)
	s_mul_i32 s4, ttmp9, s4
	v_lshrrev_b32_e32 v1, 2, v0
	s_add_co_i32 s5, s5, s4
	s_cmp_eq_u32 s6, 0
	s_cselect_b32 s4, ttmp9, s5
	s_delay_alu instid0(VALU_DEP_1) | instid1(SALU_CYCLE_1)
	v_lshl_or_b32 v6, s4, 5, v1
	s_wait_kmcnt 0x0
	s_delay_alu instid0(VALU_DEP_1)
	v_cmp_gt_i32_e32 vcc_lo, s2, v6
	s_and_b32 exec_lo, exec_lo, vcc_lo
	s_cbranch_execz .LBB212_19
; %bb.2:
	s_load_b256 s[4:11], s[0:1], 0x10
	v_ashrrev_i32_e32 v7, 31, v6
	s_cmp_lg_u32 s3, 0
	s_wait_kmcnt 0x0
	s_delay_alu instid0(VALU_DEP_1)
	v_lshl_add_u64 v[8:9], v[6:7], 2, s[4:5]
	v_and_b32_e32 v7, 3, v0
	global_load_b64 v[8:9], v[8:9], off
	s_wait_loadcnt 0x0
	v_subrev_nc_u32_e32 v0, s12, v8
	v_subrev_nc_u32_e32 v12, s12, v9
	s_delay_alu instid0(VALU_DEP_2) | instskip(NEXT) | instid1(VALU_DEP_1)
	v_add_nc_u32_e32 v13, v0, v7
	v_cmp_lt_i32_e64 s2, v13, v12
	s_cbranch_scc0 .LBB212_8
; %bb.3:
	v_mov_b32_e32 v9, 0
	s_delay_alu instid0(VALU_DEP_1)
	v_dual_mov_b32 v8, v9 :: v_dual_mov_b32 v1, v9
	v_mov_b32_e32 v0, v9
	s_and_saveexec_b32 s3, s2
	s_cbranch_execz .LBB212_7
; %bb.4:
	v_mul_lo_u32 v10, v13, 28
	v_dual_mov_b32 v11, 0 :: v_dual_mov_b32 v14, v13
	s_mov_b32 s4, 0
	s_delay_alu instid0(VALU_DEP_1)
	v_dual_mov_b32 v0, v11 :: v_dual_mov_b32 v1, v11
	v_dual_mov_b32 v8, v11 :: v_dual_mov_b32 v9, v11
.LBB212_5:                              ; =>This Inner Loop Header: Depth=1
	global_load_b32 v15, v14, s[6:7] scale_offset
	v_lshl_add_u64 v[24:25], v[10:11], 3, s[8:9]
	v_dual_mov_b32 v89, v11 :: v_dual_add_nc_u32 v28, 4, v10
	v_dual_mov_b32 v29, v11 :: v_dual_mov_b32 v31, v11
	s_clause 0x1
	global_load_b128 v[16:19], v[24:25], off offset:16
	global_load_b128 v[20:23], v[24:25], off
	v_dual_mov_b32 v53, v11 :: v_dual_mov_b32 v55, v11
	v_lshl_add_u64 v[40:41], v[28:29], 3, s[8:9]
	v_dual_mov_b32 v65, v11 :: v_dual_mov_b32 v67, v11
	v_dual_mov_b32 v77, v11 :: v_dual_mov_b32 v79, v11
	v_dual_add_nc_u32 v64, 16, v10 :: v_dual_add_nc_u32 v76, 20, v10
	v_dual_add_nc_u32 v90, 24, v10 :: v_dual_add_nc_u32 v52, 12, v10
	s_wait_xcnt 0x2
	v_add_nc_u32_e32 v14, 4, v14
	s_delay_alu instid0(VALU_DEP_3) | instskip(SKIP_2) | instid1(VALU_DEP_4)
	v_lshl_add_u64 v[72:73], v[64:65], 3, s[8:9]
	v_lshl_add_u64 v[84:85], v[76:77], 3, s[8:9]
	;; [unrolled: 1-line block ×3, first 2 shown]
	v_cmp_ge_i32_e32 vcc_lo, v14, v12
	s_or_b32 s4, vcc_lo, s4
	s_wait_loadcnt 0x2
	v_subrev_nc_u32_e32 v15, s12, v15
	s_delay_alu instid0(VALU_DEP_1) | instskip(SKIP_4) | instid1(VALU_DEP_4)
	v_mul_lo_u32 v88, v15, 14
	v_mov_b32_e32 v91, v11
	s_wait_loadcnt 0x0
	v_xor_b32_e32 v98, 0x80000000, v23
	v_mov_b32_e32 v99, v22
	v_lshl_add_u64 v[24:25], v[88:89], 3, s[10:11]
	v_dual_add_nc_u32 v30, 2, v88 :: v_dual_add_nc_u32 v54, 6, v88
	v_dual_add_nc_u32 v66, 8, v88 :: v_dual_add_nc_u32 v78, 10, v88
	global_load_b128 v[24:27], v[24:25], off
	v_lshl_add_u64 v[42:43], v[30:31], 3, s[10:11]
	s_clause 0x1
	global_load_b128 v[28:31], v[40:41], off
	global_load_b128 v[32:35], v[40:41], off offset:16
	global_load_b128 v[36:39], v[42:43], off
	s_wait_xcnt 0x1
	v_dual_mov_b32 v41, v11 :: v_dual_add_nc_u32 v40, 8, v10
	s_wait_xcnt 0x0
	v_dual_mov_b32 v43, v11 :: v_dual_add_nc_u32 v42, 4, v88
	v_lshl_add_u64 v[62:63], v[54:55], 3, s[10:11]
	v_lshl_add_u64 v[74:75], v[66:67], 3, s[10:11]
	v_lshl_add_u64 v[48:49], v[40:41], 3, s[8:9]
	v_lshl_add_u64 v[86:87], v[78:79], 3, s[10:11]
	v_lshl_add_u64 v[50:51], v[42:43], 3, s[10:11]
	global_load_b128 v[40:43], v[48:49], off
	global_load_b128 v[44:47], v[50:51], off
	s_clause 0x1
	global_load_b128 v[48:51], v[48:49], off offset:16
	global_load_b128 v[52:55], v[60:61], off
	global_load_b128 v[56:59], v[62:63], off
	s_clause 0x1
	global_load_b128 v[60:63], v[60:61], off offset:16
	;; [unrolled: 4-line block ×3, first 2 shown]
	global_load_b128 v[76:79], v[84:85], off
	global_load_b128 v[80:83], v[86:87], off
	global_load_b128 v[84:87], v[84:85], off offset:16
	v_add_nc_u32_e32 v88, 12, v88
	v_lshl_add_u64 v[96:97], v[90:91], 3, s[8:9]
	v_add_nc_u32_e32 v10, 0x70, v10
	s_delay_alu instid0(VALU_DEP_3)
	v_lshl_add_u64 v[92:93], v[88:89], 3, s[10:11]
	global_load_b128 v[88:91], v[96:97], off
	global_load_b128 v[92:95], v[92:93], off
	s_wait_loadcnt 0x11
	v_pk_fma_f32 v[8:9], v[20:21], v[24:25], v[8:9] op_sel_hi:[1,0,1]
	v_pk_fma_f32 v[0:1], v[22:23], v[24:25], v[0:1] op_sel_hi:[1,0,1]
	s_delay_alu instid0(VALU_DEP_2)
	v_pk_fma_f32 v[8:9], v[20:21], v[24:25], v[8:9] op_sel:[1,1,0] op_sel_hi:[0,1,1] neg_lo:[1,0,0]
	global_load_b128 v[20:23], v[96:97], off offset:16
	v_pk_fma_f32 v[0:1], v[98:99], v[24:25], v[0:1] op_sel:[0,1,0]
	v_xor_b32_e32 v24, 0x80000000, v19
	s_wait_xcnt 0x0
	v_dual_mov_b32 v25, v18 :: v_dual_mov_b32 v96, v27
	v_pk_fma_f32 v[8:9], v[16:17], v[26:27], v[8:9] op_sel_hi:[1,0,1]
	v_pk_fma_f32 v[0:1], v[18:19], v[26:27], v[0:1] op_sel_hi:[1,0,1]
	s_wait_loadcnt 0xf
	v_mov_b32_e32 v18, v39
	s_delay_alu instid0(VALU_DEP_3) | instskip(SKIP_3) | instid1(VALU_DEP_4)
	v_pk_fma_f32 v[8:9], v[16:17], v[96:97], v[8:9] op_sel:[1,0,0] op_sel_hi:[0,0,1] neg_lo:[1,0,0]
	v_mov_b32_e32 v17, v30
	v_pk_fma_f32 v[0:1], v[24:25], v[96:97], v[0:1] op_sel_hi:[1,0,1]
	v_xor_b32_e32 v16, 0x80000000, v31
	v_pk_fma_f32 v[8:9], v[28:29], v[36:37], v[8:9] op_sel_hi:[1,0,1]
	s_delay_alu instid0(VALU_DEP_3) | instskip(NEXT) | instid1(VALU_DEP_2)
	v_pk_fma_f32 v[0:1], v[30:31], v[36:37], v[0:1] op_sel_hi:[1,0,1]
	v_pk_fma_f32 v[8:9], v[28:29], v[36:37], v[8:9] op_sel:[1,1,0] op_sel_hi:[0,1,1] neg_lo:[1,0,0]
	s_delay_alu instid0(VALU_DEP_2) | instskip(SKIP_2) | instid1(VALU_DEP_4)
	v_pk_fma_f32 v[0:1], v[16:17], v[36:37], v[0:1] op_sel:[0,1,0]
	v_xor_b32_e32 v16, 0x80000000, v35
	v_mov_b32_e32 v17, v34
	v_pk_fma_f32 v[8:9], v[32:33], v[38:39], v[8:9] op_sel_hi:[1,0,1]
	s_delay_alu instid0(VALU_DEP_4) | instskip(NEXT) | instid1(VALU_DEP_2)
	v_pk_fma_f32 v[0:1], v[34:35], v[38:39], v[0:1] op_sel_hi:[1,0,1]
	v_pk_fma_f32 v[8:9], v[32:33], v[18:19], v[8:9] op_sel:[1,0,0] op_sel_hi:[0,0,1] neg_lo:[1,0,0]
	s_delay_alu instid0(VALU_DEP_2)
	v_pk_fma_f32 v[0:1], v[16:17], v[18:19], v[0:1] op_sel_hi:[1,0,1]
	s_wait_loadcnt 0xe
	v_xor_b32_e32 v16, 0x80000000, v43
	s_wait_loadcnt 0xd
	v_dual_mov_b32 v17, v42 :: v_dual_mov_b32 v18, v47
	v_pk_fma_f32 v[8:9], v[40:41], v[44:45], v[8:9] op_sel_hi:[1,0,1]
	v_pk_fma_f32 v[0:1], v[42:43], v[44:45], v[0:1] op_sel_hi:[1,0,1]
	s_delay_alu instid0(VALU_DEP_2) | instskip(NEXT) | instid1(VALU_DEP_2)
	v_pk_fma_f32 v[8:9], v[40:41], v[44:45], v[8:9] op_sel:[1,1,0] op_sel_hi:[0,1,1] neg_lo:[1,0,0]
	v_pk_fma_f32 v[0:1], v[16:17], v[44:45], v[0:1] op_sel:[0,1,0]
	s_wait_loadcnt 0xc
	v_xor_b32_e32 v16, 0x80000000, v51
	v_mov_b32_e32 v17, v50
	v_pk_fma_f32 v[8:9], v[48:49], v[46:47], v[8:9] op_sel_hi:[1,0,1]
	v_pk_fma_f32 v[0:1], v[50:51], v[46:47], v[0:1] op_sel_hi:[1,0,1]
	s_delay_alu instid0(VALU_DEP_2) | instskip(NEXT) | instid1(VALU_DEP_2)
	v_pk_fma_f32 v[8:9], v[48:49], v[18:19], v[8:9] op_sel:[1,0,0] op_sel_hi:[0,0,1] neg_lo:[1,0,0]
	v_pk_fma_f32 v[0:1], v[16:17], v[18:19], v[0:1] op_sel_hi:[1,0,1]
	s_wait_loadcnt 0xb
	v_xor_b32_e32 v16, 0x80000000, v55
	s_wait_loadcnt 0xa
	v_dual_mov_b32 v17, v54 :: v_dual_mov_b32 v18, v59
	v_pk_fma_f32 v[8:9], v[52:53], v[56:57], v[8:9] op_sel_hi:[1,0,1]
	v_pk_fma_f32 v[0:1], v[54:55], v[56:57], v[0:1] op_sel_hi:[1,0,1]
	s_delay_alu instid0(VALU_DEP_2) | instskip(NEXT) | instid1(VALU_DEP_2)
	v_pk_fma_f32 v[8:9], v[52:53], v[56:57], v[8:9] op_sel:[1,1,0] op_sel_hi:[0,1,1] neg_lo:[1,0,0]
	v_pk_fma_f32 v[0:1], v[16:17], v[56:57], v[0:1] op_sel:[0,1,0]
	s_wait_loadcnt 0x9
	v_xor_b32_e32 v16, 0x80000000, v63
	v_mov_b32_e32 v17, v62
	v_pk_fma_f32 v[8:9], v[60:61], v[58:59], v[8:9] op_sel_hi:[1,0,1]
	v_pk_fma_f32 v[0:1], v[62:63], v[58:59], v[0:1] op_sel_hi:[1,0,1]
	s_delay_alu instid0(VALU_DEP_2) | instskip(NEXT) | instid1(VALU_DEP_2)
	v_pk_fma_f32 v[8:9], v[60:61], v[18:19], v[8:9] op_sel:[1,0,0] op_sel_hi:[0,0,1] neg_lo:[1,0,0]
	;; [unrolled: 17-line block ×5, first 2 shown]
	v_pk_fma_f32 v[0:1], v[16:17], v[18:19], v[0:1] op_sel_hi:[1,0,1]
	s_and_not1_b32 exec_lo, exec_lo, s4
	s_cbranch_execnz .LBB212_5
; %bb.6:
	s_or_b32 exec_lo, exec_lo, s4
.LBB212_7:
	s_delay_alu instid0(SALU_CYCLE_1)
	s_or_b32 exec_lo, exec_lo, s3
	s_cbranch_execz .LBB212_9
	s_branch .LBB212_14
.LBB212_8:
                                        ; implicit-def: $vgpr9
                                        ; implicit-def: $vgpr1
.LBB212_9:
	v_mov_b32_e32 v9, 0
	s_delay_alu instid0(VALU_DEP_1)
	v_dual_mov_b32 v8, v9 :: v_dual_mov_b32 v1, v9
	v_mov_b32_e32 v0, v9
	s_and_saveexec_b32 s3, s2
	s_cbranch_execz .LBB212_13
; %bb.10:
	v_mad_u32 v14, v13, 28, 27
	v_mov_b32_e32 v11, 0
	s_mov_b32 s2, 0
	s_delay_alu instid0(VALU_DEP_1)
	v_dual_mov_b32 v0, v11 :: v_dual_mov_b32 v1, v11
	v_dual_mov_b32 v8, v11 :: v_dual_mov_b32 v9, v11
.LBB212_11:                             ; =>This Inner Loop Header: Depth=1
	global_load_b32 v15, v13, s[6:7] scale_offset
	v_subrev_nc_u32_e32 v10, 27, v14
	v_dual_mov_b32 v41, v11 :: v_dual_add_nc_u32 v26, -13, v14
	v_dual_add_nc_u32 v27, -12, v14 :: v_dual_add_nc_u32 v28, -11, v14
	s_delay_alu instid0(VALU_DEP_3)
	v_lshl_add_u64 v[24:25], v[10:11], 3, s[8:9]
	v_dual_add_nc_u32 v34, -10, v14 :: v_dual_add_nc_u32 v36, -9, v14
	s_clause 0x4
	global_load_b64 v[42:43], v27, s[8:9] scale_offset
	global_load_b64 v[44:45], v28, s[8:9] scale_offset
	global_load_b128 v[16:19], v[24:25], off offset:16
	global_load_b128 v[20:23], v[24:25], off
	global_load_b64 v[46:47], v26, s[8:9] scale_offset
	v_subrev_nc_u32_e32 v35, 23, v14
	v_subrev_nc_u32_e32 v37, 22, v14
	v_dual_add_nc_u32 v38, -8, v14 :: v_dual_add_nc_u32 v74, -7, v14
	v_subrev_nc_u32_e32 v39, 21, v14
	v_subrev_nc_u32_e32 v75, 20, v14
	v_dual_add_nc_u32 v76, -6, v14 :: v_dual_add_nc_u32 v78, -5, v14
	;; [unrolled: 3-line block ×3, first 2 shown]
	v_subrev_nc_u32_e32 v81, 17, v14
	v_dual_add_nc_u32 v83, -16, v14 :: v_dual_add_nc_u32 v84, -2, v14
	v_dual_add_nc_u32 v85, -15, v14 :: v_dual_add_nc_u32 v86, -1, v14
	s_wait_xcnt 0x5
	v_add_nc_u32_e32 v13, 4, v13
	s_delay_alu instid0(VALU_DEP_1) | instskip(SKIP_3) | instid1(VALU_DEP_1)
	v_cmp_ge_i32_e32 vcc_lo, v13, v12
	s_or_b32 s2, vcc_lo, s2
	s_wait_loadcnt 0x5
	v_subrev_nc_u32_e32 v10, s12, v15
	v_mul_lo_u32 v40, v10, 14
	s_delay_alu instid0(VALU_DEP_1) | instskip(SKIP_2) | instid1(VALU_DEP_2)
	v_dual_add_nc_u32 v87, -14, v14 :: v_dual_add_nc_u32 v10, 2, v40
	s_wait_xcnt 0x1
	v_lshl_add_u64 v[24:25], v[40:41], 3, s[10:11]
	v_lshl_add_u64 v[32:33], v[10:11], 3, s[10:11]
	s_clause 0x1
	global_load_b128 v[24:27], v[24:25], off
	global_load_b128 v[28:31], v[32:33], off
	s_clause 0x1
	global_load_b64 v[48:49], v34, s[8:9] scale_offset
	global_load_b64 v[50:51], v35, s[8:9] scale_offset
	v_add_nc_u32_e32 v10, 4, v40
	s_clause 0x2
	global_load_b64 v[52:53], v36, s[8:9] scale_offset
	global_load_b64 v[54:55], v37, s[8:9] scale_offset
	;; [unrolled: 1-line block ×3, first 2 shown]
	s_wait_xcnt 0x1
	v_lshl_add_u64 v[36:37], v[10:11], 3, s[10:11]
	s_clause 0x2
	global_load_b64 v[58:59], v39, s[8:9] scale_offset
	global_load_b64 v[60:61], v74, s[8:9] scale_offset
	;; [unrolled: 1-line block ×3, first 2 shown]
	global_load_b128 v[32:35], v[36:37], off
	s_clause 0x4
	global_load_b64 v[64:65], v76, s[8:9] scale_offset
	global_load_b64 v[66:67], v77, s[8:9] scale_offset
	global_load_b64 v[68:69], v78, s[8:9] scale_offset
	global_load_b64 v[70:71], v79, s[8:9] scale_offset
	global_load_b64 v[72:73], v80, s[8:9] scale_offset
	v_add_nc_u32_e32 v10, 6, v40
	s_wait_loadcnt 0x11
	s_wait_xcnt 0x7
	v_xor_b32_e32 v74, 0x80000000, v23
	s_wait_xcnt 0x6
	v_mov_b32_e32 v75, v22
	s_wait_loadcnt 0xf
	v_pk_fma_f32 v[8:9], v[20:21], v[24:25], v[8:9] op_sel_hi:[1,0,1]
	v_pk_fma_f32 v[0:1], v[46:47], v[24:25], v[0:1] op_sel_hi:[1,0,1]
	s_delay_alu instid0(VALU_DEP_2) | instskip(NEXT) | instid1(VALU_DEP_2)
	v_pk_fma_f32 v[8:9], v[20:21], v[24:25], v[8:9] op_sel:[1,1,0] op_sel_hi:[0,1,1] neg_lo:[1,0,0]
	v_pk_fma_f32 v[0:1], v[46:47], v[24:25], v[0:1] op_sel:[1,1,0] op_sel_hi:[0,1,1] neg_lo:[1,0,0]
	v_mov_b32_e32 v24, v27
	s_wait_xcnt 0x5
	v_lshl_add_u64 v[36:37], v[10:11], 3, s[10:11]
	v_add_nc_u32_e32 v10, 8, v40
	v_pk_fma_f32 v[8:9], v[22:23], v[26:27], v[8:9] op_sel_hi:[1,0,1]
	v_pk_fma_f32 v[0:1], v[42:43], v[26:27], v[0:1] op_sel_hi:[1,0,1]
	global_load_b128 v[36:39], v[36:37], off
	v_pk_fma_f32 v[8:9], v[74:75], v[24:25], v[8:9] op_sel_hi:[1,0,1]
	v_pk_fma_f32 v[0:1], v[42:43], v[24:25], v[0:1] op_sel:[1,0,0] op_sel_hi:[0,0,1] neg_lo:[1,0,0]
	v_mov_b32_e32 v43, v18
	v_lshl_add_u64 v[20:21], v[10:11], 3, s[10:11]
	v_add_nc_u32_e32 v10, 10, v40
	s_wait_loadcnt 0xf
	v_pk_fma_f32 v[8:9], v[16:17], v[28:29], v[8:9] op_sel_hi:[1,0,1]
	v_xor_b32_e32 v42, 0x80000000, v19
	v_pk_fma_f32 v[0:1], v[44:45], v[28:29], v[0:1] op_sel_hi:[1,0,1]
	global_load_b128 v[20:23], v[20:21], off
	v_lshl_add_u64 v[24:25], v[10:11], 3, s[10:11]
	s_clause 0x3
	global_load_b64 v[46:47], v81, s[8:9] scale_offset
	global_load_b64 v[76:77], v82, s[8:9] scale_offset
	;; [unrolled: 1-line block ×4, first 2 shown]
	v_add_nc_u32_e32 v10, 12, v40
	v_pk_fma_f32 v[8:9], v[16:17], v[28:29], v[8:9] op_sel:[1,1,0] op_sel_hi:[0,1,1] neg_lo:[1,0,0]
	global_load_b128 v[24:27], v[24:25], off
	global_load_b64 v[74:75], v85, s[8:9] scale_offset
	v_pk_fma_f32 v[0:1], v[44:45], v[28:29], v[0:1] op_sel:[1,1,0] op_sel_hi:[0,1,1] neg_lo:[1,0,0]
	v_lshl_add_u64 v[40:41], v[10:11], 3, s[10:11]
	v_pk_fma_f32 v[8:9], v[18:19], v[30:31], v[8:9] op_sel_hi:[1,0,1]
	global_load_b64 v[82:83], v86, s[8:9] scale_offset
	global_load_b128 v[16:19], v[40:41], off
	global_load_b64 v[28:29], v87, s[8:9] scale_offset
	s_wait_loadcnt 0x18
	v_pk_fma_f32 v[0:1], v[48:49], v[30:31], v[0:1] op_sel_hi:[1,0,1]
	v_mov_b32_e32 v10, v31
	global_load_b64 v[30:31], v14, s[8:9] scale_offset
	s_wait_xcnt 0x0
	v_add_nc_u32_e32 v14, 0x70, v14
	v_pk_fma_f32 v[8:9], v[42:43], v[10:11], v[8:9] op_sel_hi:[1,0,1]
	v_pk_fma_f32 v[0:1], v[48:49], v[10:11], v[0:1] op_sel:[1,0,0] op_sel_hi:[0,0,1] neg_lo:[1,0,0]
	s_wait_loadcnt 0x11
	v_mov_b32_e32 v10, v35
	s_delay_alu instid0(VALU_DEP_3) | instskip(NEXT) | instid1(VALU_DEP_3)
	v_pk_fma_f32 v[8:9], v[50:51], v[32:33], v[8:9] op_sel_hi:[1,0,1]
	v_pk_fma_f32 v[0:1], v[52:53], v[32:33], v[0:1] op_sel_hi:[1,0,1]
	s_delay_alu instid0(VALU_DEP_2) | instskip(NEXT) | instid1(VALU_DEP_2)
	v_pk_fma_f32 v[8:9], v[50:51], v[32:33], v[8:9] op_sel:[1,1,0] op_sel_hi:[0,1,1] neg_lo:[1,0,0]
	v_pk_fma_f32 v[0:1], v[52:53], v[32:33], v[0:1] op_sel:[1,1,0] op_sel_hi:[0,1,1] neg_lo:[1,0,0]
	s_delay_alu instid0(VALU_DEP_2) | instskip(NEXT) | instid1(VALU_DEP_2)
	v_pk_fma_f32 v[8:9], v[54:55], v[34:35], v[8:9] op_sel_hi:[1,0,1]
	v_pk_fma_f32 v[0:1], v[56:57], v[34:35], v[0:1] op_sel_hi:[1,0,1]
	s_delay_alu instid0(VALU_DEP_2) | instskip(NEXT) | instid1(VALU_DEP_2)
	v_pk_fma_f32 v[8:9], v[54:55], v[10:11], v[8:9] op_sel:[1,0,0] op_sel_hi:[0,0,1] neg_lo:[1,0,0]
	v_pk_fma_f32 v[0:1], v[56:57], v[10:11], v[0:1] op_sel:[1,0,0] op_sel_hi:[0,0,1] neg_lo:[1,0,0]
	s_wait_loadcnt 0xb
	s_delay_alu instid0(VALU_DEP_2) | instskip(NEXT) | instid1(VALU_DEP_2)
	v_pk_fma_f32 v[8:9], v[58:59], v[36:37], v[8:9] op_sel_hi:[1,0,1]
	v_pk_fma_f32 v[0:1], v[60:61], v[36:37], v[0:1] op_sel_hi:[1,0,1]
	v_mov_b32_e32 v10, v39
	s_delay_alu instid0(VALU_DEP_3) | instskip(NEXT) | instid1(VALU_DEP_3)
	v_pk_fma_f32 v[8:9], v[58:59], v[36:37], v[8:9] op_sel:[1,1,0] op_sel_hi:[0,1,1] neg_lo:[1,0,0]
	v_pk_fma_f32 v[0:1], v[60:61], v[36:37], v[0:1] op_sel:[1,1,0] op_sel_hi:[0,1,1] neg_lo:[1,0,0]
	s_delay_alu instid0(VALU_DEP_2) | instskip(NEXT) | instid1(VALU_DEP_2)
	v_pk_fma_f32 v[8:9], v[62:63], v[38:39], v[8:9] op_sel_hi:[1,0,1]
	v_pk_fma_f32 v[0:1], v[64:65], v[38:39], v[0:1] op_sel_hi:[1,0,1]
	s_delay_alu instid0(VALU_DEP_2) | instskip(NEXT) | instid1(VALU_DEP_2)
	v_pk_fma_f32 v[8:9], v[62:63], v[10:11], v[8:9] op_sel:[1,0,0] op_sel_hi:[0,0,1] neg_lo:[1,0,0]
	v_pk_fma_f32 v[0:1], v[64:65], v[10:11], v[0:1] op_sel:[1,0,0] op_sel_hi:[0,0,1] neg_lo:[1,0,0]
	s_wait_loadcnt 0xa
	v_mov_b32_e32 v10, v23
	s_delay_alu instid0(VALU_DEP_3) | instskip(NEXT) | instid1(VALU_DEP_3)
	v_pk_fma_f32 v[8:9], v[66:67], v[20:21], v[8:9] op_sel_hi:[1,0,1]
	v_pk_fma_f32 v[0:1], v[68:69], v[20:21], v[0:1] op_sel_hi:[1,0,1]
	s_delay_alu instid0(VALU_DEP_2) | instskip(NEXT) | instid1(VALU_DEP_2)
	v_pk_fma_f32 v[8:9], v[66:67], v[20:21], v[8:9] op_sel:[1,1,0] op_sel_hi:[0,1,1] neg_lo:[1,0,0]
	v_pk_fma_f32 v[0:1], v[68:69], v[20:21], v[0:1] op_sel:[1,1,0] op_sel_hi:[0,1,1] neg_lo:[1,0,0]
	s_delay_alu instid0(VALU_DEP_2) | instskip(NEXT) | instid1(VALU_DEP_2)
	v_pk_fma_f32 v[8:9], v[70:71], v[22:23], v[8:9] op_sel_hi:[1,0,1]
	v_pk_fma_f32 v[0:1], v[72:73], v[22:23], v[0:1] op_sel_hi:[1,0,1]
	s_delay_alu instid0(VALU_DEP_2) | instskip(NEXT) | instid1(VALU_DEP_2)
	v_pk_fma_f32 v[8:9], v[70:71], v[10:11], v[8:9] op_sel:[1,0,0] op_sel_hi:[0,0,1] neg_lo:[1,0,0]
	v_pk_fma_f32 v[0:1], v[72:73], v[10:11], v[0:1] op_sel:[1,0,0] op_sel_hi:[0,0,1] neg_lo:[1,0,0]
	s_wait_loadcnt 0x5
	v_mov_b32_e32 v10, v27
	s_delay_alu instid0(VALU_DEP_3) | instskip(NEXT) | instid1(VALU_DEP_3)
	v_pk_fma_f32 v[8:9], v[46:47], v[24:25], v[8:9] op_sel_hi:[1,0,1]
	v_pk_fma_f32 v[0:1], v[76:77], v[24:25], v[0:1] op_sel_hi:[1,0,1]
	s_delay_alu instid0(VALU_DEP_2) | instskip(NEXT) | instid1(VALU_DEP_2)
	;; [unrolled: 14-line block ×3, first 2 shown]
	v_pk_fma_f32 v[8:9], v[74:75], v[16:17], v[8:9] op_sel:[1,1,0] op_sel_hi:[0,1,1] neg_lo:[1,0,0]
	v_pk_fma_f32 v[0:1], v[82:83], v[16:17], v[0:1] op_sel:[1,1,0] op_sel_hi:[0,1,1] neg_lo:[1,0,0]
	s_wait_loadcnt 0x1
	s_delay_alu instid0(VALU_DEP_2) | instskip(SKIP_1) | instid1(VALU_DEP_2)
	v_pk_fma_f32 v[8:9], v[28:29], v[18:19], v[8:9] op_sel_hi:[1,0,1]
	s_wait_loadcnt 0x0
	v_pk_fma_f32 v[0:1], v[30:31], v[18:19], v[0:1] op_sel_hi:[1,0,1]
	s_delay_alu instid0(VALU_DEP_2) | instskip(NEXT) | instid1(VALU_DEP_2)
	v_pk_fma_f32 v[8:9], v[28:29], v[10:11], v[8:9] op_sel:[1,0,0] op_sel_hi:[0,0,1] neg_lo:[1,0,0]
	v_pk_fma_f32 v[0:1], v[30:31], v[10:11], v[0:1] op_sel:[1,0,0] op_sel_hi:[0,0,1] neg_lo:[1,0,0]
	s_and_not1_b32 exec_lo, exec_lo, s2
	s_cbranch_execnz .LBB212_11
; %bb.12:
	s_or_b32 exec_lo, exec_lo, s2
.LBB212_13:
	s_delay_alu instid0(SALU_CYCLE_1)
	s_or_b32 exec_lo, exec_lo, s3
.LBB212_14:
	v_mbcnt_lo_u32_b32 v10, -1, 0
	s_delay_alu instid0(VALU_DEP_1) | instskip(SKIP_1) | instid1(VALU_DEP_1)
	v_xor_b32_e32 v15, 1, v10
	v_xor_b32_e32 v11, 2, v10
	v_cmp_gt_i32_e32 vcc_lo, 32, v11
	v_cndmask_b32_e32 v11, v10, v11, vcc_lo
	s_delay_alu instid0(VALU_DEP_4) | instskip(SKIP_2) | instid1(VALU_DEP_2)
	v_cmp_gt_i32_e32 vcc_lo, 32, v15
	v_cndmask_b32_e32 v10, v10, v15, vcc_lo
	v_cmp_eq_u32_e32 vcc_lo, 3, v7
	v_dual_lshlrev_b32 v15, 2, v10 :: v_dual_lshlrev_b32 v11, 2, v11
	ds_bpermute_b32 v12, v11, v8
	s_wait_dscnt 0x0
	v_add_f32_e32 v10, v8, v12
	ds_bpermute_b32 v13, v11, v9
	ds_bpermute_b32 v14, v11, v0
	ds_bpermute_b32 v11, v11, v1
	s_wait_dscnt 0x1
	v_dual_add_f32 v9, v9, v13 :: v_dual_add_f32 v8, v0, v14
	s_wait_dscnt 0x0
	v_add_f32_e32 v1, v1, v11
	ds_bpermute_b32 v0, v15, v10
	ds_bpermute_b32 v12, v15, v9
	;; [unrolled: 1-line block ×4, first 2 shown]
	s_and_b32 exec_lo, exec_lo, vcc_lo
	s_cbranch_execz .LBB212_19
; %bb.15:
	s_load_b64 s[2:3], s[0:1], 0x38
	v_cmp_eq_f32_e32 vcc_lo, 0, v4
	s_wait_xcnt 0x0
	v_cmp_eq_f32_e64 s0, 0, v5
	s_wait_dscnt 0x1
	v_dual_add_f32 v0, v10, v0 :: v_dual_add_f32 v8, v8, v11
	v_add_f32_e32 v12, v9, v12
	s_wait_dscnt 0x0
	v_add_f32_e32 v10, v1, v13
	s_and_b32 s0, vcc_lo, s0
	s_delay_alu instid0(SALU_CYCLE_1) | instskip(NEXT) | instid1(SALU_CYCLE_1)
	s_and_saveexec_b32 s1, s0
	s_xor_b32 s0, exec_lo, s1
	s_cbranch_execz .LBB212_17
; %bb.16:
	v_xor_b32_e32 v4, 0x80000000, v3
	v_dual_mov_b32 v5, v2 :: v_dual_lshlrev_b32 v6, 1, v6
	s_delay_alu instid0(VALU_DEP_1) | instskip(NEXT) | instid1(VALU_DEP_2)
	v_ashrrev_i32_e32 v7, 31, v6
	v_pk_mul_f32 v[12:13], v[12:13], v[4:5] op_sel_hi:[0,1]
	v_pk_mul_f32 v[4:5], v[10:11], v[4:5] op_sel_hi:[0,1]
                                        ; implicit-def: $vgpr10
	s_wait_kmcnt 0x0
	s_delay_alu instid0(VALU_DEP_3) | instskip(NEXT) | instid1(VALU_DEP_3)
	v_lshl_add_u64 v[6:7], v[6:7], 3, s[2:3]
	v_pk_fma_f32 v[0:1], v[2:3], v[0:1], v[12:13] op_sel_hi:[1,0,1]
	s_delay_alu instid0(VALU_DEP_3)
	v_pk_fma_f32 v[2:3], v[2:3], v[8:9], v[4:5] op_sel_hi:[1,0,1]
                                        ; implicit-def: $vgpr4_vgpr5
                                        ; implicit-def: $vgpr12
                                        ; implicit-def: $vgpr8
	global_store_b128 v[6:7], v[0:3], off
                                        ; implicit-def: $vgpr6
                                        ; implicit-def: $vgpr2_vgpr3
                                        ; implicit-def: $vgpr0
.LBB212_17:
	s_wait_xcnt 0x0
	s_and_not1_saveexec_b32 s0, s0
	s_cbranch_execz .LBB212_19
; %bb.18:
	v_dual_mov_b32 v19, v2 :: v_dual_lshlrev_b32 v6, 1, v6
	v_xor_b32_e32 v18, 0x80000000, v3
	s_delay_alu instid0(VALU_DEP_2) | instskip(NEXT) | instid1(VALU_DEP_2)
	v_ashrrev_i32_e32 v7, 31, v6
	v_pk_mul_f32 v[12:13], v[12:13], v[18:19] op_sel_hi:[0,1]
	v_pk_mul_f32 v[10:11], v[10:11], v[18:19] op_sel_hi:[0,1]
	s_delay_alu instid0(VALU_DEP_2) | instskip(NEXT) | instid1(VALU_DEP_2)
	v_pk_fma_f32 v[0:1], v[2:3], v[0:1], v[12:13] op_sel_hi:[1,0,1]
	v_pk_fma_f32 v[2:3], v[2:3], v[8:9], v[10:11] op_sel_hi:[1,0,1]
	v_mov_b32_e32 v9, v4
	s_wait_kmcnt 0x0
	v_lshl_add_u64 v[6:7], v[6:7], 3, s[2:3]
	v_xor_b32_e32 v8, 0x80000000, v5
	global_load_b128 v[14:17], v[6:7], off
	s_wait_loadcnt 0x0
	v_pk_fma_f32 v[0:1], v[4:5], v[14:15], v[0:1] op_sel_hi:[1,0,1]
	v_pk_fma_f32 v[2:3], v[4:5], v[16:17], v[2:3] op_sel_hi:[1,0,1]
	v_mov_b32_e32 v4, v17
	s_delay_alu instid0(VALU_DEP_3) | instskip(NEXT) | instid1(VALU_DEP_2)
	v_pk_fma_f32 v[0:1], v[8:9], v[14:15], v[0:1] op_sel:[0,1,0]
	v_pk_fma_f32 v[2:3], v[8:9], v[4:5], v[2:3] op_sel_hi:[1,0,1]
	global_store_b128 v[6:7], v[0:3], off
.LBB212_19:
	s_sendmsg sendmsg(MSG_DEALLOC_VGPRS)
	s_endpgm
	.section	.rodata,"a",@progbits
	.p2align	6, 0x0
	.amdhsa_kernel _ZN9rocsparseL19gebsrmvn_2xn_kernelILj128ELj14ELj4E21rocsparse_complex_numIfEEEvi20rocsparse_direction_NS_24const_host_device_scalarIT2_EEPKiS8_PKS5_SA_S6_PS5_21rocsparse_index_base_b
		.amdhsa_group_segment_fixed_size 0
		.amdhsa_private_segment_fixed_size 0
		.amdhsa_kernarg_size 72
		.amdhsa_user_sgpr_count 2
		.amdhsa_user_sgpr_dispatch_ptr 0
		.amdhsa_user_sgpr_queue_ptr 0
		.amdhsa_user_sgpr_kernarg_segment_ptr 1
		.amdhsa_user_sgpr_dispatch_id 0
		.amdhsa_user_sgpr_kernarg_preload_length 0
		.amdhsa_user_sgpr_kernarg_preload_offset 0
		.amdhsa_user_sgpr_private_segment_size 0
		.amdhsa_wavefront_size32 1
		.amdhsa_uses_dynamic_stack 0
		.amdhsa_enable_private_segment 0
		.amdhsa_system_sgpr_workgroup_id_x 1
		.amdhsa_system_sgpr_workgroup_id_y 0
		.amdhsa_system_sgpr_workgroup_id_z 0
		.amdhsa_system_sgpr_workgroup_info 0
		.amdhsa_system_vgpr_workitem_id 0
		.amdhsa_next_free_vgpr 100
		.amdhsa_next_free_sgpr 14
		.amdhsa_named_barrier_count 0
		.amdhsa_reserve_vcc 1
		.amdhsa_float_round_mode_32 0
		.amdhsa_float_round_mode_16_64 0
		.amdhsa_float_denorm_mode_32 3
		.amdhsa_float_denorm_mode_16_64 3
		.amdhsa_fp16_overflow 0
		.amdhsa_memory_ordered 1
		.amdhsa_forward_progress 1
		.amdhsa_inst_pref_size 30
		.amdhsa_round_robin_scheduling 0
		.amdhsa_exception_fp_ieee_invalid_op 0
		.amdhsa_exception_fp_denorm_src 0
		.amdhsa_exception_fp_ieee_div_zero 0
		.amdhsa_exception_fp_ieee_overflow 0
		.amdhsa_exception_fp_ieee_underflow 0
		.amdhsa_exception_fp_ieee_inexact 0
		.amdhsa_exception_int_div_zero 0
	.end_amdhsa_kernel
	.section	.text._ZN9rocsparseL19gebsrmvn_2xn_kernelILj128ELj14ELj4E21rocsparse_complex_numIfEEEvi20rocsparse_direction_NS_24const_host_device_scalarIT2_EEPKiS8_PKS5_SA_S6_PS5_21rocsparse_index_base_b,"axG",@progbits,_ZN9rocsparseL19gebsrmvn_2xn_kernelILj128ELj14ELj4E21rocsparse_complex_numIfEEEvi20rocsparse_direction_NS_24const_host_device_scalarIT2_EEPKiS8_PKS5_SA_S6_PS5_21rocsparse_index_base_b,comdat
.Lfunc_end212:
	.size	_ZN9rocsparseL19gebsrmvn_2xn_kernelILj128ELj14ELj4E21rocsparse_complex_numIfEEEvi20rocsparse_direction_NS_24const_host_device_scalarIT2_EEPKiS8_PKS5_SA_S6_PS5_21rocsparse_index_base_b, .Lfunc_end212-_ZN9rocsparseL19gebsrmvn_2xn_kernelILj128ELj14ELj4E21rocsparse_complex_numIfEEEvi20rocsparse_direction_NS_24const_host_device_scalarIT2_EEPKiS8_PKS5_SA_S6_PS5_21rocsparse_index_base_b
                                        ; -- End function
	.set _ZN9rocsparseL19gebsrmvn_2xn_kernelILj128ELj14ELj4E21rocsparse_complex_numIfEEEvi20rocsparse_direction_NS_24const_host_device_scalarIT2_EEPKiS8_PKS5_SA_S6_PS5_21rocsparse_index_base_b.num_vgpr, 100
	.set _ZN9rocsparseL19gebsrmvn_2xn_kernelILj128ELj14ELj4E21rocsparse_complex_numIfEEEvi20rocsparse_direction_NS_24const_host_device_scalarIT2_EEPKiS8_PKS5_SA_S6_PS5_21rocsparse_index_base_b.num_agpr, 0
	.set _ZN9rocsparseL19gebsrmvn_2xn_kernelILj128ELj14ELj4E21rocsparse_complex_numIfEEEvi20rocsparse_direction_NS_24const_host_device_scalarIT2_EEPKiS8_PKS5_SA_S6_PS5_21rocsparse_index_base_b.numbered_sgpr, 14
	.set _ZN9rocsparseL19gebsrmvn_2xn_kernelILj128ELj14ELj4E21rocsparse_complex_numIfEEEvi20rocsparse_direction_NS_24const_host_device_scalarIT2_EEPKiS8_PKS5_SA_S6_PS5_21rocsparse_index_base_b.num_named_barrier, 0
	.set _ZN9rocsparseL19gebsrmvn_2xn_kernelILj128ELj14ELj4E21rocsparse_complex_numIfEEEvi20rocsparse_direction_NS_24const_host_device_scalarIT2_EEPKiS8_PKS5_SA_S6_PS5_21rocsparse_index_base_b.private_seg_size, 0
	.set _ZN9rocsparseL19gebsrmvn_2xn_kernelILj128ELj14ELj4E21rocsparse_complex_numIfEEEvi20rocsparse_direction_NS_24const_host_device_scalarIT2_EEPKiS8_PKS5_SA_S6_PS5_21rocsparse_index_base_b.uses_vcc, 1
	.set _ZN9rocsparseL19gebsrmvn_2xn_kernelILj128ELj14ELj4E21rocsparse_complex_numIfEEEvi20rocsparse_direction_NS_24const_host_device_scalarIT2_EEPKiS8_PKS5_SA_S6_PS5_21rocsparse_index_base_b.uses_flat_scratch, 1
	.set _ZN9rocsparseL19gebsrmvn_2xn_kernelILj128ELj14ELj4E21rocsparse_complex_numIfEEEvi20rocsparse_direction_NS_24const_host_device_scalarIT2_EEPKiS8_PKS5_SA_S6_PS5_21rocsparse_index_base_b.has_dyn_sized_stack, 0
	.set _ZN9rocsparseL19gebsrmvn_2xn_kernelILj128ELj14ELj4E21rocsparse_complex_numIfEEEvi20rocsparse_direction_NS_24const_host_device_scalarIT2_EEPKiS8_PKS5_SA_S6_PS5_21rocsparse_index_base_b.has_recursion, 0
	.set _ZN9rocsparseL19gebsrmvn_2xn_kernelILj128ELj14ELj4E21rocsparse_complex_numIfEEEvi20rocsparse_direction_NS_24const_host_device_scalarIT2_EEPKiS8_PKS5_SA_S6_PS5_21rocsparse_index_base_b.has_indirect_call, 0
	.section	.AMDGPU.csdata,"",@progbits
; Kernel info:
; codeLenInByte = 3716
; TotalNumSgprs: 16
; NumVgprs: 100
; ScratchSize: 0
; MemoryBound: 0
; FloatMode: 240
; IeeeMode: 1
; LDSByteSize: 0 bytes/workgroup (compile time only)
; SGPRBlocks: 0
; VGPRBlocks: 6
; NumSGPRsForWavesPerEU: 16
; NumVGPRsForWavesPerEU: 100
; NamedBarCnt: 0
; Occupancy: 9
; WaveLimiterHint : 1
; COMPUTE_PGM_RSRC2:SCRATCH_EN: 0
; COMPUTE_PGM_RSRC2:USER_SGPR: 2
; COMPUTE_PGM_RSRC2:TRAP_HANDLER: 0
; COMPUTE_PGM_RSRC2:TGID_X_EN: 1
; COMPUTE_PGM_RSRC2:TGID_Y_EN: 0
; COMPUTE_PGM_RSRC2:TGID_Z_EN: 0
; COMPUTE_PGM_RSRC2:TIDIG_COMP_CNT: 0
	.section	.text._ZN9rocsparseL19gebsrmvn_2xn_kernelILj128ELj14ELj8E21rocsparse_complex_numIfEEEvi20rocsparse_direction_NS_24const_host_device_scalarIT2_EEPKiS8_PKS5_SA_S6_PS5_21rocsparse_index_base_b,"axG",@progbits,_ZN9rocsparseL19gebsrmvn_2xn_kernelILj128ELj14ELj8E21rocsparse_complex_numIfEEEvi20rocsparse_direction_NS_24const_host_device_scalarIT2_EEPKiS8_PKS5_SA_S6_PS5_21rocsparse_index_base_b,comdat
	.globl	_ZN9rocsparseL19gebsrmvn_2xn_kernelILj128ELj14ELj8E21rocsparse_complex_numIfEEEvi20rocsparse_direction_NS_24const_host_device_scalarIT2_EEPKiS8_PKS5_SA_S6_PS5_21rocsparse_index_base_b ; -- Begin function _ZN9rocsparseL19gebsrmvn_2xn_kernelILj128ELj14ELj8E21rocsparse_complex_numIfEEEvi20rocsparse_direction_NS_24const_host_device_scalarIT2_EEPKiS8_PKS5_SA_S6_PS5_21rocsparse_index_base_b
	.p2align	8
	.type	_ZN9rocsparseL19gebsrmvn_2xn_kernelILj128ELj14ELj8E21rocsparse_complex_numIfEEEvi20rocsparse_direction_NS_24const_host_device_scalarIT2_EEPKiS8_PKS5_SA_S6_PS5_21rocsparse_index_base_b,@function
_ZN9rocsparseL19gebsrmvn_2xn_kernelILj128ELj14ELj8E21rocsparse_complex_numIfEEEvi20rocsparse_direction_NS_24const_host_device_scalarIT2_EEPKiS8_PKS5_SA_S6_PS5_21rocsparse_index_base_b: ; @_ZN9rocsparseL19gebsrmvn_2xn_kernelILj128ELj14ELj8E21rocsparse_complex_numIfEEEvi20rocsparse_direction_NS_24const_host_device_scalarIT2_EEPKiS8_PKS5_SA_S6_PS5_21rocsparse_index_base_b
; %bb.0:
	s_clause 0x2
	s_load_b64 s[12:13], s[0:1], 0x40
	s_load_b64 s[2:3], s[0:1], 0x8
	;; [unrolled: 1-line block ×3, first 2 shown]
	v_mov_b32_e32 v1, 0
	s_add_nc_u64 s[6:7], s[0:1], 8
	s_add_nc_u64 s[8:9], s[0:1], 48
	s_wait_kmcnt 0x0
	s_bitcmp1_b32 s13, 0
	s_cselect_b32 s3, s7, s3
	s_cselect_b32 s2, s6, s2
	;; [unrolled: 1-line block ×4, first 2 shown]
	s_clause 0x1
	flat_load_b64 v[2:3], v1, s[2:3]
	flat_load_b64 v[4:5], v1, s[4:5]
	s_wait_loadcnt_dscnt 0x101
	v_cmp_eq_f32_e32 vcc_lo, 0, v2
	v_cmp_eq_f32_e64 s2, 0, v3
	s_wait_loadcnt_dscnt 0x0
	v_cmp_eq_f32_e64 s3, 1.0, v4
	v_cmp_eq_f32_e64 s4, 0, v5
	s_and_b32 s2, vcc_lo, s2
	s_and_b32 s3, s3, s4
	s_delay_alu instid0(SALU_CYCLE_1) | instskip(NEXT) | instid1(SALU_CYCLE_1)
	s_and_b32 s2, s2, s3
	s_xor_b32 s2, s2, -1
	s_delay_alu instid0(SALU_CYCLE_1)
	s_and_saveexec_b32 s3, s2
	s_cbranch_execz .LBB213_19
; %bb.1:
	s_load_b64 s[2:3], s[0:1], 0x0
	s_bfe_u32 s4, ttmp6, 0x4000c
	s_and_b32 s5, ttmp6, 15
	s_add_co_i32 s4, s4, 1
	s_getreg_b32 s6, hwreg(HW_REG_IB_STS2, 6, 4)
	s_mul_i32 s4, ttmp9, s4
	v_lshrrev_b32_e32 v1, 3, v0
	s_add_co_i32 s5, s5, s4
	s_cmp_eq_u32 s6, 0
	s_cselect_b32 s4, ttmp9, s5
	s_delay_alu instid0(VALU_DEP_1) | instid1(SALU_CYCLE_1)
	v_lshl_or_b32 v6, s4, 4, v1
	s_wait_kmcnt 0x0
	s_delay_alu instid0(VALU_DEP_1)
	v_cmp_gt_i32_e32 vcc_lo, s2, v6
	s_and_b32 exec_lo, exec_lo, vcc_lo
	s_cbranch_execz .LBB213_19
; %bb.2:
	s_load_b256 s[4:11], s[0:1], 0x10
	v_ashrrev_i32_e32 v7, 31, v6
	s_cmp_lg_u32 s3, 0
	s_wait_kmcnt 0x0
	s_delay_alu instid0(VALU_DEP_1)
	v_lshl_add_u64 v[8:9], v[6:7], 2, s[4:5]
	v_and_b32_e32 v7, 7, v0
	global_load_b64 v[8:9], v[8:9], off
	s_wait_loadcnt 0x0
	v_subrev_nc_u32_e32 v0, s12, v8
	v_subrev_nc_u32_e32 v12, s12, v9
	s_delay_alu instid0(VALU_DEP_2) | instskip(NEXT) | instid1(VALU_DEP_1)
	v_add_nc_u32_e32 v13, v0, v7
	v_cmp_lt_i32_e64 s2, v13, v12
	s_cbranch_scc0 .LBB213_8
; %bb.3:
	v_mov_b32_e32 v9, 0
	s_delay_alu instid0(VALU_DEP_1)
	v_dual_mov_b32 v8, v9 :: v_dual_mov_b32 v1, v9
	v_mov_b32_e32 v0, v9
	s_and_saveexec_b32 s3, s2
	s_cbranch_execz .LBB213_7
; %bb.4:
	v_mul_lo_u32 v10, v13, 28
	v_dual_mov_b32 v11, 0 :: v_dual_mov_b32 v14, v13
	s_mov_b32 s4, 0
	s_delay_alu instid0(VALU_DEP_1)
	v_dual_mov_b32 v0, v11 :: v_dual_mov_b32 v1, v11
	v_dual_mov_b32 v8, v11 :: v_dual_mov_b32 v9, v11
.LBB213_5:                              ; =>This Inner Loop Header: Depth=1
	global_load_b32 v15, v14, s[6:7] scale_offset
	v_lshl_add_u64 v[24:25], v[10:11], 3, s[8:9]
	v_dual_mov_b32 v89, v11 :: v_dual_add_nc_u32 v28, 4, v10
	v_dual_mov_b32 v29, v11 :: v_dual_mov_b32 v31, v11
	s_clause 0x1
	global_load_b128 v[16:19], v[24:25], off offset:16
	global_load_b128 v[20:23], v[24:25], off
	v_dual_mov_b32 v53, v11 :: v_dual_mov_b32 v55, v11
	v_lshl_add_u64 v[40:41], v[28:29], 3, s[8:9]
	v_dual_mov_b32 v65, v11 :: v_dual_mov_b32 v67, v11
	v_dual_mov_b32 v77, v11 :: v_dual_mov_b32 v79, v11
	v_dual_add_nc_u32 v64, 16, v10 :: v_dual_add_nc_u32 v76, 20, v10
	v_dual_add_nc_u32 v90, 24, v10 :: v_dual_add_nc_u32 v52, 12, v10
	s_wait_xcnt 0x2
	v_add_nc_u32_e32 v14, 8, v14
	s_delay_alu instid0(VALU_DEP_3) | instskip(SKIP_2) | instid1(VALU_DEP_4)
	v_lshl_add_u64 v[72:73], v[64:65], 3, s[8:9]
	v_lshl_add_u64 v[84:85], v[76:77], 3, s[8:9]
	;; [unrolled: 1-line block ×3, first 2 shown]
	v_cmp_ge_i32_e32 vcc_lo, v14, v12
	s_or_b32 s4, vcc_lo, s4
	s_wait_loadcnt 0x2
	v_subrev_nc_u32_e32 v15, s12, v15
	s_delay_alu instid0(VALU_DEP_1) | instskip(SKIP_4) | instid1(VALU_DEP_4)
	v_mul_lo_u32 v88, v15, 14
	v_mov_b32_e32 v91, v11
	s_wait_loadcnt 0x0
	v_xor_b32_e32 v98, 0x80000000, v23
	v_mov_b32_e32 v99, v22
	v_lshl_add_u64 v[24:25], v[88:89], 3, s[10:11]
	v_dual_add_nc_u32 v30, 2, v88 :: v_dual_add_nc_u32 v54, 6, v88
	v_dual_add_nc_u32 v66, 8, v88 :: v_dual_add_nc_u32 v78, 10, v88
	global_load_b128 v[24:27], v[24:25], off
	v_lshl_add_u64 v[42:43], v[30:31], 3, s[10:11]
	s_clause 0x1
	global_load_b128 v[28:31], v[40:41], off
	global_load_b128 v[32:35], v[40:41], off offset:16
	global_load_b128 v[36:39], v[42:43], off
	s_wait_xcnt 0x1
	v_dual_mov_b32 v41, v11 :: v_dual_add_nc_u32 v40, 8, v10
	s_wait_xcnt 0x0
	v_dual_mov_b32 v43, v11 :: v_dual_add_nc_u32 v42, 4, v88
	v_lshl_add_u64 v[62:63], v[54:55], 3, s[10:11]
	v_lshl_add_u64 v[74:75], v[66:67], 3, s[10:11]
	;; [unrolled: 1-line block ×5, first 2 shown]
	global_load_b128 v[40:43], v[48:49], off
	global_load_b128 v[44:47], v[50:51], off
	s_clause 0x1
	global_load_b128 v[48:51], v[48:49], off offset:16
	global_load_b128 v[52:55], v[60:61], off
	global_load_b128 v[56:59], v[62:63], off
	s_clause 0x1
	global_load_b128 v[60:63], v[60:61], off offset:16
	;; [unrolled: 4-line block ×3, first 2 shown]
	global_load_b128 v[76:79], v[84:85], off
	global_load_b128 v[80:83], v[86:87], off
	global_load_b128 v[84:87], v[84:85], off offset:16
	v_add_nc_u32_e32 v88, 12, v88
	v_lshl_add_u64 v[96:97], v[90:91], 3, s[8:9]
	v_add_nc_u32_e32 v10, 0xe0, v10
	s_delay_alu instid0(VALU_DEP_3)
	v_lshl_add_u64 v[92:93], v[88:89], 3, s[10:11]
	global_load_b128 v[88:91], v[96:97], off
	global_load_b128 v[92:95], v[92:93], off
	s_wait_loadcnt 0x11
	v_pk_fma_f32 v[8:9], v[20:21], v[24:25], v[8:9] op_sel_hi:[1,0,1]
	v_pk_fma_f32 v[0:1], v[22:23], v[24:25], v[0:1] op_sel_hi:[1,0,1]
	s_delay_alu instid0(VALU_DEP_2)
	v_pk_fma_f32 v[8:9], v[20:21], v[24:25], v[8:9] op_sel:[1,1,0] op_sel_hi:[0,1,1] neg_lo:[1,0,0]
	global_load_b128 v[20:23], v[96:97], off offset:16
	v_pk_fma_f32 v[0:1], v[98:99], v[24:25], v[0:1] op_sel:[0,1,0]
	v_xor_b32_e32 v24, 0x80000000, v19
	s_wait_xcnt 0x0
	v_dual_mov_b32 v25, v18 :: v_dual_mov_b32 v96, v27
	v_pk_fma_f32 v[8:9], v[16:17], v[26:27], v[8:9] op_sel_hi:[1,0,1]
	v_pk_fma_f32 v[0:1], v[18:19], v[26:27], v[0:1] op_sel_hi:[1,0,1]
	s_wait_loadcnt 0xf
	v_mov_b32_e32 v18, v39
	s_delay_alu instid0(VALU_DEP_3) | instskip(SKIP_3) | instid1(VALU_DEP_4)
	v_pk_fma_f32 v[8:9], v[16:17], v[96:97], v[8:9] op_sel:[1,0,0] op_sel_hi:[0,0,1] neg_lo:[1,0,0]
	v_mov_b32_e32 v17, v30
	v_pk_fma_f32 v[0:1], v[24:25], v[96:97], v[0:1] op_sel_hi:[1,0,1]
	v_xor_b32_e32 v16, 0x80000000, v31
	v_pk_fma_f32 v[8:9], v[28:29], v[36:37], v[8:9] op_sel_hi:[1,0,1]
	s_delay_alu instid0(VALU_DEP_3) | instskip(NEXT) | instid1(VALU_DEP_2)
	v_pk_fma_f32 v[0:1], v[30:31], v[36:37], v[0:1] op_sel_hi:[1,0,1]
	v_pk_fma_f32 v[8:9], v[28:29], v[36:37], v[8:9] op_sel:[1,1,0] op_sel_hi:[0,1,1] neg_lo:[1,0,0]
	s_delay_alu instid0(VALU_DEP_2) | instskip(SKIP_2) | instid1(VALU_DEP_4)
	v_pk_fma_f32 v[0:1], v[16:17], v[36:37], v[0:1] op_sel:[0,1,0]
	v_xor_b32_e32 v16, 0x80000000, v35
	v_mov_b32_e32 v17, v34
	v_pk_fma_f32 v[8:9], v[32:33], v[38:39], v[8:9] op_sel_hi:[1,0,1]
	s_delay_alu instid0(VALU_DEP_4) | instskip(NEXT) | instid1(VALU_DEP_2)
	v_pk_fma_f32 v[0:1], v[34:35], v[38:39], v[0:1] op_sel_hi:[1,0,1]
	v_pk_fma_f32 v[8:9], v[32:33], v[18:19], v[8:9] op_sel:[1,0,0] op_sel_hi:[0,0,1] neg_lo:[1,0,0]
	s_delay_alu instid0(VALU_DEP_2)
	v_pk_fma_f32 v[0:1], v[16:17], v[18:19], v[0:1] op_sel_hi:[1,0,1]
	s_wait_loadcnt 0xe
	v_xor_b32_e32 v16, 0x80000000, v43
	s_wait_loadcnt 0xd
	v_dual_mov_b32 v17, v42 :: v_dual_mov_b32 v18, v47
	v_pk_fma_f32 v[8:9], v[40:41], v[44:45], v[8:9] op_sel_hi:[1,0,1]
	v_pk_fma_f32 v[0:1], v[42:43], v[44:45], v[0:1] op_sel_hi:[1,0,1]
	s_delay_alu instid0(VALU_DEP_2) | instskip(NEXT) | instid1(VALU_DEP_2)
	v_pk_fma_f32 v[8:9], v[40:41], v[44:45], v[8:9] op_sel:[1,1,0] op_sel_hi:[0,1,1] neg_lo:[1,0,0]
	v_pk_fma_f32 v[0:1], v[16:17], v[44:45], v[0:1] op_sel:[0,1,0]
	s_wait_loadcnt 0xc
	v_xor_b32_e32 v16, 0x80000000, v51
	v_mov_b32_e32 v17, v50
	v_pk_fma_f32 v[8:9], v[48:49], v[46:47], v[8:9] op_sel_hi:[1,0,1]
	v_pk_fma_f32 v[0:1], v[50:51], v[46:47], v[0:1] op_sel_hi:[1,0,1]
	s_delay_alu instid0(VALU_DEP_2) | instskip(NEXT) | instid1(VALU_DEP_2)
	v_pk_fma_f32 v[8:9], v[48:49], v[18:19], v[8:9] op_sel:[1,0,0] op_sel_hi:[0,0,1] neg_lo:[1,0,0]
	v_pk_fma_f32 v[0:1], v[16:17], v[18:19], v[0:1] op_sel_hi:[1,0,1]
	s_wait_loadcnt 0xb
	v_xor_b32_e32 v16, 0x80000000, v55
	s_wait_loadcnt 0xa
	v_dual_mov_b32 v17, v54 :: v_dual_mov_b32 v18, v59
	v_pk_fma_f32 v[8:9], v[52:53], v[56:57], v[8:9] op_sel_hi:[1,0,1]
	v_pk_fma_f32 v[0:1], v[54:55], v[56:57], v[0:1] op_sel_hi:[1,0,1]
	s_delay_alu instid0(VALU_DEP_2) | instskip(NEXT) | instid1(VALU_DEP_2)
	v_pk_fma_f32 v[8:9], v[52:53], v[56:57], v[8:9] op_sel:[1,1,0] op_sel_hi:[0,1,1] neg_lo:[1,0,0]
	v_pk_fma_f32 v[0:1], v[16:17], v[56:57], v[0:1] op_sel:[0,1,0]
	s_wait_loadcnt 0x9
	v_xor_b32_e32 v16, 0x80000000, v63
	v_mov_b32_e32 v17, v62
	v_pk_fma_f32 v[8:9], v[60:61], v[58:59], v[8:9] op_sel_hi:[1,0,1]
	v_pk_fma_f32 v[0:1], v[62:63], v[58:59], v[0:1] op_sel_hi:[1,0,1]
	s_delay_alu instid0(VALU_DEP_2) | instskip(NEXT) | instid1(VALU_DEP_2)
	v_pk_fma_f32 v[8:9], v[60:61], v[18:19], v[8:9] op_sel:[1,0,0] op_sel_hi:[0,0,1] neg_lo:[1,0,0]
	;; [unrolled: 17-line block ×5, first 2 shown]
	v_pk_fma_f32 v[0:1], v[16:17], v[18:19], v[0:1] op_sel_hi:[1,0,1]
	s_and_not1_b32 exec_lo, exec_lo, s4
	s_cbranch_execnz .LBB213_5
; %bb.6:
	s_or_b32 exec_lo, exec_lo, s4
.LBB213_7:
	s_delay_alu instid0(SALU_CYCLE_1)
	s_or_b32 exec_lo, exec_lo, s3
	s_cbranch_execz .LBB213_9
	s_branch .LBB213_14
.LBB213_8:
                                        ; implicit-def: $vgpr9
                                        ; implicit-def: $vgpr1
.LBB213_9:
	v_mov_b32_e32 v9, 0
	s_delay_alu instid0(VALU_DEP_1)
	v_dual_mov_b32 v8, v9 :: v_dual_mov_b32 v1, v9
	v_mov_b32_e32 v0, v9
	s_and_saveexec_b32 s3, s2
	s_cbranch_execz .LBB213_13
; %bb.10:
	v_mad_u32 v14, v13, 28, 27
	v_mov_b32_e32 v11, 0
	s_mov_b32 s2, 0
	s_delay_alu instid0(VALU_DEP_1)
	v_dual_mov_b32 v0, v11 :: v_dual_mov_b32 v1, v11
	v_dual_mov_b32 v8, v11 :: v_dual_mov_b32 v9, v11
.LBB213_11:                             ; =>This Inner Loop Header: Depth=1
	global_load_b32 v15, v13, s[6:7] scale_offset
	v_subrev_nc_u32_e32 v10, 27, v14
	v_dual_mov_b32 v41, v11 :: v_dual_add_nc_u32 v26, -13, v14
	v_dual_add_nc_u32 v27, -12, v14 :: v_dual_add_nc_u32 v28, -11, v14
	s_delay_alu instid0(VALU_DEP_3)
	v_lshl_add_u64 v[24:25], v[10:11], 3, s[8:9]
	v_dual_add_nc_u32 v34, -10, v14 :: v_dual_add_nc_u32 v36, -9, v14
	s_clause 0x4
	global_load_b64 v[42:43], v27, s[8:9] scale_offset
	global_load_b64 v[44:45], v28, s[8:9] scale_offset
	global_load_b128 v[16:19], v[24:25], off offset:16
	global_load_b128 v[20:23], v[24:25], off
	global_load_b64 v[46:47], v26, s[8:9] scale_offset
	v_subrev_nc_u32_e32 v35, 23, v14
	v_subrev_nc_u32_e32 v37, 22, v14
	v_dual_add_nc_u32 v38, -8, v14 :: v_dual_add_nc_u32 v74, -7, v14
	v_subrev_nc_u32_e32 v39, 21, v14
	v_subrev_nc_u32_e32 v75, 20, v14
	v_dual_add_nc_u32 v76, -6, v14 :: v_dual_add_nc_u32 v78, -5, v14
	;; [unrolled: 3-line block ×3, first 2 shown]
	v_subrev_nc_u32_e32 v81, 17, v14
	v_dual_add_nc_u32 v83, -16, v14 :: v_dual_add_nc_u32 v84, -2, v14
	v_dual_add_nc_u32 v85, -15, v14 :: v_dual_add_nc_u32 v86, -1, v14
	s_wait_xcnt 0x5
	v_add_nc_u32_e32 v13, 8, v13
	s_delay_alu instid0(VALU_DEP_1) | instskip(SKIP_3) | instid1(VALU_DEP_1)
	v_cmp_ge_i32_e32 vcc_lo, v13, v12
	s_or_b32 s2, vcc_lo, s2
	s_wait_loadcnt 0x5
	v_subrev_nc_u32_e32 v10, s12, v15
	v_mul_lo_u32 v40, v10, 14
	s_delay_alu instid0(VALU_DEP_1) | instskip(SKIP_2) | instid1(VALU_DEP_2)
	v_dual_add_nc_u32 v87, -14, v14 :: v_dual_add_nc_u32 v10, 2, v40
	s_wait_xcnt 0x1
	v_lshl_add_u64 v[24:25], v[40:41], 3, s[10:11]
	v_lshl_add_u64 v[32:33], v[10:11], 3, s[10:11]
	s_clause 0x1
	global_load_b128 v[24:27], v[24:25], off
	global_load_b128 v[28:31], v[32:33], off
	s_clause 0x1
	global_load_b64 v[48:49], v34, s[8:9] scale_offset
	global_load_b64 v[50:51], v35, s[8:9] scale_offset
	v_add_nc_u32_e32 v10, 4, v40
	s_clause 0x2
	global_load_b64 v[52:53], v36, s[8:9] scale_offset
	global_load_b64 v[54:55], v37, s[8:9] scale_offset
	;; [unrolled: 1-line block ×3, first 2 shown]
	s_wait_xcnt 0x1
	v_lshl_add_u64 v[36:37], v[10:11], 3, s[10:11]
	s_clause 0x2
	global_load_b64 v[58:59], v39, s[8:9] scale_offset
	global_load_b64 v[60:61], v74, s[8:9] scale_offset
	;; [unrolled: 1-line block ×3, first 2 shown]
	global_load_b128 v[32:35], v[36:37], off
	s_clause 0x4
	global_load_b64 v[64:65], v76, s[8:9] scale_offset
	global_load_b64 v[66:67], v77, s[8:9] scale_offset
	;; [unrolled: 1-line block ×5, first 2 shown]
	v_add_nc_u32_e32 v10, 6, v40
	s_wait_loadcnt 0x11
	s_wait_xcnt 0x7
	v_xor_b32_e32 v74, 0x80000000, v23
	s_wait_xcnt 0x6
	v_mov_b32_e32 v75, v22
	s_wait_loadcnt 0xf
	v_pk_fma_f32 v[8:9], v[20:21], v[24:25], v[8:9] op_sel_hi:[1,0,1]
	v_pk_fma_f32 v[0:1], v[46:47], v[24:25], v[0:1] op_sel_hi:[1,0,1]
	s_delay_alu instid0(VALU_DEP_2) | instskip(NEXT) | instid1(VALU_DEP_2)
	v_pk_fma_f32 v[8:9], v[20:21], v[24:25], v[8:9] op_sel:[1,1,0] op_sel_hi:[0,1,1] neg_lo:[1,0,0]
	v_pk_fma_f32 v[0:1], v[46:47], v[24:25], v[0:1] op_sel:[1,1,0] op_sel_hi:[0,1,1] neg_lo:[1,0,0]
	v_mov_b32_e32 v24, v27
	s_wait_xcnt 0x5
	v_lshl_add_u64 v[36:37], v[10:11], 3, s[10:11]
	v_add_nc_u32_e32 v10, 8, v40
	v_pk_fma_f32 v[8:9], v[22:23], v[26:27], v[8:9] op_sel_hi:[1,0,1]
	v_pk_fma_f32 v[0:1], v[42:43], v[26:27], v[0:1] op_sel_hi:[1,0,1]
	global_load_b128 v[36:39], v[36:37], off
	v_pk_fma_f32 v[8:9], v[74:75], v[24:25], v[8:9] op_sel_hi:[1,0,1]
	v_pk_fma_f32 v[0:1], v[42:43], v[24:25], v[0:1] op_sel:[1,0,0] op_sel_hi:[0,0,1] neg_lo:[1,0,0]
	v_mov_b32_e32 v43, v18
	v_lshl_add_u64 v[20:21], v[10:11], 3, s[10:11]
	v_add_nc_u32_e32 v10, 10, v40
	s_wait_loadcnt 0xf
	v_pk_fma_f32 v[8:9], v[16:17], v[28:29], v[8:9] op_sel_hi:[1,0,1]
	v_xor_b32_e32 v42, 0x80000000, v19
	v_pk_fma_f32 v[0:1], v[44:45], v[28:29], v[0:1] op_sel_hi:[1,0,1]
	global_load_b128 v[20:23], v[20:21], off
	v_lshl_add_u64 v[24:25], v[10:11], 3, s[10:11]
	s_clause 0x3
	global_load_b64 v[46:47], v81, s[8:9] scale_offset
	global_load_b64 v[76:77], v82, s[8:9] scale_offset
	global_load_b64 v[78:79], v83, s[8:9] scale_offset
	global_load_b64 v[80:81], v84, s[8:9] scale_offset
	v_add_nc_u32_e32 v10, 12, v40
	v_pk_fma_f32 v[8:9], v[16:17], v[28:29], v[8:9] op_sel:[1,1,0] op_sel_hi:[0,1,1] neg_lo:[1,0,0]
	global_load_b128 v[24:27], v[24:25], off
	global_load_b64 v[74:75], v85, s[8:9] scale_offset
	v_pk_fma_f32 v[0:1], v[44:45], v[28:29], v[0:1] op_sel:[1,1,0] op_sel_hi:[0,1,1] neg_lo:[1,0,0]
	v_lshl_add_u64 v[40:41], v[10:11], 3, s[10:11]
	v_pk_fma_f32 v[8:9], v[18:19], v[30:31], v[8:9] op_sel_hi:[1,0,1]
	global_load_b64 v[82:83], v86, s[8:9] scale_offset
	global_load_b128 v[16:19], v[40:41], off
	global_load_b64 v[28:29], v87, s[8:9] scale_offset
	s_wait_loadcnt 0x18
	v_pk_fma_f32 v[0:1], v[48:49], v[30:31], v[0:1] op_sel_hi:[1,0,1]
	v_mov_b32_e32 v10, v31
	global_load_b64 v[30:31], v14, s[8:9] scale_offset
	s_wait_xcnt 0x0
	v_add_nc_u32_e32 v14, 0xe0, v14
	v_pk_fma_f32 v[8:9], v[42:43], v[10:11], v[8:9] op_sel_hi:[1,0,1]
	v_pk_fma_f32 v[0:1], v[48:49], v[10:11], v[0:1] op_sel:[1,0,0] op_sel_hi:[0,0,1] neg_lo:[1,0,0]
	s_wait_loadcnt 0x11
	v_mov_b32_e32 v10, v35
	s_delay_alu instid0(VALU_DEP_3) | instskip(NEXT) | instid1(VALU_DEP_3)
	v_pk_fma_f32 v[8:9], v[50:51], v[32:33], v[8:9] op_sel_hi:[1,0,1]
	v_pk_fma_f32 v[0:1], v[52:53], v[32:33], v[0:1] op_sel_hi:[1,0,1]
	s_delay_alu instid0(VALU_DEP_2) | instskip(NEXT) | instid1(VALU_DEP_2)
	v_pk_fma_f32 v[8:9], v[50:51], v[32:33], v[8:9] op_sel:[1,1,0] op_sel_hi:[0,1,1] neg_lo:[1,0,0]
	v_pk_fma_f32 v[0:1], v[52:53], v[32:33], v[0:1] op_sel:[1,1,0] op_sel_hi:[0,1,1] neg_lo:[1,0,0]
	s_delay_alu instid0(VALU_DEP_2) | instskip(NEXT) | instid1(VALU_DEP_2)
	v_pk_fma_f32 v[8:9], v[54:55], v[34:35], v[8:9] op_sel_hi:[1,0,1]
	v_pk_fma_f32 v[0:1], v[56:57], v[34:35], v[0:1] op_sel_hi:[1,0,1]
	s_delay_alu instid0(VALU_DEP_2) | instskip(NEXT) | instid1(VALU_DEP_2)
	v_pk_fma_f32 v[8:9], v[54:55], v[10:11], v[8:9] op_sel:[1,0,0] op_sel_hi:[0,0,1] neg_lo:[1,0,0]
	v_pk_fma_f32 v[0:1], v[56:57], v[10:11], v[0:1] op_sel:[1,0,0] op_sel_hi:[0,0,1] neg_lo:[1,0,0]
	s_wait_loadcnt 0xb
	s_delay_alu instid0(VALU_DEP_2) | instskip(NEXT) | instid1(VALU_DEP_2)
	v_pk_fma_f32 v[8:9], v[58:59], v[36:37], v[8:9] op_sel_hi:[1,0,1]
	v_pk_fma_f32 v[0:1], v[60:61], v[36:37], v[0:1] op_sel_hi:[1,0,1]
	v_mov_b32_e32 v10, v39
	s_delay_alu instid0(VALU_DEP_3) | instskip(NEXT) | instid1(VALU_DEP_3)
	v_pk_fma_f32 v[8:9], v[58:59], v[36:37], v[8:9] op_sel:[1,1,0] op_sel_hi:[0,1,1] neg_lo:[1,0,0]
	v_pk_fma_f32 v[0:1], v[60:61], v[36:37], v[0:1] op_sel:[1,1,0] op_sel_hi:[0,1,1] neg_lo:[1,0,0]
	s_delay_alu instid0(VALU_DEP_2) | instskip(NEXT) | instid1(VALU_DEP_2)
	v_pk_fma_f32 v[8:9], v[62:63], v[38:39], v[8:9] op_sel_hi:[1,0,1]
	v_pk_fma_f32 v[0:1], v[64:65], v[38:39], v[0:1] op_sel_hi:[1,0,1]
	s_delay_alu instid0(VALU_DEP_2) | instskip(NEXT) | instid1(VALU_DEP_2)
	v_pk_fma_f32 v[8:9], v[62:63], v[10:11], v[8:9] op_sel:[1,0,0] op_sel_hi:[0,0,1] neg_lo:[1,0,0]
	v_pk_fma_f32 v[0:1], v[64:65], v[10:11], v[0:1] op_sel:[1,0,0] op_sel_hi:[0,0,1] neg_lo:[1,0,0]
	s_wait_loadcnt 0xa
	v_mov_b32_e32 v10, v23
	s_delay_alu instid0(VALU_DEP_3) | instskip(NEXT) | instid1(VALU_DEP_3)
	v_pk_fma_f32 v[8:9], v[66:67], v[20:21], v[8:9] op_sel_hi:[1,0,1]
	v_pk_fma_f32 v[0:1], v[68:69], v[20:21], v[0:1] op_sel_hi:[1,0,1]
	s_delay_alu instid0(VALU_DEP_2) | instskip(NEXT) | instid1(VALU_DEP_2)
	v_pk_fma_f32 v[8:9], v[66:67], v[20:21], v[8:9] op_sel:[1,1,0] op_sel_hi:[0,1,1] neg_lo:[1,0,0]
	v_pk_fma_f32 v[0:1], v[68:69], v[20:21], v[0:1] op_sel:[1,1,0] op_sel_hi:[0,1,1] neg_lo:[1,0,0]
	s_delay_alu instid0(VALU_DEP_2) | instskip(NEXT) | instid1(VALU_DEP_2)
	v_pk_fma_f32 v[8:9], v[70:71], v[22:23], v[8:9] op_sel_hi:[1,0,1]
	v_pk_fma_f32 v[0:1], v[72:73], v[22:23], v[0:1] op_sel_hi:[1,0,1]
	s_delay_alu instid0(VALU_DEP_2) | instskip(NEXT) | instid1(VALU_DEP_2)
	v_pk_fma_f32 v[8:9], v[70:71], v[10:11], v[8:9] op_sel:[1,0,0] op_sel_hi:[0,0,1] neg_lo:[1,0,0]
	v_pk_fma_f32 v[0:1], v[72:73], v[10:11], v[0:1] op_sel:[1,0,0] op_sel_hi:[0,0,1] neg_lo:[1,0,0]
	s_wait_loadcnt 0x5
	v_mov_b32_e32 v10, v27
	s_delay_alu instid0(VALU_DEP_3) | instskip(NEXT) | instid1(VALU_DEP_3)
	v_pk_fma_f32 v[8:9], v[46:47], v[24:25], v[8:9] op_sel_hi:[1,0,1]
	v_pk_fma_f32 v[0:1], v[76:77], v[24:25], v[0:1] op_sel_hi:[1,0,1]
	s_delay_alu instid0(VALU_DEP_2) | instskip(NEXT) | instid1(VALU_DEP_2)
	v_pk_fma_f32 v[8:9], v[46:47], v[24:25], v[8:9] op_sel:[1,1,0] op_sel_hi:[0,1,1] neg_lo:[1,0,0]
	v_pk_fma_f32 v[0:1], v[76:77], v[24:25], v[0:1] op_sel:[1,1,0] op_sel_hi:[0,1,1] neg_lo:[1,0,0]
	s_delay_alu instid0(VALU_DEP_2) | instskip(NEXT) | instid1(VALU_DEP_2)
	v_pk_fma_f32 v[8:9], v[78:79], v[26:27], v[8:9] op_sel_hi:[1,0,1]
	v_pk_fma_f32 v[0:1], v[80:81], v[26:27], v[0:1] op_sel_hi:[1,0,1]
	s_delay_alu instid0(VALU_DEP_2) | instskip(NEXT) | instid1(VALU_DEP_2)
	v_pk_fma_f32 v[8:9], v[78:79], v[10:11], v[8:9] op_sel:[1,0,0] op_sel_hi:[0,0,1] neg_lo:[1,0,0]
	v_pk_fma_f32 v[0:1], v[80:81], v[10:11], v[0:1] op_sel:[1,0,0] op_sel_hi:[0,0,1] neg_lo:[1,0,0]
	s_wait_loadcnt 0x2
	v_mov_b32_e32 v10, v19
	s_delay_alu instid0(VALU_DEP_3) | instskip(NEXT) | instid1(VALU_DEP_3)
	v_pk_fma_f32 v[8:9], v[74:75], v[16:17], v[8:9] op_sel_hi:[1,0,1]
	v_pk_fma_f32 v[0:1], v[82:83], v[16:17], v[0:1] op_sel_hi:[1,0,1]
	s_delay_alu instid0(VALU_DEP_2) | instskip(NEXT) | instid1(VALU_DEP_2)
	v_pk_fma_f32 v[8:9], v[74:75], v[16:17], v[8:9] op_sel:[1,1,0] op_sel_hi:[0,1,1] neg_lo:[1,0,0]
	v_pk_fma_f32 v[0:1], v[82:83], v[16:17], v[0:1] op_sel:[1,1,0] op_sel_hi:[0,1,1] neg_lo:[1,0,0]
	s_wait_loadcnt 0x1
	s_delay_alu instid0(VALU_DEP_2) | instskip(SKIP_1) | instid1(VALU_DEP_2)
	v_pk_fma_f32 v[8:9], v[28:29], v[18:19], v[8:9] op_sel_hi:[1,0,1]
	s_wait_loadcnt 0x0
	v_pk_fma_f32 v[0:1], v[30:31], v[18:19], v[0:1] op_sel_hi:[1,0,1]
	s_delay_alu instid0(VALU_DEP_2) | instskip(NEXT) | instid1(VALU_DEP_2)
	v_pk_fma_f32 v[8:9], v[28:29], v[10:11], v[8:9] op_sel:[1,0,0] op_sel_hi:[0,0,1] neg_lo:[1,0,0]
	v_pk_fma_f32 v[0:1], v[30:31], v[10:11], v[0:1] op_sel:[1,0,0] op_sel_hi:[0,0,1] neg_lo:[1,0,0]
	s_and_not1_b32 exec_lo, exec_lo, s2
	s_cbranch_execnz .LBB213_11
; %bb.12:
	s_or_b32 exec_lo, exec_lo, s2
.LBB213_13:
	s_delay_alu instid0(SALU_CYCLE_1)
	s_or_b32 exec_lo, exec_lo, s3
.LBB213_14:
	v_mbcnt_lo_u32_b32 v10, -1, 0
	s_delay_alu instid0(VALU_DEP_1) | instskip(SKIP_1) | instid1(VALU_DEP_1)
	v_xor_b32_e32 v15, 2, v10
	v_xor_b32_e32 v11, 4, v10
	v_cmp_gt_i32_e32 vcc_lo, 32, v11
	v_cndmask_b32_e32 v11, v10, v11, vcc_lo
	s_delay_alu instid0(VALU_DEP_1)
	v_lshlrev_b32_e32 v11, 2, v11
	ds_bpermute_b32 v13, v11, v9
	s_wait_dscnt 0x0
	v_add_f32_e32 v9, v9, v13
	ds_bpermute_b32 v12, v11, v8
	ds_bpermute_b32 v14, v11, v0
	;; [unrolled: 1-line block ×3, first 2 shown]
	s_wait_dscnt 0x2
	v_add_f32_e32 v8, v8, v12
	s_wait_dscnt 0x0
	v_dual_add_f32 v12, v0, v14 :: v_dual_add_f32 v11, v1, v11
	v_cmp_gt_i32_e32 vcc_lo, 32, v15
	v_cndmask_b32_e32 v15, v10, v15, vcc_lo
	s_delay_alu instid0(VALU_DEP_1)
	v_lshlrev_b32_e32 v15, 2, v15
	ds_bpermute_b32 v0, v15, v8
	ds_bpermute_b32 v1, v15, v9
	;; [unrolled: 1-line block ×4, first 2 shown]
	s_wait_dscnt 0x3
	v_dual_add_f32 v0, v8, v0 :: v_dual_bitop2_b32 v15, 1, v10 bitop3:0x14
	s_delay_alu instid0(VALU_DEP_1) | instskip(SKIP_4) | instid1(VALU_DEP_2)
	v_cmp_gt_i32_e32 vcc_lo, 32, v15
	s_wait_dscnt 0x0
	v_dual_add_f32 v8, v9, v1 :: v_dual_add_f32 v9, v11, v14
	v_dual_add_f32 v1, v12, v13 :: v_dual_cndmask_b32 v10, v10, v15
	v_cmp_eq_u32_e32 vcc_lo, 7, v7
	v_lshlrev_b32_e32 v15, 2, v10
	ds_bpermute_b32 v12, v15, v0
	ds_bpermute_b32 v13, v15, v8
	;; [unrolled: 1-line block ×4, first 2 shown]
	s_and_b32 exec_lo, exec_lo, vcc_lo
	s_cbranch_execz .LBB213_19
; %bb.15:
	s_load_b64 s[2:3], s[0:1], 0x38
	v_cmp_eq_f32_e32 vcc_lo, 0, v4
	s_wait_xcnt 0x0
	v_cmp_eq_f32_e64 s0, 0, v5
	s_wait_dscnt 0x3
	v_add_f32_e32 v0, v0, v12
	s_wait_dscnt 0x1
	v_dual_add_f32 v12, v8, v13 :: v_dual_add_f32 v8, v1, v10
	s_wait_dscnt 0x0
	v_add_f32_e32 v10, v9, v11
	s_and_b32 s0, vcc_lo, s0
	s_delay_alu instid0(SALU_CYCLE_1) | instskip(NEXT) | instid1(SALU_CYCLE_1)
	s_and_saveexec_b32 s1, s0
	s_xor_b32 s0, exec_lo, s1
	s_cbranch_execz .LBB213_17
; %bb.16:
	v_xor_b32_e32 v4, 0x80000000, v3
	v_dual_mov_b32 v5, v2 :: v_dual_lshlrev_b32 v6, 1, v6
	s_delay_alu instid0(VALU_DEP_1) | instskip(NEXT) | instid1(VALU_DEP_2)
	v_ashrrev_i32_e32 v7, 31, v6
	v_pk_mul_f32 v[12:13], v[12:13], v[4:5] op_sel_hi:[0,1]
	v_pk_mul_f32 v[4:5], v[10:11], v[4:5] op_sel_hi:[0,1]
                                        ; implicit-def: $vgpr10
	s_wait_kmcnt 0x0
	s_delay_alu instid0(VALU_DEP_3) | instskip(NEXT) | instid1(VALU_DEP_3)
	v_lshl_add_u64 v[6:7], v[6:7], 3, s[2:3]
	v_pk_fma_f32 v[0:1], v[2:3], v[0:1], v[12:13] op_sel_hi:[1,0,1]
	s_delay_alu instid0(VALU_DEP_3)
	v_pk_fma_f32 v[2:3], v[2:3], v[8:9], v[4:5] op_sel_hi:[1,0,1]
                                        ; implicit-def: $vgpr4_vgpr5
                                        ; implicit-def: $vgpr12
                                        ; implicit-def: $vgpr8
	global_store_b128 v[6:7], v[0:3], off
                                        ; implicit-def: $vgpr6
                                        ; implicit-def: $vgpr2_vgpr3
                                        ; implicit-def: $vgpr0
.LBB213_17:
	s_wait_xcnt 0x0
	s_and_not1_saveexec_b32 s0, s0
	s_cbranch_execz .LBB213_19
; %bb.18:
	v_dual_mov_b32 v19, v2 :: v_dual_lshlrev_b32 v6, 1, v6
	v_xor_b32_e32 v18, 0x80000000, v3
	s_delay_alu instid0(VALU_DEP_2) | instskip(NEXT) | instid1(VALU_DEP_2)
	v_ashrrev_i32_e32 v7, 31, v6
	v_pk_mul_f32 v[12:13], v[12:13], v[18:19] op_sel_hi:[0,1]
	v_pk_mul_f32 v[10:11], v[10:11], v[18:19] op_sel_hi:[0,1]
	s_delay_alu instid0(VALU_DEP_2) | instskip(NEXT) | instid1(VALU_DEP_2)
	v_pk_fma_f32 v[0:1], v[2:3], v[0:1], v[12:13] op_sel_hi:[1,0,1]
	v_pk_fma_f32 v[2:3], v[2:3], v[8:9], v[10:11] op_sel_hi:[1,0,1]
	v_mov_b32_e32 v9, v4
	s_wait_kmcnt 0x0
	v_lshl_add_u64 v[6:7], v[6:7], 3, s[2:3]
	v_xor_b32_e32 v8, 0x80000000, v5
	global_load_b128 v[14:17], v[6:7], off
	s_wait_loadcnt 0x0
	v_pk_fma_f32 v[0:1], v[4:5], v[14:15], v[0:1] op_sel_hi:[1,0,1]
	v_pk_fma_f32 v[2:3], v[4:5], v[16:17], v[2:3] op_sel_hi:[1,0,1]
	v_mov_b32_e32 v4, v17
	s_delay_alu instid0(VALU_DEP_3) | instskip(NEXT) | instid1(VALU_DEP_2)
	v_pk_fma_f32 v[0:1], v[8:9], v[14:15], v[0:1] op_sel:[0,1,0]
	v_pk_fma_f32 v[2:3], v[8:9], v[4:5], v[2:3] op_sel_hi:[1,0,1]
	global_store_b128 v[6:7], v[0:3], off
.LBB213_19:
	s_sendmsg sendmsg(MSG_DEALLOC_VGPRS)
	s_endpgm
	.section	.rodata,"a",@progbits
	.p2align	6, 0x0
	.amdhsa_kernel _ZN9rocsparseL19gebsrmvn_2xn_kernelILj128ELj14ELj8E21rocsparse_complex_numIfEEEvi20rocsparse_direction_NS_24const_host_device_scalarIT2_EEPKiS8_PKS5_SA_S6_PS5_21rocsparse_index_base_b
		.amdhsa_group_segment_fixed_size 0
		.amdhsa_private_segment_fixed_size 0
		.amdhsa_kernarg_size 72
		.amdhsa_user_sgpr_count 2
		.amdhsa_user_sgpr_dispatch_ptr 0
		.amdhsa_user_sgpr_queue_ptr 0
		.amdhsa_user_sgpr_kernarg_segment_ptr 1
		.amdhsa_user_sgpr_dispatch_id 0
		.amdhsa_user_sgpr_kernarg_preload_length 0
		.amdhsa_user_sgpr_kernarg_preload_offset 0
		.amdhsa_user_sgpr_private_segment_size 0
		.amdhsa_wavefront_size32 1
		.amdhsa_uses_dynamic_stack 0
		.amdhsa_enable_private_segment 0
		.amdhsa_system_sgpr_workgroup_id_x 1
		.amdhsa_system_sgpr_workgroup_id_y 0
		.amdhsa_system_sgpr_workgroup_id_z 0
		.amdhsa_system_sgpr_workgroup_info 0
		.amdhsa_system_vgpr_workitem_id 0
		.amdhsa_next_free_vgpr 100
		.amdhsa_next_free_sgpr 14
		.amdhsa_named_barrier_count 0
		.amdhsa_reserve_vcc 1
		.amdhsa_float_round_mode_32 0
		.amdhsa_float_round_mode_16_64 0
		.amdhsa_float_denorm_mode_32 3
		.amdhsa_float_denorm_mode_16_64 3
		.amdhsa_fp16_overflow 0
		.amdhsa_memory_ordered 1
		.amdhsa_forward_progress 1
		.amdhsa_inst_pref_size 30
		.amdhsa_round_robin_scheduling 0
		.amdhsa_exception_fp_ieee_invalid_op 0
		.amdhsa_exception_fp_denorm_src 0
		.amdhsa_exception_fp_ieee_div_zero 0
		.amdhsa_exception_fp_ieee_overflow 0
		.amdhsa_exception_fp_ieee_underflow 0
		.amdhsa_exception_fp_ieee_inexact 0
		.amdhsa_exception_int_div_zero 0
	.end_amdhsa_kernel
	.section	.text._ZN9rocsparseL19gebsrmvn_2xn_kernelILj128ELj14ELj8E21rocsparse_complex_numIfEEEvi20rocsparse_direction_NS_24const_host_device_scalarIT2_EEPKiS8_PKS5_SA_S6_PS5_21rocsparse_index_base_b,"axG",@progbits,_ZN9rocsparseL19gebsrmvn_2xn_kernelILj128ELj14ELj8E21rocsparse_complex_numIfEEEvi20rocsparse_direction_NS_24const_host_device_scalarIT2_EEPKiS8_PKS5_SA_S6_PS5_21rocsparse_index_base_b,comdat
.Lfunc_end213:
	.size	_ZN9rocsparseL19gebsrmvn_2xn_kernelILj128ELj14ELj8E21rocsparse_complex_numIfEEEvi20rocsparse_direction_NS_24const_host_device_scalarIT2_EEPKiS8_PKS5_SA_S6_PS5_21rocsparse_index_base_b, .Lfunc_end213-_ZN9rocsparseL19gebsrmvn_2xn_kernelILj128ELj14ELj8E21rocsparse_complex_numIfEEEvi20rocsparse_direction_NS_24const_host_device_scalarIT2_EEPKiS8_PKS5_SA_S6_PS5_21rocsparse_index_base_b
                                        ; -- End function
	.set _ZN9rocsparseL19gebsrmvn_2xn_kernelILj128ELj14ELj8E21rocsparse_complex_numIfEEEvi20rocsparse_direction_NS_24const_host_device_scalarIT2_EEPKiS8_PKS5_SA_S6_PS5_21rocsparse_index_base_b.num_vgpr, 100
	.set _ZN9rocsparseL19gebsrmvn_2xn_kernelILj128ELj14ELj8E21rocsparse_complex_numIfEEEvi20rocsparse_direction_NS_24const_host_device_scalarIT2_EEPKiS8_PKS5_SA_S6_PS5_21rocsparse_index_base_b.num_agpr, 0
	.set _ZN9rocsparseL19gebsrmvn_2xn_kernelILj128ELj14ELj8E21rocsparse_complex_numIfEEEvi20rocsparse_direction_NS_24const_host_device_scalarIT2_EEPKiS8_PKS5_SA_S6_PS5_21rocsparse_index_base_b.numbered_sgpr, 14
	.set _ZN9rocsparseL19gebsrmvn_2xn_kernelILj128ELj14ELj8E21rocsparse_complex_numIfEEEvi20rocsparse_direction_NS_24const_host_device_scalarIT2_EEPKiS8_PKS5_SA_S6_PS5_21rocsparse_index_base_b.num_named_barrier, 0
	.set _ZN9rocsparseL19gebsrmvn_2xn_kernelILj128ELj14ELj8E21rocsparse_complex_numIfEEEvi20rocsparse_direction_NS_24const_host_device_scalarIT2_EEPKiS8_PKS5_SA_S6_PS5_21rocsparse_index_base_b.private_seg_size, 0
	.set _ZN9rocsparseL19gebsrmvn_2xn_kernelILj128ELj14ELj8E21rocsparse_complex_numIfEEEvi20rocsparse_direction_NS_24const_host_device_scalarIT2_EEPKiS8_PKS5_SA_S6_PS5_21rocsparse_index_base_b.uses_vcc, 1
	.set _ZN9rocsparseL19gebsrmvn_2xn_kernelILj128ELj14ELj8E21rocsparse_complex_numIfEEEvi20rocsparse_direction_NS_24const_host_device_scalarIT2_EEPKiS8_PKS5_SA_S6_PS5_21rocsparse_index_base_b.uses_flat_scratch, 1
	.set _ZN9rocsparseL19gebsrmvn_2xn_kernelILj128ELj14ELj8E21rocsparse_complex_numIfEEEvi20rocsparse_direction_NS_24const_host_device_scalarIT2_EEPKiS8_PKS5_SA_S6_PS5_21rocsparse_index_base_b.has_dyn_sized_stack, 0
	.set _ZN9rocsparseL19gebsrmvn_2xn_kernelILj128ELj14ELj8E21rocsparse_complex_numIfEEEvi20rocsparse_direction_NS_24const_host_device_scalarIT2_EEPKiS8_PKS5_SA_S6_PS5_21rocsparse_index_base_b.has_recursion, 0
	.set _ZN9rocsparseL19gebsrmvn_2xn_kernelILj128ELj14ELj8E21rocsparse_complex_numIfEEEvi20rocsparse_direction_NS_24const_host_device_scalarIT2_EEPKiS8_PKS5_SA_S6_PS5_21rocsparse_index_base_b.has_indirect_call, 0
	.section	.AMDGPU.csdata,"",@progbits
; Kernel info:
; codeLenInByte = 3800
; TotalNumSgprs: 16
; NumVgprs: 100
; ScratchSize: 0
; MemoryBound: 0
; FloatMode: 240
; IeeeMode: 1
; LDSByteSize: 0 bytes/workgroup (compile time only)
; SGPRBlocks: 0
; VGPRBlocks: 6
; NumSGPRsForWavesPerEU: 16
; NumVGPRsForWavesPerEU: 100
; NamedBarCnt: 0
; Occupancy: 9
; WaveLimiterHint : 1
; COMPUTE_PGM_RSRC2:SCRATCH_EN: 0
; COMPUTE_PGM_RSRC2:USER_SGPR: 2
; COMPUTE_PGM_RSRC2:TRAP_HANDLER: 0
; COMPUTE_PGM_RSRC2:TGID_X_EN: 1
; COMPUTE_PGM_RSRC2:TGID_Y_EN: 0
; COMPUTE_PGM_RSRC2:TGID_Z_EN: 0
; COMPUTE_PGM_RSRC2:TIDIG_COMP_CNT: 0
	.section	.text._ZN9rocsparseL19gebsrmvn_2xn_kernelILj128ELj14ELj16E21rocsparse_complex_numIfEEEvi20rocsparse_direction_NS_24const_host_device_scalarIT2_EEPKiS8_PKS5_SA_S6_PS5_21rocsparse_index_base_b,"axG",@progbits,_ZN9rocsparseL19gebsrmvn_2xn_kernelILj128ELj14ELj16E21rocsparse_complex_numIfEEEvi20rocsparse_direction_NS_24const_host_device_scalarIT2_EEPKiS8_PKS5_SA_S6_PS5_21rocsparse_index_base_b,comdat
	.globl	_ZN9rocsparseL19gebsrmvn_2xn_kernelILj128ELj14ELj16E21rocsparse_complex_numIfEEEvi20rocsparse_direction_NS_24const_host_device_scalarIT2_EEPKiS8_PKS5_SA_S6_PS5_21rocsparse_index_base_b ; -- Begin function _ZN9rocsparseL19gebsrmvn_2xn_kernelILj128ELj14ELj16E21rocsparse_complex_numIfEEEvi20rocsparse_direction_NS_24const_host_device_scalarIT2_EEPKiS8_PKS5_SA_S6_PS5_21rocsparse_index_base_b
	.p2align	8
	.type	_ZN9rocsparseL19gebsrmvn_2xn_kernelILj128ELj14ELj16E21rocsparse_complex_numIfEEEvi20rocsparse_direction_NS_24const_host_device_scalarIT2_EEPKiS8_PKS5_SA_S6_PS5_21rocsparse_index_base_b,@function
_ZN9rocsparseL19gebsrmvn_2xn_kernelILj128ELj14ELj16E21rocsparse_complex_numIfEEEvi20rocsparse_direction_NS_24const_host_device_scalarIT2_EEPKiS8_PKS5_SA_S6_PS5_21rocsparse_index_base_b: ; @_ZN9rocsparseL19gebsrmvn_2xn_kernelILj128ELj14ELj16E21rocsparse_complex_numIfEEEvi20rocsparse_direction_NS_24const_host_device_scalarIT2_EEPKiS8_PKS5_SA_S6_PS5_21rocsparse_index_base_b
; %bb.0:
	s_clause 0x2
	s_load_b64 s[12:13], s[0:1], 0x40
	s_load_b64 s[2:3], s[0:1], 0x8
	;; [unrolled: 1-line block ×3, first 2 shown]
	v_mov_b32_e32 v1, 0
	s_add_nc_u64 s[6:7], s[0:1], 8
	s_add_nc_u64 s[8:9], s[0:1], 48
	s_wait_kmcnt 0x0
	s_bitcmp1_b32 s13, 0
	s_cselect_b32 s3, s7, s3
	s_cselect_b32 s2, s6, s2
	;; [unrolled: 1-line block ×4, first 2 shown]
	s_clause 0x1
	flat_load_b64 v[2:3], v1, s[2:3]
	flat_load_b64 v[4:5], v1, s[4:5]
	s_wait_loadcnt_dscnt 0x101
	v_cmp_eq_f32_e32 vcc_lo, 0, v2
	v_cmp_eq_f32_e64 s2, 0, v3
	s_wait_loadcnt_dscnt 0x0
	v_cmp_eq_f32_e64 s3, 1.0, v4
	v_cmp_eq_f32_e64 s4, 0, v5
	s_and_b32 s2, vcc_lo, s2
	s_and_b32 s3, s3, s4
	s_delay_alu instid0(SALU_CYCLE_1) | instskip(NEXT) | instid1(SALU_CYCLE_1)
	s_and_b32 s2, s2, s3
	s_xor_b32 s2, s2, -1
	s_delay_alu instid0(SALU_CYCLE_1)
	s_and_saveexec_b32 s3, s2
	s_cbranch_execz .LBB214_19
; %bb.1:
	s_load_b64 s[2:3], s[0:1], 0x0
	s_bfe_u32 s4, ttmp6, 0x4000c
	s_and_b32 s5, ttmp6, 15
	s_add_co_i32 s4, s4, 1
	s_getreg_b32 s6, hwreg(HW_REG_IB_STS2, 6, 4)
	s_mul_i32 s4, ttmp9, s4
	v_lshrrev_b32_e32 v1, 4, v0
	s_add_co_i32 s5, s5, s4
	s_cmp_eq_u32 s6, 0
	s_cselect_b32 s4, ttmp9, s5
	s_delay_alu instid0(VALU_DEP_1) | instid1(SALU_CYCLE_1)
	v_lshl_or_b32 v6, s4, 3, v1
	s_wait_kmcnt 0x0
	s_delay_alu instid0(VALU_DEP_1)
	v_cmp_gt_i32_e32 vcc_lo, s2, v6
	s_and_b32 exec_lo, exec_lo, vcc_lo
	s_cbranch_execz .LBB214_19
; %bb.2:
	s_load_b256 s[4:11], s[0:1], 0x10
	v_ashrrev_i32_e32 v7, 31, v6
	s_cmp_lg_u32 s3, 0
	s_wait_kmcnt 0x0
	s_delay_alu instid0(VALU_DEP_1)
	v_lshl_add_u64 v[8:9], v[6:7], 2, s[4:5]
	v_and_b32_e32 v7, 15, v0
	global_load_b64 v[8:9], v[8:9], off
	s_wait_loadcnt 0x0
	v_subrev_nc_u32_e32 v0, s12, v8
	v_subrev_nc_u32_e32 v12, s12, v9
	s_delay_alu instid0(VALU_DEP_2) | instskip(NEXT) | instid1(VALU_DEP_1)
	v_add_nc_u32_e32 v13, v0, v7
	v_cmp_lt_i32_e64 s2, v13, v12
	s_cbranch_scc0 .LBB214_8
; %bb.3:
	v_mov_b32_e32 v9, 0
	s_delay_alu instid0(VALU_DEP_1)
	v_dual_mov_b32 v8, v9 :: v_dual_mov_b32 v1, v9
	v_mov_b32_e32 v0, v9
	s_and_saveexec_b32 s3, s2
	s_cbranch_execz .LBB214_7
; %bb.4:
	v_mul_lo_u32 v10, v13, 28
	v_dual_mov_b32 v11, 0 :: v_dual_mov_b32 v14, v13
	s_mov_b32 s4, 0
	s_delay_alu instid0(VALU_DEP_1)
	v_dual_mov_b32 v0, v11 :: v_dual_mov_b32 v1, v11
	v_dual_mov_b32 v8, v11 :: v_dual_mov_b32 v9, v11
.LBB214_5:                              ; =>This Inner Loop Header: Depth=1
	global_load_b32 v15, v14, s[6:7] scale_offset
	v_lshl_add_u64 v[24:25], v[10:11], 3, s[8:9]
	v_dual_mov_b32 v89, v11 :: v_dual_add_nc_u32 v28, 4, v10
	v_dual_mov_b32 v29, v11 :: v_dual_mov_b32 v31, v11
	s_clause 0x1
	global_load_b128 v[16:19], v[24:25], off offset:16
	global_load_b128 v[20:23], v[24:25], off
	v_dual_mov_b32 v53, v11 :: v_dual_mov_b32 v55, v11
	v_lshl_add_u64 v[40:41], v[28:29], 3, s[8:9]
	v_dual_mov_b32 v65, v11 :: v_dual_mov_b32 v67, v11
	v_dual_mov_b32 v77, v11 :: v_dual_mov_b32 v79, v11
	v_dual_add_nc_u32 v64, 16, v10 :: v_dual_add_nc_u32 v76, 20, v10
	v_dual_add_nc_u32 v90, 24, v10 :: v_dual_add_nc_u32 v52, 12, v10
	s_wait_xcnt 0x2
	v_add_nc_u32_e32 v14, 16, v14
	s_delay_alu instid0(VALU_DEP_3) | instskip(SKIP_2) | instid1(VALU_DEP_4)
	v_lshl_add_u64 v[72:73], v[64:65], 3, s[8:9]
	v_lshl_add_u64 v[84:85], v[76:77], 3, s[8:9]
	;; [unrolled: 1-line block ×3, first 2 shown]
	v_cmp_ge_i32_e32 vcc_lo, v14, v12
	s_or_b32 s4, vcc_lo, s4
	s_wait_loadcnt 0x2
	v_subrev_nc_u32_e32 v15, s12, v15
	s_delay_alu instid0(VALU_DEP_1) | instskip(SKIP_4) | instid1(VALU_DEP_4)
	v_mul_lo_u32 v88, v15, 14
	v_mov_b32_e32 v91, v11
	s_wait_loadcnt 0x0
	v_xor_b32_e32 v98, 0x80000000, v23
	v_mov_b32_e32 v99, v22
	v_lshl_add_u64 v[24:25], v[88:89], 3, s[10:11]
	v_dual_add_nc_u32 v30, 2, v88 :: v_dual_add_nc_u32 v54, 6, v88
	v_dual_add_nc_u32 v66, 8, v88 :: v_dual_add_nc_u32 v78, 10, v88
	global_load_b128 v[24:27], v[24:25], off
	v_lshl_add_u64 v[42:43], v[30:31], 3, s[10:11]
	s_clause 0x1
	global_load_b128 v[28:31], v[40:41], off
	global_load_b128 v[32:35], v[40:41], off offset:16
	global_load_b128 v[36:39], v[42:43], off
	s_wait_xcnt 0x1
	v_dual_mov_b32 v41, v11 :: v_dual_add_nc_u32 v40, 8, v10
	s_wait_xcnt 0x0
	v_dual_mov_b32 v43, v11 :: v_dual_add_nc_u32 v42, 4, v88
	v_lshl_add_u64 v[62:63], v[54:55], 3, s[10:11]
	v_lshl_add_u64 v[74:75], v[66:67], 3, s[10:11]
	;; [unrolled: 1-line block ×5, first 2 shown]
	global_load_b128 v[40:43], v[48:49], off
	global_load_b128 v[44:47], v[50:51], off
	s_clause 0x1
	global_load_b128 v[48:51], v[48:49], off offset:16
	global_load_b128 v[52:55], v[60:61], off
	global_load_b128 v[56:59], v[62:63], off
	s_clause 0x1
	global_load_b128 v[60:63], v[60:61], off offset:16
	;; [unrolled: 4-line block ×3, first 2 shown]
	global_load_b128 v[76:79], v[84:85], off
	global_load_b128 v[80:83], v[86:87], off
	global_load_b128 v[84:87], v[84:85], off offset:16
	v_add_nc_u32_e32 v88, 12, v88
	v_lshl_add_u64 v[96:97], v[90:91], 3, s[8:9]
	v_add_nc_u32_e32 v10, 0x1c0, v10
	s_delay_alu instid0(VALU_DEP_3)
	v_lshl_add_u64 v[92:93], v[88:89], 3, s[10:11]
	global_load_b128 v[88:91], v[96:97], off
	global_load_b128 v[92:95], v[92:93], off
	s_wait_loadcnt 0x11
	v_pk_fma_f32 v[8:9], v[20:21], v[24:25], v[8:9] op_sel_hi:[1,0,1]
	v_pk_fma_f32 v[0:1], v[22:23], v[24:25], v[0:1] op_sel_hi:[1,0,1]
	s_delay_alu instid0(VALU_DEP_2)
	v_pk_fma_f32 v[8:9], v[20:21], v[24:25], v[8:9] op_sel:[1,1,0] op_sel_hi:[0,1,1] neg_lo:[1,0,0]
	global_load_b128 v[20:23], v[96:97], off offset:16
	v_pk_fma_f32 v[0:1], v[98:99], v[24:25], v[0:1] op_sel:[0,1,0]
	v_xor_b32_e32 v24, 0x80000000, v19
	s_wait_xcnt 0x0
	v_dual_mov_b32 v25, v18 :: v_dual_mov_b32 v96, v27
	v_pk_fma_f32 v[8:9], v[16:17], v[26:27], v[8:9] op_sel_hi:[1,0,1]
	v_pk_fma_f32 v[0:1], v[18:19], v[26:27], v[0:1] op_sel_hi:[1,0,1]
	s_wait_loadcnt 0xf
	v_mov_b32_e32 v18, v39
	s_delay_alu instid0(VALU_DEP_3) | instskip(SKIP_3) | instid1(VALU_DEP_4)
	v_pk_fma_f32 v[8:9], v[16:17], v[96:97], v[8:9] op_sel:[1,0,0] op_sel_hi:[0,0,1] neg_lo:[1,0,0]
	v_mov_b32_e32 v17, v30
	v_pk_fma_f32 v[0:1], v[24:25], v[96:97], v[0:1] op_sel_hi:[1,0,1]
	v_xor_b32_e32 v16, 0x80000000, v31
	v_pk_fma_f32 v[8:9], v[28:29], v[36:37], v[8:9] op_sel_hi:[1,0,1]
	s_delay_alu instid0(VALU_DEP_3) | instskip(NEXT) | instid1(VALU_DEP_2)
	v_pk_fma_f32 v[0:1], v[30:31], v[36:37], v[0:1] op_sel_hi:[1,0,1]
	v_pk_fma_f32 v[8:9], v[28:29], v[36:37], v[8:9] op_sel:[1,1,0] op_sel_hi:[0,1,1] neg_lo:[1,0,0]
	s_delay_alu instid0(VALU_DEP_2) | instskip(SKIP_2) | instid1(VALU_DEP_4)
	v_pk_fma_f32 v[0:1], v[16:17], v[36:37], v[0:1] op_sel:[0,1,0]
	v_xor_b32_e32 v16, 0x80000000, v35
	v_mov_b32_e32 v17, v34
	v_pk_fma_f32 v[8:9], v[32:33], v[38:39], v[8:9] op_sel_hi:[1,0,1]
	s_delay_alu instid0(VALU_DEP_4) | instskip(NEXT) | instid1(VALU_DEP_2)
	v_pk_fma_f32 v[0:1], v[34:35], v[38:39], v[0:1] op_sel_hi:[1,0,1]
	v_pk_fma_f32 v[8:9], v[32:33], v[18:19], v[8:9] op_sel:[1,0,0] op_sel_hi:[0,0,1] neg_lo:[1,0,0]
	s_delay_alu instid0(VALU_DEP_2)
	v_pk_fma_f32 v[0:1], v[16:17], v[18:19], v[0:1] op_sel_hi:[1,0,1]
	s_wait_loadcnt 0xe
	v_xor_b32_e32 v16, 0x80000000, v43
	s_wait_loadcnt 0xd
	v_dual_mov_b32 v17, v42 :: v_dual_mov_b32 v18, v47
	v_pk_fma_f32 v[8:9], v[40:41], v[44:45], v[8:9] op_sel_hi:[1,0,1]
	v_pk_fma_f32 v[0:1], v[42:43], v[44:45], v[0:1] op_sel_hi:[1,0,1]
	s_delay_alu instid0(VALU_DEP_2) | instskip(NEXT) | instid1(VALU_DEP_2)
	v_pk_fma_f32 v[8:9], v[40:41], v[44:45], v[8:9] op_sel:[1,1,0] op_sel_hi:[0,1,1] neg_lo:[1,0,0]
	v_pk_fma_f32 v[0:1], v[16:17], v[44:45], v[0:1] op_sel:[0,1,0]
	s_wait_loadcnt 0xc
	v_xor_b32_e32 v16, 0x80000000, v51
	v_mov_b32_e32 v17, v50
	v_pk_fma_f32 v[8:9], v[48:49], v[46:47], v[8:9] op_sel_hi:[1,0,1]
	v_pk_fma_f32 v[0:1], v[50:51], v[46:47], v[0:1] op_sel_hi:[1,0,1]
	s_delay_alu instid0(VALU_DEP_2) | instskip(NEXT) | instid1(VALU_DEP_2)
	v_pk_fma_f32 v[8:9], v[48:49], v[18:19], v[8:9] op_sel:[1,0,0] op_sel_hi:[0,0,1] neg_lo:[1,0,0]
	v_pk_fma_f32 v[0:1], v[16:17], v[18:19], v[0:1] op_sel_hi:[1,0,1]
	s_wait_loadcnt 0xb
	v_xor_b32_e32 v16, 0x80000000, v55
	s_wait_loadcnt 0xa
	v_dual_mov_b32 v17, v54 :: v_dual_mov_b32 v18, v59
	v_pk_fma_f32 v[8:9], v[52:53], v[56:57], v[8:9] op_sel_hi:[1,0,1]
	v_pk_fma_f32 v[0:1], v[54:55], v[56:57], v[0:1] op_sel_hi:[1,0,1]
	s_delay_alu instid0(VALU_DEP_2) | instskip(NEXT) | instid1(VALU_DEP_2)
	v_pk_fma_f32 v[8:9], v[52:53], v[56:57], v[8:9] op_sel:[1,1,0] op_sel_hi:[0,1,1] neg_lo:[1,0,0]
	v_pk_fma_f32 v[0:1], v[16:17], v[56:57], v[0:1] op_sel:[0,1,0]
	s_wait_loadcnt 0x9
	v_xor_b32_e32 v16, 0x80000000, v63
	v_mov_b32_e32 v17, v62
	v_pk_fma_f32 v[8:9], v[60:61], v[58:59], v[8:9] op_sel_hi:[1,0,1]
	v_pk_fma_f32 v[0:1], v[62:63], v[58:59], v[0:1] op_sel_hi:[1,0,1]
	s_delay_alu instid0(VALU_DEP_2) | instskip(NEXT) | instid1(VALU_DEP_2)
	v_pk_fma_f32 v[8:9], v[60:61], v[18:19], v[8:9] op_sel:[1,0,0] op_sel_hi:[0,0,1] neg_lo:[1,0,0]
	;; [unrolled: 17-line block ×5, first 2 shown]
	v_pk_fma_f32 v[0:1], v[16:17], v[18:19], v[0:1] op_sel_hi:[1,0,1]
	s_and_not1_b32 exec_lo, exec_lo, s4
	s_cbranch_execnz .LBB214_5
; %bb.6:
	s_or_b32 exec_lo, exec_lo, s4
.LBB214_7:
	s_delay_alu instid0(SALU_CYCLE_1)
	s_or_b32 exec_lo, exec_lo, s3
	s_cbranch_execz .LBB214_9
	s_branch .LBB214_14
.LBB214_8:
                                        ; implicit-def: $vgpr9
                                        ; implicit-def: $vgpr1
.LBB214_9:
	v_mov_b32_e32 v9, 0
	s_delay_alu instid0(VALU_DEP_1)
	v_dual_mov_b32 v8, v9 :: v_dual_mov_b32 v1, v9
	v_mov_b32_e32 v0, v9
	s_and_saveexec_b32 s3, s2
	s_cbranch_execz .LBB214_13
; %bb.10:
	v_mad_u32 v14, v13, 28, 27
	v_mov_b32_e32 v11, 0
	s_mov_b32 s2, 0
	s_delay_alu instid0(VALU_DEP_1)
	v_dual_mov_b32 v0, v11 :: v_dual_mov_b32 v1, v11
	v_dual_mov_b32 v8, v11 :: v_dual_mov_b32 v9, v11
.LBB214_11:                             ; =>This Inner Loop Header: Depth=1
	global_load_b32 v15, v13, s[6:7] scale_offset
	v_subrev_nc_u32_e32 v10, 27, v14
	v_dual_mov_b32 v41, v11 :: v_dual_add_nc_u32 v26, -13, v14
	v_dual_add_nc_u32 v27, -12, v14 :: v_dual_add_nc_u32 v28, -11, v14
	s_delay_alu instid0(VALU_DEP_3)
	v_lshl_add_u64 v[24:25], v[10:11], 3, s[8:9]
	v_dual_add_nc_u32 v34, -10, v14 :: v_dual_add_nc_u32 v36, -9, v14
	s_clause 0x4
	global_load_b64 v[42:43], v27, s[8:9] scale_offset
	global_load_b64 v[44:45], v28, s[8:9] scale_offset
	global_load_b128 v[16:19], v[24:25], off offset:16
	global_load_b128 v[20:23], v[24:25], off
	global_load_b64 v[46:47], v26, s[8:9] scale_offset
	v_subrev_nc_u32_e32 v35, 23, v14
	v_subrev_nc_u32_e32 v37, 22, v14
	v_dual_add_nc_u32 v38, -8, v14 :: v_dual_add_nc_u32 v74, -7, v14
	v_subrev_nc_u32_e32 v39, 21, v14
	v_subrev_nc_u32_e32 v75, 20, v14
	v_dual_add_nc_u32 v76, -6, v14 :: v_dual_add_nc_u32 v78, -5, v14
	;; [unrolled: 3-line block ×3, first 2 shown]
	v_subrev_nc_u32_e32 v81, 17, v14
	v_dual_add_nc_u32 v83, -16, v14 :: v_dual_add_nc_u32 v84, -2, v14
	v_dual_add_nc_u32 v85, -15, v14 :: v_dual_add_nc_u32 v86, -1, v14
	s_wait_xcnt 0x5
	v_add_nc_u32_e32 v13, 16, v13
	s_delay_alu instid0(VALU_DEP_1) | instskip(SKIP_3) | instid1(VALU_DEP_1)
	v_cmp_ge_i32_e32 vcc_lo, v13, v12
	s_or_b32 s2, vcc_lo, s2
	s_wait_loadcnt 0x5
	v_subrev_nc_u32_e32 v10, s12, v15
	v_mul_lo_u32 v40, v10, 14
	s_delay_alu instid0(VALU_DEP_1) | instskip(SKIP_2) | instid1(VALU_DEP_2)
	v_dual_add_nc_u32 v87, -14, v14 :: v_dual_add_nc_u32 v10, 2, v40
	s_wait_xcnt 0x1
	v_lshl_add_u64 v[24:25], v[40:41], 3, s[10:11]
	v_lshl_add_u64 v[32:33], v[10:11], 3, s[10:11]
	s_clause 0x1
	global_load_b128 v[24:27], v[24:25], off
	global_load_b128 v[28:31], v[32:33], off
	s_clause 0x1
	global_load_b64 v[48:49], v34, s[8:9] scale_offset
	global_load_b64 v[50:51], v35, s[8:9] scale_offset
	v_add_nc_u32_e32 v10, 4, v40
	s_clause 0x2
	global_load_b64 v[52:53], v36, s[8:9] scale_offset
	global_load_b64 v[54:55], v37, s[8:9] scale_offset
	;; [unrolled: 1-line block ×3, first 2 shown]
	s_wait_xcnt 0x1
	v_lshl_add_u64 v[36:37], v[10:11], 3, s[10:11]
	s_clause 0x2
	global_load_b64 v[58:59], v39, s[8:9] scale_offset
	global_load_b64 v[60:61], v74, s[8:9] scale_offset
	;; [unrolled: 1-line block ×3, first 2 shown]
	global_load_b128 v[32:35], v[36:37], off
	s_clause 0x4
	global_load_b64 v[64:65], v76, s[8:9] scale_offset
	global_load_b64 v[66:67], v77, s[8:9] scale_offset
	;; [unrolled: 1-line block ×5, first 2 shown]
	v_add_nc_u32_e32 v10, 6, v40
	s_wait_loadcnt 0x11
	s_wait_xcnt 0x7
	v_xor_b32_e32 v74, 0x80000000, v23
	s_wait_xcnt 0x6
	v_mov_b32_e32 v75, v22
	s_wait_loadcnt 0xf
	v_pk_fma_f32 v[8:9], v[20:21], v[24:25], v[8:9] op_sel_hi:[1,0,1]
	v_pk_fma_f32 v[0:1], v[46:47], v[24:25], v[0:1] op_sel_hi:[1,0,1]
	s_delay_alu instid0(VALU_DEP_2) | instskip(NEXT) | instid1(VALU_DEP_2)
	v_pk_fma_f32 v[8:9], v[20:21], v[24:25], v[8:9] op_sel:[1,1,0] op_sel_hi:[0,1,1] neg_lo:[1,0,0]
	v_pk_fma_f32 v[0:1], v[46:47], v[24:25], v[0:1] op_sel:[1,1,0] op_sel_hi:[0,1,1] neg_lo:[1,0,0]
	v_mov_b32_e32 v24, v27
	s_wait_xcnt 0x5
	v_lshl_add_u64 v[36:37], v[10:11], 3, s[10:11]
	v_add_nc_u32_e32 v10, 8, v40
	v_pk_fma_f32 v[8:9], v[22:23], v[26:27], v[8:9] op_sel_hi:[1,0,1]
	v_pk_fma_f32 v[0:1], v[42:43], v[26:27], v[0:1] op_sel_hi:[1,0,1]
	global_load_b128 v[36:39], v[36:37], off
	v_pk_fma_f32 v[8:9], v[74:75], v[24:25], v[8:9] op_sel_hi:[1,0,1]
	v_pk_fma_f32 v[0:1], v[42:43], v[24:25], v[0:1] op_sel:[1,0,0] op_sel_hi:[0,0,1] neg_lo:[1,0,0]
	v_mov_b32_e32 v43, v18
	v_lshl_add_u64 v[20:21], v[10:11], 3, s[10:11]
	v_add_nc_u32_e32 v10, 10, v40
	s_wait_loadcnt 0xf
	v_pk_fma_f32 v[8:9], v[16:17], v[28:29], v[8:9] op_sel_hi:[1,0,1]
	v_xor_b32_e32 v42, 0x80000000, v19
	v_pk_fma_f32 v[0:1], v[44:45], v[28:29], v[0:1] op_sel_hi:[1,0,1]
	global_load_b128 v[20:23], v[20:21], off
	v_lshl_add_u64 v[24:25], v[10:11], 3, s[10:11]
	s_clause 0x3
	global_load_b64 v[46:47], v81, s[8:9] scale_offset
	global_load_b64 v[76:77], v82, s[8:9] scale_offset
	;; [unrolled: 1-line block ×4, first 2 shown]
	v_add_nc_u32_e32 v10, 12, v40
	v_pk_fma_f32 v[8:9], v[16:17], v[28:29], v[8:9] op_sel:[1,1,0] op_sel_hi:[0,1,1] neg_lo:[1,0,0]
	global_load_b128 v[24:27], v[24:25], off
	global_load_b64 v[74:75], v85, s[8:9] scale_offset
	v_pk_fma_f32 v[0:1], v[44:45], v[28:29], v[0:1] op_sel:[1,1,0] op_sel_hi:[0,1,1] neg_lo:[1,0,0]
	v_lshl_add_u64 v[40:41], v[10:11], 3, s[10:11]
	v_pk_fma_f32 v[8:9], v[18:19], v[30:31], v[8:9] op_sel_hi:[1,0,1]
	global_load_b64 v[82:83], v86, s[8:9] scale_offset
	global_load_b128 v[16:19], v[40:41], off
	global_load_b64 v[28:29], v87, s[8:9] scale_offset
	s_wait_loadcnt 0x18
	v_pk_fma_f32 v[0:1], v[48:49], v[30:31], v[0:1] op_sel_hi:[1,0,1]
	v_mov_b32_e32 v10, v31
	global_load_b64 v[30:31], v14, s[8:9] scale_offset
	s_wait_xcnt 0x0
	v_add_nc_u32_e32 v14, 0x1c0, v14
	v_pk_fma_f32 v[8:9], v[42:43], v[10:11], v[8:9] op_sel_hi:[1,0,1]
	v_pk_fma_f32 v[0:1], v[48:49], v[10:11], v[0:1] op_sel:[1,0,0] op_sel_hi:[0,0,1] neg_lo:[1,0,0]
	s_wait_loadcnt 0x11
	v_mov_b32_e32 v10, v35
	s_delay_alu instid0(VALU_DEP_3) | instskip(NEXT) | instid1(VALU_DEP_3)
	v_pk_fma_f32 v[8:9], v[50:51], v[32:33], v[8:9] op_sel_hi:[1,0,1]
	v_pk_fma_f32 v[0:1], v[52:53], v[32:33], v[0:1] op_sel_hi:[1,0,1]
	s_delay_alu instid0(VALU_DEP_2) | instskip(NEXT) | instid1(VALU_DEP_2)
	v_pk_fma_f32 v[8:9], v[50:51], v[32:33], v[8:9] op_sel:[1,1,0] op_sel_hi:[0,1,1] neg_lo:[1,0,0]
	v_pk_fma_f32 v[0:1], v[52:53], v[32:33], v[0:1] op_sel:[1,1,0] op_sel_hi:[0,1,1] neg_lo:[1,0,0]
	s_delay_alu instid0(VALU_DEP_2) | instskip(NEXT) | instid1(VALU_DEP_2)
	v_pk_fma_f32 v[8:9], v[54:55], v[34:35], v[8:9] op_sel_hi:[1,0,1]
	v_pk_fma_f32 v[0:1], v[56:57], v[34:35], v[0:1] op_sel_hi:[1,0,1]
	s_delay_alu instid0(VALU_DEP_2) | instskip(NEXT) | instid1(VALU_DEP_2)
	v_pk_fma_f32 v[8:9], v[54:55], v[10:11], v[8:9] op_sel:[1,0,0] op_sel_hi:[0,0,1] neg_lo:[1,0,0]
	v_pk_fma_f32 v[0:1], v[56:57], v[10:11], v[0:1] op_sel:[1,0,0] op_sel_hi:[0,0,1] neg_lo:[1,0,0]
	s_wait_loadcnt 0xb
	s_delay_alu instid0(VALU_DEP_2) | instskip(NEXT) | instid1(VALU_DEP_2)
	v_pk_fma_f32 v[8:9], v[58:59], v[36:37], v[8:9] op_sel_hi:[1,0,1]
	v_pk_fma_f32 v[0:1], v[60:61], v[36:37], v[0:1] op_sel_hi:[1,0,1]
	v_mov_b32_e32 v10, v39
	s_delay_alu instid0(VALU_DEP_3) | instskip(NEXT) | instid1(VALU_DEP_3)
	v_pk_fma_f32 v[8:9], v[58:59], v[36:37], v[8:9] op_sel:[1,1,0] op_sel_hi:[0,1,1] neg_lo:[1,0,0]
	v_pk_fma_f32 v[0:1], v[60:61], v[36:37], v[0:1] op_sel:[1,1,0] op_sel_hi:[0,1,1] neg_lo:[1,0,0]
	s_delay_alu instid0(VALU_DEP_2) | instskip(NEXT) | instid1(VALU_DEP_2)
	v_pk_fma_f32 v[8:9], v[62:63], v[38:39], v[8:9] op_sel_hi:[1,0,1]
	v_pk_fma_f32 v[0:1], v[64:65], v[38:39], v[0:1] op_sel_hi:[1,0,1]
	s_delay_alu instid0(VALU_DEP_2) | instskip(NEXT) | instid1(VALU_DEP_2)
	v_pk_fma_f32 v[8:9], v[62:63], v[10:11], v[8:9] op_sel:[1,0,0] op_sel_hi:[0,0,1] neg_lo:[1,0,0]
	v_pk_fma_f32 v[0:1], v[64:65], v[10:11], v[0:1] op_sel:[1,0,0] op_sel_hi:[0,0,1] neg_lo:[1,0,0]
	s_wait_loadcnt 0xa
	v_mov_b32_e32 v10, v23
	s_delay_alu instid0(VALU_DEP_3) | instskip(NEXT) | instid1(VALU_DEP_3)
	v_pk_fma_f32 v[8:9], v[66:67], v[20:21], v[8:9] op_sel_hi:[1,0,1]
	v_pk_fma_f32 v[0:1], v[68:69], v[20:21], v[0:1] op_sel_hi:[1,0,1]
	s_delay_alu instid0(VALU_DEP_2) | instskip(NEXT) | instid1(VALU_DEP_2)
	v_pk_fma_f32 v[8:9], v[66:67], v[20:21], v[8:9] op_sel:[1,1,0] op_sel_hi:[0,1,1] neg_lo:[1,0,0]
	v_pk_fma_f32 v[0:1], v[68:69], v[20:21], v[0:1] op_sel:[1,1,0] op_sel_hi:[0,1,1] neg_lo:[1,0,0]
	s_delay_alu instid0(VALU_DEP_2) | instskip(NEXT) | instid1(VALU_DEP_2)
	v_pk_fma_f32 v[8:9], v[70:71], v[22:23], v[8:9] op_sel_hi:[1,0,1]
	v_pk_fma_f32 v[0:1], v[72:73], v[22:23], v[0:1] op_sel_hi:[1,0,1]
	s_delay_alu instid0(VALU_DEP_2) | instskip(NEXT) | instid1(VALU_DEP_2)
	v_pk_fma_f32 v[8:9], v[70:71], v[10:11], v[8:9] op_sel:[1,0,0] op_sel_hi:[0,0,1] neg_lo:[1,0,0]
	v_pk_fma_f32 v[0:1], v[72:73], v[10:11], v[0:1] op_sel:[1,0,0] op_sel_hi:[0,0,1] neg_lo:[1,0,0]
	s_wait_loadcnt 0x5
	v_mov_b32_e32 v10, v27
	s_delay_alu instid0(VALU_DEP_3) | instskip(NEXT) | instid1(VALU_DEP_3)
	v_pk_fma_f32 v[8:9], v[46:47], v[24:25], v[8:9] op_sel_hi:[1,0,1]
	v_pk_fma_f32 v[0:1], v[76:77], v[24:25], v[0:1] op_sel_hi:[1,0,1]
	s_delay_alu instid0(VALU_DEP_2) | instskip(NEXT) | instid1(VALU_DEP_2)
	;; [unrolled: 14-line block ×3, first 2 shown]
	v_pk_fma_f32 v[8:9], v[74:75], v[16:17], v[8:9] op_sel:[1,1,0] op_sel_hi:[0,1,1] neg_lo:[1,0,0]
	v_pk_fma_f32 v[0:1], v[82:83], v[16:17], v[0:1] op_sel:[1,1,0] op_sel_hi:[0,1,1] neg_lo:[1,0,0]
	s_wait_loadcnt 0x1
	s_delay_alu instid0(VALU_DEP_2) | instskip(SKIP_1) | instid1(VALU_DEP_2)
	v_pk_fma_f32 v[8:9], v[28:29], v[18:19], v[8:9] op_sel_hi:[1,0,1]
	s_wait_loadcnt 0x0
	v_pk_fma_f32 v[0:1], v[30:31], v[18:19], v[0:1] op_sel_hi:[1,0,1]
	s_delay_alu instid0(VALU_DEP_2) | instskip(NEXT) | instid1(VALU_DEP_2)
	v_pk_fma_f32 v[8:9], v[28:29], v[10:11], v[8:9] op_sel:[1,0,0] op_sel_hi:[0,0,1] neg_lo:[1,0,0]
	v_pk_fma_f32 v[0:1], v[30:31], v[10:11], v[0:1] op_sel:[1,0,0] op_sel_hi:[0,0,1] neg_lo:[1,0,0]
	s_and_not1_b32 exec_lo, exec_lo, s2
	s_cbranch_execnz .LBB214_11
; %bb.12:
	s_or_b32 exec_lo, exec_lo, s2
.LBB214_13:
	s_delay_alu instid0(SALU_CYCLE_1)
	s_or_b32 exec_lo, exec_lo, s3
.LBB214_14:
	v_mbcnt_lo_u32_b32 v10, -1, 0
	s_delay_alu instid0(VALU_DEP_1) | instskip(SKIP_1) | instid1(VALU_DEP_1)
	v_xor_b32_e32 v15, 4, v10
	v_xor_b32_e32 v11, 8, v10
	v_cmp_gt_i32_e32 vcc_lo, 32, v11
	v_cndmask_b32_e32 v11, v10, v11, vcc_lo
	s_delay_alu instid0(VALU_DEP_1)
	v_lshlrev_b32_e32 v11, 2, v11
	ds_bpermute_b32 v13, v11, v9
	s_wait_dscnt 0x0
	v_add_f32_e32 v9, v9, v13
	ds_bpermute_b32 v12, v11, v8
	ds_bpermute_b32 v14, v11, v0
	;; [unrolled: 1-line block ×3, first 2 shown]
	s_wait_dscnt 0x2
	v_add_f32_e32 v8, v8, v12
	s_wait_dscnt 0x0
	v_dual_add_f32 v0, v0, v14 :: v_dual_add_f32 v1, v1, v11
	v_cmp_gt_i32_e32 vcc_lo, 32, v15
	v_cndmask_b32_e32 v15, v10, v15, vcc_lo
	s_delay_alu instid0(VALU_DEP_1)
	v_lshlrev_b32_e32 v15, 2, v15
	ds_bpermute_b32 v11, v15, v8
	ds_bpermute_b32 v12, v15, v9
	;; [unrolled: 1-line block ×4, first 2 shown]
	s_wait_dscnt 0x3
	v_dual_add_f32 v8, v8, v11 :: v_dual_bitop2_b32 v15, 2, v10 bitop3:0x14
	s_delay_alu instid0(VALU_DEP_1)
	v_cmp_gt_i32_e32 vcc_lo, 32, v15
	s_wait_dscnt 0x2
	v_add_f32_e32 v9, v9, v12
	s_wait_dscnt 0x0
	v_dual_add_f32 v12, v1, v14 :: v_dual_add_f32 v11, v0, v13
	v_cndmask_b32_e32 v15, v10, v15, vcc_lo
	s_delay_alu instid0(VALU_DEP_1)
	v_lshlrev_b32_e32 v15, 2, v15
	ds_bpermute_b32 v0, v15, v8
	ds_bpermute_b32 v1, v15, v9
	;; [unrolled: 1-line block ×4, first 2 shown]
	s_wait_dscnt 0x3
	v_dual_add_f32 v0, v8, v0 :: v_dual_bitop2_b32 v15, 1, v10 bitop3:0x14
	s_delay_alu instid0(VALU_DEP_1)
	v_cmp_gt_i32_e32 vcc_lo, 32, v15
	s_wait_dscnt 0x2
	v_dual_add_f32 v8, v9, v1 :: v_dual_cndmask_b32 v10, v10, v15, vcc_lo
	s_wait_dscnt 0x0
	v_dual_add_f32 v1, v11, v13 :: v_dual_add_f32 v9, v12, v14
	v_cmp_eq_u32_e32 vcc_lo, 15, v7
	s_delay_alu instid0(VALU_DEP_3)
	v_lshlrev_b32_e32 v15, 2, v10
	ds_bpermute_b32 v12, v15, v0
	ds_bpermute_b32 v13, v15, v8
	ds_bpermute_b32 v10, v15, v1
	ds_bpermute_b32 v11, v15, v9
	s_and_b32 exec_lo, exec_lo, vcc_lo
	s_cbranch_execz .LBB214_19
; %bb.15:
	s_load_b64 s[2:3], s[0:1], 0x38
	v_cmp_eq_f32_e32 vcc_lo, 0, v4
	s_wait_xcnt 0x0
	v_cmp_eq_f32_e64 s0, 0, v5
	s_wait_dscnt 0x3
	v_add_f32_e32 v0, v0, v12
	s_wait_dscnt 0x1
	v_dual_add_f32 v12, v8, v13 :: v_dual_add_f32 v8, v1, v10
	s_wait_dscnt 0x0
	v_add_f32_e32 v10, v9, v11
	s_and_b32 s0, vcc_lo, s0
	s_delay_alu instid0(SALU_CYCLE_1) | instskip(NEXT) | instid1(SALU_CYCLE_1)
	s_and_saveexec_b32 s1, s0
	s_xor_b32 s0, exec_lo, s1
	s_cbranch_execz .LBB214_17
; %bb.16:
	v_xor_b32_e32 v4, 0x80000000, v3
	v_dual_mov_b32 v5, v2 :: v_dual_lshlrev_b32 v6, 1, v6
	s_delay_alu instid0(VALU_DEP_1) | instskip(NEXT) | instid1(VALU_DEP_2)
	v_ashrrev_i32_e32 v7, 31, v6
	v_pk_mul_f32 v[12:13], v[12:13], v[4:5] op_sel_hi:[0,1]
	v_pk_mul_f32 v[4:5], v[10:11], v[4:5] op_sel_hi:[0,1]
                                        ; implicit-def: $vgpr10
	s_wait_kmcnt 0x0
	s_delay_alu instid0(VALU_DEP_3) | instskip(NEXT) | instid1(VALU_DEP_3)
	v_lshl_add_u64 v[6:7], v[6:7], 3, s[2:3]
	v_pk_fma_f32 v[0:1], v[2:3], v[0:1], v[12:13] op_sel_hi:[1,0,1]
	s_delay_alu instid0(VALU_DEP_3)
	v_pk_fma_f32 v[2:3], v[2:3], v[8:9], v[4:5] op_sel_hi:[1,0,1]
                                        ; implicit-def: $vgpr4_vgpr5
                                        ; implicit-def: $vgpr12
                                        ; implicit-def: $vgpr8
	global_store_b128 v[6:7], v[0:3], off
                                        ; implicit-def: $vgpr6
                                        ; implicit-def: $vgpr2_vgpr3
                                        ; implicit-def: $vgpr0
.LBB214_17:
	s_wait_xcnt 0x0
	s_and_not1_saveexec_b32 s0, s0
	s_cbranch_execz .LBB214_19
; %bb.18:
	v_dual_mov_b32 v19, v2 :: v_dual_lshlrev_b32 v6, 1, v6
	v_xor_b32_e32 v18, 0x80000000, v3
	s_delay_alu instid0(VALU_DEP_2) | instskip(NEXT) | instid1(VALU_DEP_2)
	v_ashrrev_i32_e32 v7, 31, v6
	v_pk_mul_f32 v[12:13], v[12:13], v[18:19] op_sel_hi:[0,1]
	v_pk_mul_f32 v[10:11], v[10:11], v[18:19] op_sel_hi:[0,1]
	s_delay_alu instid0(VALU_DEP_2) | instskip(NEXT) | instid1(VALU_DEP_2)
	v_pk_fma_f32 v[0:1], v[2:3], v[0:1], v[12:13] op_sel_hi:[1,0,1]
	v_pk_fma_f32 v[2:3], v[2:3], v[8:9], v[10:11] op_sel_hi:[1,0,1]
	v_mov_b32_e32 v9, v4
	s_wait_kmcnt 0x0
	v_lshl_add_u64 v[6:7], v[6:7], 3, s[2:3]
	v_xor_b32_e32 v8, 0x80000000, v5
	global_load_b128 v[14:17], v[6:7], off
	s_wait_loadcnt 0x0
	v_pk_fma_f32 v[0:1], v[4:5], v[14:15], v[0:1] op_sel_hi:[1,0,1]
	v_pk_fma_f32 v[2:3], v[4:5], v[16:17], v[2:3] op_sel_hi:[1,0,1]
	v_mov_b32_e32 v4, v17
	s_delay_alu instid0(VALU_DEP_3) | instskip(NEXT) | instid1(VALU_DEP_2)
	v_pk_fma_f32 v[0:1], v[8:9], v[14:15], v[0:1] op_sel:[0,1,0]
	v_pk_fma_f32 v[2:3], v[8:9], v[4:5], v[2:3] op_sel_hi:[1,0,1]
	global_store_b128 v[6:7], v[0:3], off
.LBB214_19:
	s_sendmsg sendmsg(MSG_DEALLOC_VGPRS)
	s_endpgm
	.section	.rodata,"a",@progbits
	.p2align	6, 0x0
	.amdhsa_kernel _ZN9rocsparseL19gebsrmvn_2xn_kernelILj128ELj14ELj16E21rocsparse_complex_numIfEEEvi20rocsparse_direction_NS_24const_host_device_scalarIT2_EEPKiS8_PKS5_SA_S6_PS5_21rocsparse_index_base_b
		.amdhsa_group_segment_fixed_size 0
		.amdhsa_private_segment_fixed_size 0
		.amdhsa_kernarg_size 72
		.amdhsa_user_sgpr_count 2
		.amdhsa_user_sgpr_dispatch_ptr 0
		.amdhsa_user_sgpr_queue_ptr 0
		.amdhsa_user_sgpr_kernarg_segment_ptr 1
		.amdhsa_user_sgpr_dispatch_id 0
		.amdhsa_user_sgpr_kernarg_preload_length 0
		.amdhsa_user_sgpr_kernarg_preload_offset 0
		.amdhsa_user_sgpr_private_segment_size 0
		.amdhsa_wavefront_size32 1
		.amdhsa_uses_dynamic_stack 0
		.amdhsa_enable_private_segment 0
		.amdhsa_system_sgpr_workgroup_id_x 1
		.amdhsa_system_sgpr_workgroup_id_y 0
		.amdhsa_system_sgpr_workgroup_id_z 0
		.amdhsa_system_sgpr_workgroup_info 0
		.amdhsa_system_vgpr_workitem_id 0
		.amdhsa_next_free_vgpr 100
		.amdhsa_next_free_sgpr 14
		.amdhsa_named_barrier_count 0
		.amdhsa_reserve_vcc 1
		.amdhsa_float_round_mode_32 0
		.amdhsa_float_round_mode_16_64 0
		.amdhsa_float_denorm_mode_32 3
		.amdhsa_float_denorm_mode_16_64 3
		.amdhsa_fp16_overflow 0
		.amdhsa_memory_ordered 1
		.amdhsa_forward_progress 1
		.amdhsa_inst_pref_size 31
		.amdhsa_round_robin_scheduling 0
		.amdhsa_exception_fp_ieee_invalid_op 0
		.amdhsa_exception_fp_denorm_src 0
		.amdhsa_exception_fp_ieee_div_zero 0
		.amdhsa_exception_fp_ieee_overflow 0
		.amdhsa_exception_fp_ieee_underflow 0
		.amdhsa_exception_fp_ieee_inexact 0
		.amdhsa_exception_int_div_zero 0
	.end_amdhsa_kernel
	.section	.text._ZN9rocsparseL19gebsrmvn_2xn_kernelILj128ELj14ELj16E21rocsparse_complex_numIfEEEvi20rocsparse_direction_NS_24const_host_device_scalarIT2_EEPKiS8_PKS5_SA_S6_PS5_21rocsparse_index_base_b,"axG",@progbits,_ZN9rocsparseL19gebsrmvn_2xn_kernelILj128ELj14ELj16E21rocsparse_complex_numIfEEEvi20rocsparse_direction_NS_24const_host_device_scalarIT2_EEPKiS8_PKS5_SA_S6_PS5_21rocsparse_index_base_b,comdat
.Lfunc_end214:
	.size	_ZN9rocsparseL19gebsrmvn_2xn_kernelILj128ELj14ELj16E21rocsparse_complex_numIfEEEvi20rocsparse_direction_NS_24const_host_device_scalarIT2_EEPKiS8_PKS5_SA_S6_PS5_21rocsparse_index_base_b, .Lfunc_end214-_ZN9rocsparseL19gebsrmvn_2xn_kernelILj128ELj14ELj16E21rocsparse_complex_numIfEEEvi20rocsparse_direction_NS_24const_host_device_scalarIT2_EEPKiS8_PKS5_SA_S6_PS5_21rocsparse_index_base_b
                                        ; -- End function
	.set _ZN9rocsparseL19gebsrmvn_2xn_kernelILj128ELj14ELj16E21rocsparse_complex_numIfEEEvi20rocsparse_direction_NS_24const_host_device_scalarIT2_EEPKiS8_PKS5_SA_S6_PS5_21rocsparse_index_base_b.num_vgpr, 100
	.set _ZN9rocsparseL19gebsrmvn_2xn_kernelILj128ELj14ELj16E21rocsparse_complex_numIfEEEvi20rocsparse_direction_NS_24const_host_device_scalarIT2_EEPKiS8_PKS5_SA_S6_PS5_21rocsparse_index_base_b.num_agpr, 0
	.set _ZN9rocsparseL19gebsrmvn_2xn_kernelILj128ELj14ELj16E21rocsparse_complex_numIfEEEvi20rocsparse_direction_NS_24const_host_device_scalarIT2_EEPKiS8_PKS5_SA_S6_PS5_21rocsparse_index_base_b.numbered_sgpr, 14
	.set _ZN9rocsparseL19gebsrmvn_2xn_kernelILj128ELj14ELj16E21rocsparse_complex_numIfEEEvi20rocsparse_direction_NS_24const_host_device_scalarIT2_EEPKiS8_PKS5_SA_S6_PS5_21rocsparse_index_base_b.num_named_barrier, 0
	.set _ZN9rocsparseL19gebsrmvn_2xn_kernelILj128ELj14ELj16E21rocsparse_complex_numIfEEEvi20rocsparse_direction_NS_24const_host_device_scalarIT2_EEPKiS8_PKS5_SA_S6_PS5_21rocsparse_index_base_b.private_seg_size, 0
	.set _ZN9rocsparseL19gebsrmvn_2xn_kernelILj128ELj14ELj16E21rocsparse_complex_numIfEEEvi20rocsparse_direction_NS_24const_host_device_scalarIT2_EEPKiS8_PKS5_SA_S6_PS5_21rocsparse_index_base_b.uses_vcc, 1
	.set _ZN9rocsparseL19gebsrmvn_2xn_kernelILj128ELj14ELj16E21rocsparse_complex_numIfEEEvi20rocsparse_direction_NS_24const_host_device_scalarIT2_EEPKiS8_PKS5_SA_S6_PS5_21rocsparse_index_base_b.uses_flat_scratch, 1
	.set _ZN9rocsparseL19gebsrmvn_2xn_kernelILj128ELj14ELj16E21rocsparse_complex_numIfEEEvi20rocsparse_direction_NS_24const_host_device_scalarIT2_EEPKiS8_PKS5_SA_S6_PS5_21rocsparse_index_base_b.has_dyn_sized_stack, 0
	.set _ZN9rocsparseL19gebsrmvn_2xn_kernelILj128ELj14ELj16E21rocsparse_complex_numIfEEEvi20rocsparse_direction_NS_24const_host_device_scalarIT2_EEPKiS8_PKS5_SA_S6_PS5_21rocsparse_index_base_b.has_recursion, 0
	.set _ZN9rocsparseL19gebsrmvn_2xn_kernelILj128ELj14ELj16E21rocsparse_complex_numIfEEEvi20rocsparse_direction_NS_24const_host_device_scalarIT2_EEPKiS8_PKS5_SA_S6_PS5_21rocsparse_index_base_b.has_indirect_call, 0
	.section	.AMDGPU.csdata,"",@progbits
; Kernel info:
; codeLenInByte = 3904
; TotalNumSgprs: 16
; NumVgprs: 100
; ScratchSize: 0
; MemoryBound: 0
; FloatMode: 240
; IeeeMode: 1
; LDSByteSize: 0 bytes/workgroup (compile time only)
; SGPRBlocks: 0
; VGPRBlocks: 6
; NumSGPRsForWavesPerEU: 16
; NumVGPRsForWavesPerEU: 100
; NamedBarCnt: 0
; Occupancy: 9
; WaveLimiterHint : 1
; COMPUTE_PGM_RSRC2:SCRATCH_EN: 0
; COMPUTE_PGM_RSRC2:USER_SGPR: 2
; COMPUTE_PGM_RSRC2:TRAP_HANDLER: 0
; COMPUTE_PGM_RSRC2:TGID_X_EN: 1
; COMPUTE_PGM_RSRC2:TGID_Y_EN: 0
; COMPUTE_PGM_RSRC2:TGID_Z_EN: 0
; COMPUTE_PGM_RSRC2:TIDIG_COMP_CNT: 0
	.section	.text._ZN9rocsparseL19gebsrmvn_2xn_kernelILj128ELj14ELj32E21rocsparse_complex_numIfEEEvi20rocsparse_direction_NS_24const_host_device_scalarIT2_EEPKiS8_PKS5_SA_S6_PS5_21rocsparse_index_base_b,"axG",@progbits,_ZN9rocsparseL19gebsrmvn_2xn_kernelILj128ELj14ELj32E21rocsparse_complex_numIfEEEvi20rocsparse_direction_NS_24const_host_device_scalarIT2_EEPKiS8_PKS5_SA_S6_PS5_21rocsparse_index_base_b,comdat
	.globl	_ZN9rocsparseL19gebsrmvn_2xn_kernelILj128ELj14ELj32E21rocsparse_complex_numIfEEEvi20rocsparse_direction_NS_24const_host_device_scalarIT2_EEPKiS8_PKS5_SA_S6_PS5_21rocsparse_index_base_b ; -- Begin function _ZN9rocsparseL19gebsrmvn_2xn_kernelILj128ELj14ELj32E21rocsparse_complex_numIfEEEvi20rocsparse_direction_NS_24const_host_device_scalarIT2_EEPKiS8_PKS5_SA_S6_PS5_21rocsparse_index_base_b
	.p2align	8
	.type	_ZN9rocsparseL19gebsrmvn_2xn_kernelILj128ELj14ELj32E21rocsparse_complex_numIfEEEvi20rocsparse_direction_NS_24const_host_device_scalarIT2_EEPKiS8_PKS5_SA_S6_PS5_21rocsparse_index_base_b,@function
_ZN9rocsparseL19gebsrmvn_2xn_kernelILj128ELj14ELj32E21rocsparse_complex_numIfEEEvi20rocsparse_direction_NS_24const_host_device_scalarIT2_EEPKiS8_PKS5_SA_S6_PS5_21rocsparse_index_base_b: ; @_ZN9rocsparseL19gebsrmvn_2xn_kernelILj128ELj14ELj32E21rocsparse_complex_numIfEEEvi20rocsparse_direction_NS_24const_host_device_scalarIT2_EEPKiS8_PKS5_SA_S6_PS5_21rocsparse_index_base_b
; %bb.0:
	s_clause 0x2
	s_load_b64 s[12:13], s[0:1], 0x40
	s_load_b64 s[2:3], s[0:1], 0x8
	;; [unrolled: 1-line block ×3, first 2 shown]
	v_mov_b32_e32 v1, 0
	s_add_nc_u64 s[6:7], s[0:1], 8
	s_add_nc_u64 s[8:9], s[0:1], 48
	s_wait_kmcnt 0x0
	s_bitcmp1_b32 s13, 0
	s_cselect_b32 s3, s7, s3
	s_cselect_b32 s2, s6, s2
	;; [unrolled: 1-line block ×4, first 2 shown]
	s_clause 0x1
	flat_load_b64 v[2:3], v1, s[2:3]
	flat_load_b64 v[4:5], v1, s[4:5]
	s_wait_loadcnt_dscnt 0x101
	v_cmp_eq_f32_e32 vcc_lo, 0, v2
	v_cmp_eq_f32_e64 s2, 0, v3
	s_wait_loadcnt_dscnt 0x0
	v_cmp_eq_f32_e64 s3, 1.0, v4
	v_cmp_eq_f32_e64 s4, 0, v5
	s_and_b32 s2, vcc_lo, s2
	s_and_b32 s3, s3, s4
	s_delay_alu instid0(SALU_CYCLE_1) | instskip(NEXT) | instid1(SALU_CYCLE_1)
	s_and_b32 s2, s2, s3
	s_xor_b32 s2, s2, -1
	s_delay_alu instid0(SALU_CYCLE_1)
	s_and_saveexec_b32 s3, s2
	s_cbranch_execz .LBB215_19
; %bb.1:
	s_load_b64 s[2:3], s[0:1], 0x0
	s_bfe_u32 s4, ttmp6, 0x4000c
	s_and_b32 s5, ttmp6, 15
	s_add_co_i32 s4, s4, 1
	s_getreg_b32 s6, hwreg(HW_REG_IB_STS2, 6, 4)
	s_mul_i32 s4, ttmp9, s4
	v_lshrrev_b32_e32 v1, 5, v0
	s_add_co_i32 s5, s5, s4
	s_cmp_eq_u32 s6, 0
	s_cselect_b32 s4, ttmp9, s5
	s_delay_alu instid0(VALU_DEP_1) | instid1(SALU_CYCLE_1)
	v_lshl_or_b32 v6, s4, 2, v1
	s_wait_kmcnt 0x0
	s_delay_alu instid0(VALU_DEP_1)
	v_cmp_gt_i32_e32 vcc_lo, s2, v6
	s_and_b32 exec_lo, exec_lo, vcc_lo
	s_cbranch_execz .LBB215_19
; %bb.2:
	s_load_b256 s[4:11], s[0:1], 0x10
	v_ashrrev_i32_e32 v7, 31, v6
	s_cmp_lg_u32 s3, 0
	s_wait_kmcnt 0x0
	s_delay_alu instid0(VALU_DEP_1)
	v_lshl_add_u64 v[8:9], v[6:7], 2, s[4:5]
	v_and_b32_e32 v7, 31, v0
	global_load_b64 v[8:9], v[8:9], off
	s_wait_loadcnt 0x0
	v_subrev_nc_u32_e32 v0, s12, v8
	v_subrev_nc_u32_e32 v12, s12, v9
	s_delay_alu instid0(VALU_DEP_2) | instskip(NEXT) | instid1(VALU_DEP_1)
	v_add_nc_u32_e32 v13, v0, v7
	v_cmp_lt_i32_e64 s2, v13, v12
	s_cbranch_scc0 .LBB215_8
; %bb.3:
	v_mov_b32_e32 v9, 0
	s_delay_alu instid0(VALU_DEP_1)
	v_dual_mov_b32 v8, v9 :: v_dual_mov_b32 v1, v9
	v_mov_b32_e32 v0, v9
	s_and_saveexec_b32 s3, s2
	s_cbranch_execz .LBB215_7
; %bb.4:
	v_mul_lo_u32 v10, v13, 28
	v_dual_mov_b32 v11, 0 :: v_dual_mov_b32 v14, v13
	s_mov_b32 s4, 0
	s_delay_alu instid0(VALU_DEP_1)
	v_dual_mov_b32 v0, v11 :: v_dual_mov_b32 v1, v11
	v_dual_mov_b32 v8, v11 :: v_dual_mov_b32 v9, v11
.LBB215_5:                              ; =>This Inner Loop Header: Depth=1
	global_load_b32 v15, v14, s[6:7] scale_offset
	v_lshl_add_u64 v[24:25], v[10:11], 3, s[8:9]
	v_dual_mov_b32 v89, v11 :: v_dual_add_nc_u32 v28, 4, v10
	v_dual_mov_b32 v29, v11 :: v_dual_mov_b32 v31, v11
	s_clause 0x1
	global_load_b128 v[16:19], v[24:25], off offset:16
	global_load_b128 v[20:23], v[24:25], off
	v_dual_mov_b32 v53, v11 :: v_dual_mov_b32 v55, v11
	v_lshl_add_u64 v[40:41], v[28:29], 3, s[8:9]
	v_dual_mov_b32 v65, v11 :: v_dual_mov_b32 v67, v11
	v_dual_mov_b32 v77, v11 :: v_dual_mov_b32 v79, v11
	v_dual_add_nc_u32 v64, 16, v10 :: v_dual_add_nc_u32 v76, 20, v10
	v_dual_add_nc_u32 v90, 24, v10 :: v_dual_add_nc_u32 v52, 12, v10
	s_wait_xcnt 0x2
	v_add_nc_u32_e32 v14, 32, v14
	s_delay_alu instid0(VALU_DEP_3) | instskip(SKIP_2) | instid1(VALU_DEP_4)
	v_lshl_add_u64 v[72:73], v[64:65], 3, s[8:9]
	v_lshl_add_u64 v[84:85], v[76:77], 3, s[8:9]
	;; [unrolled: 1-line block ×3, first 2 shown]
	v_cmp_ge_i32_e32 vcc_lo, v14, v12
	s_or_b32 s4, vcc_lo, s4
	s_wait_loadcnt 0x2
	v_subrev_nc_u32_e32 v15, s12, v15
	s_delay_alu instid0(VALU_DEP_1) | instskip(SKIP_4) | instid1(VALU_DEP_4)
	v_mul_lo_u32 v88, v15, 14
	v_mov_b32_e32 v91, v11
	s_wait_loadcnt 0x0
	v_xor_b32_e32 v98, 0x80000000, v23
	v_mov_b32_e32 v99, v22
	v_lshl_add_u64 v[24:25], v[88:89], 3, s[10:11]
	v_dual_add_nc_u32 v30, 2, v88 :: v_dual_add_nc_u32 v54, 6, v88
	v_dual_add_nc_u32 v66, 8, v88 :: v_dual_add_nc_u32 v78, 10, v88
	global_load_b128 v[24:27], v[24:25], off
	v_lshl_add_u64 v[42:43], v[30:31], 3, s[10:11]
	s_clause 0x1
	global_load_b128 v[28:31], v[40:41], off
	global_load_b128 v[32:35], v[40:41], off offset:16
	global_load_b128 v[36:39], v[42:43], off
	s_wait_xcnt 0x1
	v_dual_mov_b32 v41, v11 :: v_dual_add_nc_u32 v40, 8, v10
	s_wait_xcnt 0x0
	v_dual_mov_b32 v43, v11 :: v_dual_add_nc_u32 v42, 4, v88
	v_lshl_add_u64 v[62:63], v[54:55], 3, s[10:11]
	v_lshl_add_u64 v[74:75], v[66:67], 3, s[10:11]
	;; [unrolled: 1-line block ×5, first 2 shown]
	global_load_b128 v[40:43], v[48:49], off
	global_load_b128 v[44:47], v[50:51], off
	s_clause 0x1
	global_load_b128 v[48:51], v[48:49], off offset:16
	global_load_b128 v[52:55], v[60:61], off
	global_load_b128 v[56:59], v[62:63], off
	s_clause 0x1
	global_load_b128 v[60:63], v[60:61], off offset:16
	;; [unrolled: 4-line block ×3, first 2 shown]
	global_load_b128 v[76:79], v[84:85], off
	global_load_b128 v[80:83], v[86:87], off
	global_load_b128 v[84:87], v[84:85], off offset:16
	v_add_nc_u32_e32 v88, 12, v88
	v_lshl_add_u64 v[96:97], v[90:91], 3, s[8:9]
	v_add_nc_u32_e32 v10, 0x380, v10
	s_delay_alu instid0(VALU_DEP_3)
	v_lshl_add_u64 v[92:93], v[88:89], 3, s[10:11]
	global_load_b128 v[88:91], v[96:97], off
	global_load_b128 v[92:95], v[92:93], off
	s_wait_loadcnt 0x11
	v_pk_fma_f32 v[8:9], v[20:21], v[24:25], v[8:9] op_sel_hi:[1,0,1]
	v_pk_fma_f32 v[0:1], v[22:23], v[24:25], v[0:1] op_sel_hi:[1,0,1]
	s_delay_alu instid0(VALU_DEP_2)
	v_pk_fma_f32 v[8:9], v[20:21], v[24:25], v[8:9] op_sel:[1,1,0] op_sel_hi:[0,1,1] neg_lo:[1,0,0]
	global_load_b128 v[20:23], v[96:97], off offset:16
	v_pk_fma_f32 v[0:1], v[98:99], v[24:25], v[0:1] op_sel:[0,1,0]
	v_xor_b32_e32 v24, 0x80000000, v19
	s_wait_xcnt 0x0
	v_dual_mov_b32 v25, v18 :: v_dual_mov_b32 v96, v27
	v_pk_fma_f32 v[8:9], v[16:17], v[26:27], v[8:9] op_sel_hi:[1,0,1]
	v_pk_fma_f32 v[0:1], v[18:19], v[26:27], v[0:1] op_sel_hi:[1,0,1]
	s_wait_loadcnt 0xf
	v_mov_b32_e32 v18, v39
	s_delay_alu instid0(VALU_DEP_3) | instskip(SKIP_3) | instid1(VALU_DEP_4)
	v_pk_fma_f32 v[8:9], v[16:17], v[96:97], v[8:9] op_sel:[1,0,0] op_sel_hi:[0,0,1] neg_lo:[1,0,0]
	v_mov_b32_e32 v17, v30
	v_pk_fma_f32 v[0:1], v[24:25], v[96:97], v[0:1] op_sel_hi:[1,0,1]
	v_xor_b32_e32 v16, 0x80000000, v31
	v_pk_fma_f32 v[8:9], v[28:29], v[36:37], v[8:9] op_sel_hi:[1,0,1]
	s_delay_alu instid0(VALU_DEP_3) | instskip(NEXT) | instid1(VALU_DEP_2)
	v_pk_fma_f32 v[0:1], v[30:31], v[36:37], v[0:1] op_sel_hi:[1,0,1]
	v_pk_fma_f32 v[8:9], v[28:29], v[36:37], v[8:9] op_sel:[1,1,0] op_sel_hi:[0,1,1] neg_lo:[1,0,0]
	s_delay_alu instid0(VALU_DEP_2) | instskip(SKIP_2) | instid1(VALU_DEP_4)
	v_pk_fma_f32 v[0:1], v[16:17], v[36:37], v[0:1] op_sel:[0,1,0]
	v_xor_b32_e32 v16, 0x80000000, v35
	v_mov_b32_e32 v17, v34
	v_pk_fma_f32 v[8:9], v[32:33], v[38:39], v[8:9] op_sel_hi:[1,0,1]
	s_delay_alu instid0(VALU_DEP_4) | instskip(NEXT) | instid1(VALU_DEP_2)
	v_pk_fma_f32 v[0:1], v[34:35], v[38:39], v[0:1] op_sel_hi:[1,0,1]
	v_pk_fma_f32 v[8:9], v[32:33], v[18:19], v[8:9] op_sel:[1,0,0] op_sel_hi:[0,0,1] neg_lo:[1,0,0]
	s_delay_alu instid0(VALU_DEP_2)
	v_pk_fma_f32 v[0:1], v[16:17], v[18:19], v[0:1] op_sel_hi:[1,0,1]
	s_wait_loadcnt 0xe
	v_xor_b32_e32 v16, 0x80000000, v43
	s_wait_loadcnt 0xd
	v_dual_mov_b32 v17, v42 :: v_dual_mov_b32 v18, v47
	v_pk_fma_f32 v[8:9], v[40:41], v[44:45], v[8:9] op_sel_hi:[1,0,1]
	v_pk_fma_f32 v[0:1], v[42:43], v[44:45], v[0:1] op_sel_hi:[1,0,1]
	s_delay_alu instid0(VALU_DEP_2) | instskip(NEXT) | instid1(VALU_DEP_2)
	v_pk_fma_f32 v[8:9], v[40:41], v[44:45], v[8:9] op_sel:[1,1,0] op_sel_hi:[0,1,1] neg_lo:[1,0,0]
	v_pk_fma_f32 v[0:1], v[16:17], v[44:45], v[0:1] op_sel:[0,1,0]
	s_wait_loadcnt 0xc
	v_xor_b32_e32 v16, 0x80000000, v51
	v_mov_b32_e32 v17, v50
	v_pk_fma_f32 v[8:9], v[48:49], v[46:47], v[8:9] op_sel_hi:[1,0,1]
	v_pk_fma_f32 v[0:1], v[50:51], v[46:47], v[0:1] op_sel_hi:[1,0,1]
	s_delay_alu instid0(VALU_DEP_2) | instskip(NEXT) | instid1(VALU_DEP_2)
	v_pk_fma_f32 v[8:9], v[48:49], v[18:19], v[8:9] op_sel:[1,0,0] op_sel_hi:[0,0,1] neg_lo:[1,0,0]
	v_pk_fma_f32 v[0:1], v[16:17], v[18:19], v[0:1] op_sel_hi:[1,0,1]
	s_wait_loadcnt 0xb
	v_xor_b32_e32 v16, 0x80000000, v55
	s_wait_loadcnt 0xa
	v_dual_mov_b32 v17, v54 :: v_dual_mov_b32 v18, v59
	v_pk_fma_f32 v[8:9], v[52:53], v[56:57], v[8:9] op_sel_hi:[1,0,1]
	v_pk_fma_f32 v[0:1], v[54:55], v[56:57], v[0:1] op_sel_hi:[1,0,1]
	s_delay_alu instid0(VALU_DEP_2) | instskip(NEXT) | instid1(VALU_DEP_2)
	v_pk_fma_f32 v[8:9], v[52:53], v[56:57], v[8:9] op_sel:[1,1,0] op_sel_hi:[0,1,1] neg_lo:[1,0,0]
	v_pk_fma_f32 v[0:1], v[16:17], v[56:57], v[0:1] op_sel:[0,1,0]
	s_wait_loadcnt 0x9
	v_xor_b32_e32 v16, 0x80000000, v63
	v_mov_b32_e32 v17, v62
	v_pk_fma_f32 v[8:9], v[60:61], v[58:59], v[8:9] op_sel_hi:[1,0,1]
	v_pk_fma_f32 v[0:1], v[62:63], v[58:59], v[0:1] op_sel_hi:[1,0,1]
	s_delay_alu instid0(VALU_DEP_2) | instskip(NEXT) | instid1(VALU_DEP_2)
	v_pk_fma_f32 v[8:9], v[60:61], v[18:19], v[8:9] op_sel:[1,0,0] op_sel_hi:[0,0,1] neg_lo:[1,0,0]
	;; [unrolled: 17-line block ×5, first 2 shown]
	v_pk_fma_f32 v[0:1], v[16:17], v[18:19], v[0:1] op_sel_hi:[1,0,1]
	s_and_not1_b32 exec_lo, exec_lo, s4
	s_cbranch_execnz .LBB215_5
; %bb.6:
	s_or_b32 exec_lo, exec_lo, s4
.LBB215_7:
	s_delay_alu instid0(SALU_CYCLE_1)
	s_or_b32 exec_lo, exec_lo, s3
	s_cbranch_execz .LBB215_9
	s_branch .LBB215_14
.LBB215_8:
                                        ; implicit-def: $vgpr9
                                        ; implicit-def: $vgpr1
.LBB215_9:
	v_mov_b32_e32 v9, 0
	s_delay_alu instid0(VALU_DEP_1)
	v_dual_mov_b32 v8, v9 :: v_dual_mov_b32 v1, v9
	v_mov_b32_e32 v0, v9
	s_and_saveexec_b32 s3, s2
	s_cbranch_execz .LBB215_13
; %bb.10:
	v_mad_u32 v14, v13, 28, 27
	v_mov_b32_e32 v11, 0
	s_mov_b32 s2, 0
	s_delay_alu instid0(VALU_DEP_1)
	v_dual_mov_b32 v0, v11 :: v_dual_mov_b32 v1, v11
	v_dual_mov_b32 v8, v11 :: v_dual_mov_b32 v9, v11
.LBB215_11:                             ; =>This Inner Loop Header: Depth=1
	global_load_b32 v15, v13, s[6:7] scale_offset
	v_subrev_nc_u32_e32 v10, 27, v14
	v_dual_mov_b32 v41, v11 :: v_dual_add_nc_u32 v26, -13, v14
	v_dual_add_nc_u32 v27, -12, v14 :: v_dual_add_nc_u32 v28, -11, v14
	s_delay_alu instid0(VALU_DEP_3)
	v_lshl_add_u64 v[24:25], v[10:11], 3, s[8:9]
	v_dual_add_nc_u32 v34, -10, v14 :: v_dual_add_nc_u32 v36, -9, v14
	s_clause 0x4
	global_load_b64 v[42:43], v27, s[8:9] scale_offset
	global_load_b64 v[44:45], v28, s[8:9] scale_offset
	global_load_b128 v[16:19], v[24:25], off offset:16
	global_load_b128 v[20:23], v[24:25], off
	global_load_b64 v[46:47], v26, s[8:9] scale_offset
	v_subrev_nc_u32_e32 v35, 23, v14
	v_subrev_nc_u32_e32 v37, 22, v14
	v_dual_add_nc_u32 v38, -8, v14 :: v_dual_add_nc_u32 v74, -7, v14
	v_subrev_nc_u32_e32 v39, 21, v14
	v_subrev_nc_u32_e32 v75, 20, v14
	v_dual_add_nc_u32 v76, -6, v14 :: v_dual_add_nc_u32 v78, -5, v14
	;; [unrolled: 3-line block ×3, first 2 shown]
	v_subrev_nc_u32_e32 v81, 17, v14
	v_dual_add_nc_u32 v83, -16, v14 :: v_dual_add_nc_u32 v84, -2, v14
	v_dual_add_nc_u32 v85, -15, v14 :: v_dual_add_nc_u32 v86, -1, v14
	s_wait_xcnt 0x5
	v_add_nc_u32_e32 v13, 32, v13
	s_delay_alu instid0(VALU_DEP_1) | instskip(SKIP_3) | instid1(VALU_DEP_1)
	v_cmp_ge_i32_e32 vcc_lo, v13, v12
	s_or_b32 s2, vcc_lo, s2
	s_wait_loadcnt 0x5
	v_subrev_nc_u32_e32 v10, s12, v15
	v_mul_lo_u32 v40, v10, 14
	s_delay_alu instid0(VALU_DEP_1) | instskip(SKIP_2) | instid1(VALU_DEP_2)
	v_dual_add_nc_u32 v87, -14, v14 :: v_dual_add_nc_u32 v10, 2, v40
	s_wait_xcnt 0x1
	v_lshl_add_u64 v[24:25], v[40:41], 3, s[10:11]
	v_lshl_add_u64 v[32:33], v[10:11], 3, s[10:11]
	s_clause 0x1
	global_load_b128 v[24:27], v[24:25], off
	global_load_b128 v[28:31], v[32:33], off
	s_clause 0x1
	global_load_b64 v[48:49], v34, s[8:9] scale_offset
	global_load_b64 v[50:51], v35, s[8:9] scale_offset
	v_add_nc_u32_e32 v10, 4, v40
	s_clause 0x2
	global_load_b64 v[52:53], v36, s[8:9] scale_offset
	global_load_b64 v[54:55], v37, s[8:9] scale_offset
	;; [unrolled: 1-line block ×3, first 2 shown]
	s_wait_xcnt 0x1
	v_lshl_add_u64 v[36:37], v[10:11], 3, s[10:11]
	s_clause 0x2
	global_load_b64 v[58:59], v39, s[8:9] scale_offset
	global_load_b64 v[60:61], v74, s[8:9] scale_offset
	;; [unrolled: 1-line block ×3, first 2 shown]
	global_load_b128 v[32:35], v[36:37], off
	s_clause 0x4
	global_load_b64 v[64:65], v76, s[8:9] scale_offset
	global_load_b64 v[66:67], v77, s[8:9] scale_offset
	;; [unrolled: 1-line block ×5, first 2 shown]
	v_add_nc_u32_e32 v10, 6, v40
	s_wait_loadcnt 0x11
	s_wait_xcnt 0x7
	v_xor_b32_e32 v74, 0x80000000, v23
	s_wait_xcnt 0x6
	v_mov_b32_e32 v75, v22
	s_wait_loadcnt 0xf
	v_pk_fma_f32 v[8:9], v[20:21], v[24:25], v[8:9] op_sel_hi:[1,0,1]
	v_pk_fma_f32 v[0:1], v[46:47], v[24:25], v[0:1] op_sel_hi:[1,0,1]
	s_delay_alu instid0(VALU_DEP_2) | instskip(NEXT) | instid1(VALU_DEP_2)
	v_pk_fma_f32 v[8:9], v[20:21], v[24:25], v[8:9] op_sel:[1,1,0] op_sel_hi:[0,1,1] neg_lo:[1,0,0]
	v_pk_fma_f32 v[0:1], v[46:47], v[24:25], v[0:1] op_sel:[1,1,0] op_sel_hi:[0,1,1] neg_lo:[1,0,0]
	v_mov_b32_e32 v24, v27
	s_wait_xcnt 0x5
	v_lshl_add_u64 v[36:37], v[10:11], 3, s[10:11]
	v_add_nc_u32_e32 v10, 8, v40
	v_pk_fma_f32 v[8:9], v[22:23], v[26:27], v[8:9] op_sel_hi:[1,0,1]
	v_pk_fma_f32 v[0:1], v[42:43], v[26:27], v[0:1] op_sel_hi:[1,0,1]
	global_load_b128 v[36:39], v[36:37], off
	v_pk_fma_f32 v[8:9], v[74:75], v[24:25], v[8:9] op_sel_hi:[1,0,1]
	v_pk_fma_f32 v[0:1], v[42:43], v[24:25], v[0:1] op_sel:[1,0,0] op_sel_hi:[0,0,1] neg_lo:[1,0,0]
	v_mov_b32_e32 v43, v18
	v_lshl_add_u64 v[20:21], v[10:11], 3, s[10:11]
	v_add_nc_u32_e32 v10, 10, v40
	s_wait_loadcnt 0xf
	v_pk_fma_f32 v[8:9], v[16:17], v[28:29], v[8:9] op_sel_hi:[1,0,1]
	v_xor_b32_e32 v42, 0x80000000, v19
	v_pk_fma_f32 v[0:1], v[44:45], v[28:29], v[0:1] op_sel_hi:[1,0,1]
	global_load_b128 v[20:23], v[20:21], off
	v_lshl_add_u64 v[24:25], v[10:11], 3, s[10:11]
	s_clause 0x3
	global_load_b64 v[46:47], v81, s[8:9] scale_offset
	global_load_b64 v[76:77], v82, s[8:9] scale_offset
	;; [unrolled: 1-line block ×4, first 2 shown]
	v_add_nc_u32_e32 v10, 12, v40
	v_pk_fma_f32 v[8:9], v[16:17], v[28:29], v[8:9] op_sel:[1,1,0] op_sel_hi:[0,1,1] neg_lo:[1,0,0]
	global_load_b128 v[24:27], v[24:25], off
	global_load_b64 v[74:75], v85, s[8:9] scale_offset
	v_pk_fma_f32 v[0:1], v[44:45], v[28:29], v[0:1] op_sel:[1,1,0] op_sel_hi:[0,1,1] neg_lo:[1,0,0]
	v_lshl_add_u64 v[40:41], v[10:11], 3, s[10:11]
	v_pk_fma_f32 v[8:9], v[18:19], v[30:31], v[8:9] op_sel_hi:[1,0,1]
	global_load_b64 v[82:83], v86, s[8:9] scale_offset
	global_load_b128 v[16:19], v[40:41], off
	global_load_b64 v[28:29], v87, s[8:9] scale_offset
	s_wait_loadcnt 0x18
	v_pk_fma_f32 v[0:1], v[48:49], v[30:31], v[0:1] op_sel_hi:[1,0,1]
	v_mov_b32_e32 v10, v31
	global_load_b64 v[30:31], v14, s[8:9] scale_offset
	s_wait_xcnt 0x0
	v_add_nc_u32_e32 v14, 0x380, v14
	v_pk_fma_f32 v[8:9], v[42:43], v[10:11], v[8:9] op_sel_hi:[1,0,1]
	v_pk_fma_f32 v[0:1], v[48:49], v[10:11], v[0:1] op_sel:[1,0,0] op_sel_hi:[0,0,1] neg_lo:[1,0,0]
	s_wait_loadcnt 0x11
	v_mov_b32_e32 v10, v35
	s_delay_alu instid0(VALU_DEP_3) | instskip(NEXT) | instid1(VALU_DEP_3)
	v_pk_fma_f32 v[8:9], v[50:51], v[32:33], v[8:9] op_sel_hi:[1,0,1]
	v_pk_fma_f32 v[0:1], v[52:53], v[32:33], v[0:1] op_sel_hi:[1,0,1]
	s_delay_alu instid0(VALU_DEP_2) | instskip(NEXT) | instid1(VALU_DEP_2)
	v_pk_fma_f32 v[8:9], v[50:51], v[32:33], v[8:9] op_sel:[1,1,0] op_sel_hi:[0,1,1] neg_lo:[1,0,0]
	v_pk_fma_f32 v[0:1], v[52:53], v[32:33], v[0:1] op_sel:[1,1,0] op_sel_hi:[0,1,1] neg_lo:[1,0,0]
	s_delay_alu instid0(VALU_DEP_2) | instskip(NEXT) | instid1(VALU_DEP_2)
	v_pk_fma_f32 v[8:9], v[54:55], v[34:35], v[8:9] op_sel_hi:[1,0,1]
	v_pk_fma_f32 v[0:1], v[56:57], v[34:35], v[0:1] op_sel_hi:[1,0,1]
	s_delay_alu instid0(VALU_DEP_2) | instskip(NEXT) | instid1(VALU_DEP_2)
	v_pk_fma_f32 v[8:9], v[54:55], v[10:11], v[8:9] op_sel:[1,0,0] op_sel_hi:[0,0,1] neg_lo:[1,0,0]
	v_pk_fma_f32 v[0:1], v[56:57], v[10:11], v[0:1] op_sel:[1,0,0] op_sel_hi:[0,0,1] neg_lo:[1,0,0]
	s_wait_loadcnt 0xb
	s_delay_alu instid0(VALU_DEP_2) | instskip(NEXT) | instid1(VALU_DEP_2)
	v_pk_fma_f32 v[8:9], v[58:59], v[36:37], v[8:9] op_sel_hi:[1,0,1]
	v_pk_fma_f32 v[0:1], v[60:61], v[36:37], v[0:1] op_sel_hi:[1,0,1]
	v_mov_b32_e32 v10, v39
	s_delay_alu instid0(VALU_DEP_3) | instskip(NEXT) | instid1(VALU_DEP_3)
	v_pk_fma_f32 v[8:9], v[58:59], v[36:37], v[8:9] op_sel:[1,1,0] op_sel_hi:[0,1,1] neg_lo:[1,0,0]
	v_pk_fma_f32 v[0:1], v[60:61], v[36:37], v[0:1] op_sel:[1,1,0] op_sel_hi:[0,1,1] neg_lo:[1,0,0]
	s_delay_alu instid0(VALU_DEP_2) | instskip(NEXT) | instid1(VALU_DEP_2)
	v_pk_fma_f32 v[8:9], v[62:63], v[38:39], v[8:9] op_sel_hi:[1,0,1]
	v_pk_fma_f32 v[0:1], v[64:65], v[38:39], v[0:1] op_sel_hi:[1,0,1]
	s_delay_alu instid0(VALU_DEP_2) | instskip(NEXT) | instid1(VALU_DEP_2)
	v_pk_fma_f32 v[8:9], v[62:63], v[10:11], v[8:9] op_sel:[1,0,0] op_sel_hi:[0,0,1] neg_lo:[1,0,0]
	v_pk_fma_f32 v[0:1], v[64:65], v[10:11], v[0:1] op_sel:[1,0,0] op_sel_hi:[0,0,1] neg_lo:[1,0,0]
	s_wait_loadcnt 0xa
	v_mov_b32_e32 v10, v23
	s_delay_alu instid0(VALU_DEP_3) | instskip(NEXT) | instid1(VALU_DEP_3)
	v_pk_fma_f32 v[8:9], v[66:67], v[20:21], v[8:9] op_sel_hi:[1,0,1]
	v_pk_fma_f32 v[0:1], v[68:69], v[20:21], v[0:1] op_sel_hi:[1,0,1]
	s_delay_alu instid0(VALU_DEP_2) | instskip(NEXT) | instid1(VALU_DEP_2)
	v_pk_fma_f32 v[8:9], v[66:67], v[20:21], v[8:9] op_sel:[1,1,0] op_sel_hi:[0,1,1] neg_lo:[1,0,0]
	v_pk_fma_f32 v[0:1], v[68:69], v[20:21], v[0:1] op_sel:[1,1,0] op_sel_hi:[0,1,1] neg_lo:[1,0,0]
	s_delay_alu instid0(VALU_DEP_2) | instskip(NEXT) | instid1(VALU_DEP_2)
	v_pk_fma_f32 v[8:9], v[70:71], v[22:23], v[8:9] op_sel_hi:[1,0,1]
	v_pk_fma_f32 v[0:1], v[72:73], v[22:23], v[0:1] op_sel_hi:[1,0,1]
	s_delay_alu instid0(VALU_DEP_2) | instskip(NEXT) | instid1(VALU_DEP_2)
	v_pk_fma_f32 v[8:9], v[70:71], v[10:11], v[8:9] op_sel:[1,0,0] op_sel_hi:[0,0,1] neg_lo:[1,0,0]
	v_pk_fma_f32 v[0:1], v[72:73], v[10:11], v[0:1] op_sel:[1,0,0] op_sel_hi:[0,0,1] neg_lo:[1,0,0]
	s_wait_loadcnt 0x5
	v_mov_b32_e32 v10, v27
	s_delay_alu instid0(VALU_DEP_3) | instskip(NEXT) | instid1(VALU_DEP_3)
	v_pk_fma_f32 v[8:9], v[46:47], v[24:25], v[8:9] op_sel_hi:[1,0,1]
	v_pk_fma_f32 v[0:1], v[76:77], v[24:25], v[0:1] op_sel_hi:[1,0,1]
	s_delay_alu instid0(VALU_DEP_2) | instskip(NEXT) | instid1(VALU_DEP_2)
	;; [unrolled: 14-line block ×3, first 2 shown]
	v_pk_fma_f32 v[8:9], v[74:75], v[16:17], v[8:9] op_sel:[1,1,0] op_sel_hi:[0,1,1] neg_lo:[1,0,0]
	v_pk_fma_f32 v[0:1], v[82:83], v[16:17], v[0:1] op_sel:[1,1,0] op_sel_hi:[0,1,1] neg_lo:[1,0,0]
	s_wait_loadcnt 0x1
	s_delay_alu instid0(VALU_DEP_2) | instskip(SKIP_1) | instid1(VALU_DEP_2)
	v_pk_fma_f32 v[8:9], v[28:29], v[18:19], v[8:9] op_sel_hi:[1,0,1]
	s_wait_loadcnt 0x0
	v_pk_fma_f32 v[0:1], v[30:31], v[18:19], v[0:1] op_sel_hi:[1,0,1]
	s_delay_alu instid0(VALU_DEP_2) | instskip(NEXT) | instid1(VALU_DEP_2)
	v_pk_fma_f32 v[8:9], v[28:29], v[10:11], v[8:9] op_sel:[1,0,0] op_sel_hi:[0,0,1] neg_lo:[1,0,0]
	v_pk_fma_f32 v[0:1], v[30:31], v[10:11], v[0:1] op_sel:[1,0,0] op_sel_hi:[0,0,1] neg_lo:[1,0,0]
	s_and_not1_b32 exec_lo, exec_lo, s2
	s_cbranch_execnz .LBB215_11
; %bb.12:
	s_or_b32 exec_lo, exec_lo, s2
.LBB215_13:
	s_delay_alu instid0(SALU_CYCLE_1)
	s_or_b32 exec_lo, exec_lo, s3
.LBB215_14:
	v_mbcnt_lo_u32_b32 v10, -1, 0
	s_delay_alu instid0(VALU_DEP_1) | instskip(SKIP_1) | instid1(VALU_DEP_1)
	v_xor_b32_e32 v15, 8, v10
	v_xor_b32_e32 v11, 16, v10
	v_cmp_gt_i32_e32 vcc_lo, 32, v11
	v_cndmask_b32_e32 v11, v10, v11, vcc_lo
	s_delay_alu instid0(VALU_DEP_1)
	v_lshlrev_b32_e32 v11, 2, v11
	ds_bpermute_b32 v13, v11, v9
	s_wait_dscnt 0x0
	v_add_f32_e32 v9, v9, v13
	ds_bpermute_b32 v12, v11, v8
	ds_bpermute_b32 v14, v11, v0
	;; [unrolled: 1-line block ×3, first 2 shown]
	s_wait_dscnt 0x2
	v_add_f32_e32 v8, v8, v12
	s_wait_dscnt 0x0
	v_dual_add_f32 v0, v0, v14 :: v_dual_add_f32 v1, v1, v11
	v_cmp_gt_i32_e32 vcc_lo, 32, v15
	v_cndmask_b32_e32 v15, v10, v15, vcc_lo
	s_delay_alu instid0(VALU_DEP_1)
	v_lshlrev_b32_e32 v15, 2, v15
	ds_bpermute_b32 v11, v15, v8
	ds_bpermute_b32 v12, v15, v9
	;; [unrolled: 1-line block ×4, first 2 shown]
	s_wait_dscnt 0x3
	v_dual_add_f32 v8, v8, v11 :: v_dual_bitop2_b32 v15, 4, v10 bitop3:0x14
	s_delay_alu instid0(VALU_DEP_1)
	v_cmp_gt_i32_e32 vcc_lo, 32, v15
	s_wait_dscnt 0x2
	v_add_f32_e32 v9, v9, v12
	s_wait_dscnt 0x0
	v_dual_add_f32 v1, v1, v14 :: v_dual_add_f32 v0, v0, v13
	v_cndmask_b32_e32 v15, v10, v15, vcc_lo
	s_delay_alu instid0(VALU_DEP_1)
	v_lshlrev_b32_e32 v15, 2, v15
	ds_bpermute_b32 v11, v15, v8
	ds_bpermute_b32 v12, v15, v9
	;; [unrolled: 1-line block ×4, first 2 shown]
	s_wait_dscnt 0x3
	v_dual_add_f32 v8, v8, v11 :: v_dual_bitop2_b32 v15, 2, v10 bitop3:0x14
	s_delay_alu instid0(VALU_DEP_1) | instskip(SKIP_4) | instid1(VALU_DEP_2)
	v_cmp_gt_i32_e32 vcc_lo, 32, v15
	s_wait_dscnt 0x2
	v_dual_add_f32 v9, v9, v12 :: v_dual_cndmask_b32 v15, v10, v15, vcc_lo
	s_wait_dscnt 0x0
	v_dual_add_f32 v11, v0, v13 :: v_dual_add_f32 v12, v1, v14
	v_lshlrev_b32_e32 v15, 2, v15
	ds_bpermute_b32 v0, v15, v8
	ds_bpermute_b32 v1, v15, v9
	;; [unrolled: 1-line block ×4, first 2 shown]
	s_wait_dscnt 0x3
	v_dual_add_f32 v0, v8, v0 :: v_dual_bitop2_b32 v15, 1, v10 bitop3:0x14
	s_delay_alu instid0(VALU_DEP_1)
	v_cmp_gt_i32_e32 vcc_lo, 32, v15
	s_wait_dscnt 0x2
	v_add_f32_e32 v8, v9, v1
	s_wait_dscnt 0x0
	v_dual_add_f32 v1, v11, v13 :: v_dual_add_f32 v9, v12, v14
	v_cndmask_b32_e32 v10, v10, v15, vcc_lo
	v_cmp_eq_u32_e32 vcc_lo, 31, v7
	s_delay_alu instid0(VALU_DEP_2)
	v_lshlrev_b32_e32 v15, 2, v10
	ds_bpermute_b32 v12, v15, v0
	ds_bpermute_b32 v13, v15, v8
	;; [unrolled: 1-line block ×4, first 2 shown]
	s_and_b32 exec_lo, exec_lo, vcc_lo
	s_cbranch_execz .LBB215_19
; %bb.15:
	s_load_b64 s[2:3], s[0:1], 0x38
	v_cmp_eq_f32_e32 vcc_lo, 0, v4
	s_wait_xcnt 0x0
	v_cmp_eq_f32_e64 s0, 0, v5
	s_wait_dscnt 0x3
	v_add_f32_e32 v0, v0, v12
	s_wait_dscnt 0x1
	v_dual_add_f32 v12, v8, v13 :: v_dual_add_f32 v8, v1, v10
	s_wait_dscnt 0x0
	v_add_f32_e32 v10, v9, v11
	s_and_b32 s0, vcc_lo, s0
	s_delay_alu instid0(SALU_CYCLE_1) | instskip(NEXT) | instid1(SALU_CYCLE_1)
	s_and_saveexec_b32 s1, s0
	s_xor_b32 s0, exec_lo, s1
	s_cbranch_execz .LBB215_17
; %bb.16:
	v_xor_b32_e32 v4, 0x80000000, v3
	v_dual_mov_b32 v5, v2 :: v_dual_lshlrev_b32 v6, 1, v6
	s_delay_alu instid0(VALU_DEP_1) | instskip(NEXT) | instid1(VALU_DEP_2)
	v_ashrrev_i32_e32 v7, 31, v6
	v_pk_mul_f32 v[12:13], v[12:13], v[4:5] op_sel_hi:[0,1]
	v_pk_mul_f32 v[4:5], v[10:11], v[4:5] op_sel_hi:[0,1]
                                        ; implicit-def: $vgpr10
	s_wait_kmcnt 0x0
	s_delay_alu instid0(VALU_DEP_3) | instskip(NEXT) | instid1(VALU_DEP_3)
	v_lshl_add_u64 v[6:7], v[6:7], 3, s[2:3]
	v_pk_fma_f32 v[0:1], v[2:3], v[0:1], v[12:13] op_sel_hi:[1,0,1]
	s_delay_alu instid0(VALU_DEP_3)
	v_pk_fma_f32 v[2:3], v[2:3], v[8:9], v[4:5] op_sel_hi:[1,0,1]
                                        ; implicit-def: $vgpr4_vgpr5
                                        ; implicit-def: $vgpr12
                                        ; implicit-def: $vgpr8
	global_store_b128 v[6:7], v[0:3], off
                                        ; implicit-def: $vgpr6
                                        ; implicit-def: $vgpr2_vgpr3
                                        ; implicit-def: $vgpr0
.LBB215_17:
	s_wait_xcnt 0x0
	s_and_not1_saveexec_b32 s0, s0
	s_cbranch_execz .LBB215_19
; %bb.18:
	v_dual_mov_b32 v19, v2 :: v_dual_lshlrev_b32 v6, 1, v6
	v_xor_b32_e32 v18, 0x80000000, v3
	s_delay_alu instid0(VALU_DEP_2) | instskip(NEXT) | instid1(VALU_DEP_2)
	v_ashrrev_i32_e32 v7, 31, v6
	v_pk_mul_f32 v[12:13], v[12:13], v[18:19] op_sel_hi:[0,1]
	v_pk_mul_f32 v[10:11], v[10:11], v[18:19] op_sel_hi:[0,1]
	s_delay_alu instid0(VALU_DEP_2) | instskip(NEXT) | instid1(VALU_DEP_2)
	v_pk_fma_f32 v[0:1], v[2:3], v[0:1], v[12:13] op_sel_hi:[1,0,1]
	v_pk_fma_f32 v[2:3], v[2:3], v[8:9], v[10:11] op_sel_hi:[1,0,1]
	v_mov_b32_e32 v9, v4
	s_wait_kmcnt 0x0
	v_lshl_add_u64 v[6:7], v[6:7], 3, s[2:3]
	v_xor_b32_e32 v8, 0x80000000, v5
	global_load_b128 v[14:17], v[6:7], off
	s_wait_loadcnt 0x0
	v_pk_fma_f32 v[0:1], v[4:5], v[14:15], v[0:1] op_sel_hi:[1,0,1]
	v_pk_fma_f32 v[2:3], v[4:5], v[16:17], v[2:3] op_sel_hi:[1,0,1]
	v_mov_b32_e32 v4, v17
	s_delay_alu instid0(VALU_DEP_3) | instskip(NEXT) | instid1(VALU_DEP_2)
	v_pk_fma_f32 v[0:1], v[8:9], v[14:15], v[0:1] op_sel:[0,1,0]
	v_pk_fma_f32 v[2:3], v[8:9], v[4:5], v[2:3] op_sel_hi:[1,0,1]
	global_store_b128 v[6:7], v[0:3], off
.LBB215_19:
	s_sendmsg sendmsg(MSG_DEALLOC_VGPRS)
	s_endpgm
	.section	.rodata,"a",@progbits
	.p2align	6, 0x0
	.amdhsa_kernel _ZN9rocsparseL19gebsrmvn_2xn_kernelILj128ELj14ELj32E21rocsparse_complex_numIfEEEvi20rocsparse_direction_NS_24const_host_device_scalarIT2_EEPKiS8_PKS5_SA_S6_PS5_21rocsparse_index_base_b
		.amdhsa_group_segment_fixed_size 0
		.amdhsa_private_segment_fixed_size 0
		.amdhsa_kernarg_size 72
		.amdhsa_user_sgpr_count 2
		.amdhsa_user_sgpr_dispatch_ptr 0
		.amdhsa_user_sgpr_queue_ptr 0
		.amdhsa_user_sgpr_kernarg_segment_ptr 1
		.amdhsa_user_sgpr_dispatch_id 0
		.amdhsa_user_sgpr_kernarg_preload_length 0
		.amdhsa_user_sgpr_kernarg_preload_offset 0
		.amdhsa_user_sgpr_private_segment_size 0
		.amdhsa_wavefront_size32 1
		.amdhsa_uses_dynamic_stack 0
		.amdhsa_enable_private_segment 0
		.amdhsa_system_sgpr_workgroup_id_x 1
		.amdhsa_system_sgpr_workgroup_id_y 0
		.amdhsa_system_sgpr_workgroup_id_z 0
		.amdhsa_system_sgpr_workgroup_info 0
		.amdhsa_system_vgpr_workitem_id 0
		.amdhsa_next_free_vgpr 100
		.amdhsa_next_free_sgpr 14
		.amdhsa_named_barrier_count 0
		.amdhsa_reserve_vcc 1
		.amdhsa_float_round_mode_32 0
		.amdhsa_float_round_mode_16_64 0
		.amdhsa_float_denorm_mode_32 3
		.amdhsa_float_denorm_mode_16_64 3
		.amdhsa_fp16_overflow 0
		.amdhsa_memory_ordered 1
		.amdhsa_forward_progress 1
		.amdhsa_inst_pref_size 32
		.amdhsa_round_robin_scheduling 0
		.amdhsa_exception_fp_ieee_invalid_op 0
		.amdhsa_exception_fp_denorm_src 0
		.amdhsa_exception_fp_ieee_div_zero 0
		.amdhsa_exception_fp_ieee_overflow 0
		.amdhsa_exception_fp_ieee_underflow 0
		.amdhsa_exception_fp_ieee_inexact 0
		.amdhsa_exception_int_div_zero 0
	.end_amdhsa_kernel
	.section	.text._ZN9rocsparseL19gebsrmvn_2xn_kernelILj128ELj14ELj32E21rocsparse_complex_numIfEEEvi20rocsparse_direction_NS_24const_host_device_scalarIT2_EEPKiS8_PKS5_SA_S6_PS5_21rocsparse_index_base_b,"axG",@progbits,_ZN9rocsparseL19gebsrmvn_2xn_kernelILj128ELj14ELj32E21rocsparse_complex_numIfEEEvi20rocsparse_direction_NS_24const_host_device_scalarIT2_EEPKiS8_PKS5_SA_S6_PS5_21rocsparse_index_base_b,comdat
.Lfunc_end215:
	.size	_ZN9rocsparseL19gebsrmvn_2xn_kernelILj128ELj14ELj32E21rocsparse_complex_numIfEEEvi20rocsparse_direction_NS_24const_host_device_scalarIT2_EEPKiS8_PKS5_SA_S6_PS5_21rocsparse_index_base_b, .Lfunc_end215-_ZN9rocsparseL19gebsrmvn_2xn_kernelILj128ELj14ELj32E21rocsparse_complex_numIfEEEvi20rocsparse_direction_NS_24const_host_device_scalarIT2_EEPKiS8_PKS5_SA_S6_PS5_21rocsparse_index_base_b
                                        ; -- End function
	.set _ZN9rocsparseL19gebsrmvn_2xn_kernelILj128ELj14ELj32E21rocsparse_complex_numIfEEEvi20rocsparse_direction_NS_24const_host_device_scalarIT2_EEPKiS8_PKS5_SA_S6_PS5_21rocsparse_index_base_b.num_vgpr, 100
	.set _ZN9rocsparseL19gebsrmvn_2xn_kernelILj128ELj14ELj32E21rocsparse_complex_numIfEEEvi20rocsparse_direction_NS_24const_host_device_scalarIT2_EEPKiS8_PKS5_SA_S6_PS5_21rocsparse_index_base_b.num_agpr, 0
	.set _ZN9rocsparseL19gebsrmvn_2xn_kernelILj128ELj14ELj32E21rocsparse_complex_numIfEEEvi20rocsparse_direction_NS_24const_host_device_scalarIT2_EEPKiS8_PKS5_SA_S6_PS5_21rocsparse_index_base_b.numbered_sgpr, 14
	.set _ZN9rocsparseL19gebsrmvn_2xn_kernelILj128ELj14ELj32E21rocsparse_complex_numIfEEEvi20rocsparse_direction_NS_24const_host_device_scalarIT2_EEPKiS8_PKS5_SA_S6_PS5_21rocsparse_index_base_b.num_named_barrier, 0
	.set _ZN9rocsparseL19gebsrmvn_2xn_kernelILj128ELj14ELj32E21rocsparse_complex_numIfEEEvi20rocsparse_direction_NS_24const_host_device_scalarIT2_EEPKiS8_PKS5_SA_S6_PS5_21rocsparse_index_base_b.private_seg_size, 0
	.set _ZN9rocsparseL19gebsrmvn_2xn_kernelILj128ELj14ELj32E21rocsparse_complex_numIfEEEvi20rocsparse_direction_NS_24const_host_device_scalarIT2_EEPKiS8_PKS5_SA_S6_PS5_21rocsparse_index_base_b.uses_vcc, 1
	.set _ZN9rocsparseL19gebsrmvn_2xn_kernelILj128ELj14ELj32E21rocsparse_complex_numIfEEEvi20rocsparse_direction_NS_24const_host_device_scalarIT2_EEPKiS8_PKS5_SA_S6_PS5_21rocsparse_index_base_b.uses_flat_scratch, 1
	.set _ZN9rocsparseL19gebsrmvn_2xn_kernelILj128ELj14ELj32E21rocsparse_complex_numIfEEEvi20rocsparse_direction_NS_24const_host_device_scalarIT2_EEPKiS8_PKS5_SA_S6_PS5_21rocsparse_index_base_b.has_dyn_sized_stack, 0
	.set _ZN9rocsparseL19gebsrmvn_2xn_kernelILj128ELj14ELj32E21rocsparse_complex_numIfEEEvi20rocsparse_direction_NS_24const_host_device_scalarIT2_EEPKiS8_PKS5_SA_S6_PS5_21rocsparse_index_base_b.has_recursion, 0
	.set _ZN9rocsparseL19gebsrmvn_2xn_kernelILj128ELj14ELj32E21rocsparse_complex_numIfEEEvi20rocsparse_direction_NS_24const_host_device_scalarIT2_EEPKiS8_PKS5_SA_S6_PS5_21rocsparse_index_base_b.has_indirect_call, 0
	.section	.AMDGPU.csdata,"",@progbits
; Kernel info:
; codeLenInByte = 3988
; TotalNumSgprs: 16
; NumVgprs: 100
; ScratchSize: 0
; MemoryBound: 0
; FloatMode: 240
; IeeeMode: 1
; LDSByteSize: 0 bytes/workgroup (compile time only)
; SGPRBlocks: 0
; VGPRBlocks: 6
; NumSGPRsForWavesPerEU: 16
; NumVGPRsForWavesPerEU: 100
; NamedBarCnt: 0
; Occupancy: 9
; WaveLimiterHint : 1
; COMPUTE_PGM_RSRC2:SCRATCH_EN: 0
; COMPUTE_PGM_RSRC2:USER_SGPR: 2
; COMPUTE_PGM_RSRC2:TRAP_HANDLER: 0
; COMPUTE_PGM_RSRC2:TGID_X_EN: 1
; COMPUTE_PGM_RSRC2:TGID_Y_EN: 0
; COMPUTE_PGM_RSRC2:TGID_Z_EN: 0
; COMPUTE_PGM_RSRC2:TIDIG_COMP_CNT: 0
	.section	.text._ZN9rocsparseL19gebsrmvn_2xn_kernelILj128ELj14ELj64E21rocsparse_complex_numIfEEEvi20rocsparse_direction_NS_24const_host_device_scalarIT2_EEPKiS8_PKS5_SA_S6_PS5_21rocsparse_index_base_b,"axG",@progbits,_ZN9rocsparseL19gebsrmvn_2xn_kernelILj128ELj14ELj64E21rocsparse_complex_numIfEEEvi20rocsparse_direction_NS_24const_host_device_scalarIT2_EEPKiS8_PKS5_SA_S6_PS5_21rocsparse_index_base_b,comdat
	.globl	_ZN9rocsparseL19gebsrmvn_2xn_kernelILj128ELj14ELj64E21rocsparse_complex_numIfEEEvi20rocsparse_direction_NS_24const_host_device_scalarIT2_EEPKiS8_PKS5_SA_S6_PS5_21rocsparse_index_base_b ; -- Begin function _ZN9rocsparseL19gebsrmvn_2xn_kernelILj128ELj14ELj64E21rocsparse_complex_numIfEEEvi20rocsparse_direction_NS_24const_host_device_scalarIT2_EEPKiS8_PKS5_SA_S6_PS5_21rocsparse_index_base_b
	.p2align	8
	.type	_ZN9rocsparseL19gebsrmvn_2xn_kernelILj128ELj14ELj64E21rocsparse_complex_numIfEEEvi20rocsparse_direction_NS_24const_host_device_scalarIT2_EEPKiS8_PKS5_SA_S6_PS5_21rocsparse_index_base_b,@function
_ZN9rocsparseL19gebsrmvn_2xn_kernelILj128ELj14ELj64E21rocsparse_complex_numIfEEEvi20rocsparse_direction_NS_24const_host_device_scalarIT2_EEPKiS8_PKS5_SA_S6_PS5_21rocsparse_index_base_b: ; @_ZN9rocsparseL19gebsrmvn_2xn_kernelILj128ELj14ELj64E21rocsparse_complex_numIfEEEvi20rocsparse_direction_NS_24const_host_device_scalarIT2_EEPKiS8_PKS5_SA_S6_PS5_21rocsparse_index_base_b
; %bb.0:
	s_clause 0x2
	s_load_b64 s[12:13], s[0:1], 0x40
	s_load_b64 s[2:3], s[0:1], 0x8
	;; [unrolled: 1-line block ×3, first 2 shown]
	v_mov_b32_e32 v1, 0
	s_add_nc_u64 s[6:7], s[0:1], 8
	s_add_nc_u64 s[8:9], s[0:1], 48
	s_wait_kmcnt 0x0
	s_bitcmp1_b32 s13, 0
	s_cselect_b32 s3, s7, s3
	s_cselect_b32 s2, s6, s2
	;; [unrolled: 1-line block ×4, first 2 shown]
	s_clause 0x1
	flat_load_b64 v[2:3], v1, s[2:3]
	flat_load_b64 v[4:5], v1, s[4:5]
	s_wait_loadcnt_dscnt 0x101
	v_cmp_eq_f32_e32 vcc_lo, 0, v2
	v_cmp_eq_f32_e64 s2, 0, v3
	s_wait_loadcnt_dscnt 0x0
	v_cmp_eq_f32_e64 s3, 1.0, v4
	v_cmp_eq_f32_e64 s4, 0, v5
	s_and_b32 s2, vcc_lo, s2
	s_and_b32 s3, s3, s4
	s_delay_alu instid0(SALU_CYCLE_1) | instskip(NEXT) | instid1(SALU_CYCLE_1)
	s_and_b32 s2, s2, s3
	s_xor_b32 s2, s2, -1
	s_delay_alu instid0(SALU_CYCLE_1)
	s_and_saveexec_b32 s3, s2
	s_cbranch_execz .LBB216_19
; %bb.1:
	s_load_b64 s[2:3], s[0:1], 0x0
	s_bfe_u32 s4, ttmp6, 0x4000c
	s_and_b32 s5, ttmp6, 15
	s_add_co_i32 s4, s4, 1
	s_getreg_b32 s6, hwreg(HW_REG_IB_STS2, 6, 4)
	s_mul_i32 s4, ttmp9, s4
	v_lshrrev_b32_e32 v1, 6, v0
	s_add_co_i32 s5, s5, s4
	s_cmp_eq_u32 s6, 0
	s_cselect_b32 s4, ttmp9, s5
	s_delay_alu instid0(VALU_DEP_1) | instid1(SALU_CYCLE_1)
	v_lshl_or_b32 v6, s4, 1, v1
	s_wait_kmcnt 0x0
	s_delay_alu instid0(VALU_DEP_1)
	v_cmp_gt_i32_e32 vcc_lo, s2, v6
	s_and_b32 exec_lo, exec_lo, vcc_lo
	s_cbranch_execz .LBB216_19
; %bb.2:
	s_load_b256 s[4:11], s[0:1], 0x10
	v_ashrrev_i32_e32 v7, 31, v6
	s_cmp_lg_u32 s3, 0
	s_wait_kmcnt 0x0
	s_delay_alu instid0(VALU_DEP_1)
	v_lshl_add_u64 v[8:9], v[6:7], 2, s[4:5]
	v_and_b32_e32 v7, 63, v0
	global_load_b64 v[8:9], v[8:9], off
	s_wait_loadcnt 0x0
	v_subrev_nc_u32_e32 v0, s12, v8
	v_subrev_nc_u32_e32 v12, s12, v9
	s_delay_alu instid0(VALU_DEP_2) | instskip(NEXT) | instid1(VALU_DEP_1)
	v_add_nc_u32_e32 v13, v0, v7
	v_cmp_lt_i32_e64 s2, v13, v12
	s_cbranch_scc0 .LBB216_8
; %bb.3:
	v_mov_b32_e32 v9, 0
	s_delay_alu instid0(VALU_DEP_1)
	v_dual_mov_b32 v8, v9 :: v_dual_mov_b32 v1, v9
	v_mov_b32_e32 v0, v9
	s_and_saveexec_b32 s3, s2
	s_cbranch_execz .LBB216_7
; %bb.4:
	v_mul_lo_u32 v10, v13, 28
	v_dual_mov_b32 v11, 0 :: v_dual_mov_b32 v14, v13
	s_mov_b32 s4, 0
	s_delay_alu instid0(VALU_DEP_1)
	v_dual_mov_b32 v0, v11 :: v_dual_mov_b32 v1, v11
	v_dual_mov_b32 v8, v11 :: v_dual_mov_b32 v9, v11
.LBB216_5:                              ; =>This Inner Loop Header: Depth=1
	global_load_b32 v15, v14, s[6:7] scale_offset
	v_lshl_add_u64 v[24:25], v[10:11], 3, s[8:9]
	v_dual_mov_b32 v89, v11 :: v_dual_add_nc_u32 v28, 4, v10
	v_dual_mov_b32 v29, v11 :: v_dual_mov_b32 v31, v11
	s_clause 0x1
	global_load_b128 v[16:19], v[24:25], off offset:16
	global_load_b128 v[20:23], v[24:25], off
	v_dual_mov_b32 v53, v11 :: v_dual_mov_b32 v55, v11
	v_lshl_add_u64 v[40:41], v[28:29], 3, s[8:9]
	v_dual_mov_b32 v65, v11 :: v_dual_mov_b32 v67, v11
	v_dual_mov_b32 v77, v11 :: v_dual_mov_b32 v79, v11
	v_dual_add_nc_u32 v64, 16, v10 :: v_dual_add_nc_u32 v76, 20, v10
	v_dual_add_nc_u32 v90, 24, v10 :: v_dual_add_nc_u32 v52, 12, v10
	s_wait_xcnt 0x2
	v_add_nc_u32_e32 v14, 64, v14
	s_delay_alu instid0(VALU_DEP_3) | instskip(SKIP_2) | instid1(VALU_DEP_4)
	v_lshl_add_u64 v[72:73], v[64:65], 3, s[8:9]
	v_lshl_add_u64 v[84:85], v[76:77], 3, s[8:9]
	;; [unrolled: 1-line block ×3, first 2 shown]
	v_cmp_ge_i32_e32 vcc_lo, v14, v12
	s_or_b32 s4, vcc_lo, s4
	s_wait_loadcnt 0x2
	v_subrev_nc_u32_e32 v15, s12, v15
	s_delay_alu instid0(VALU_DEP_1) | instskip(SKIP_4) | instid1(VALU_DEP_4)
	v_mul_lo_u32 v88, v15, 14
	v_mov_b32_e32 v91, v11
	s_wait_loadcnt 0x0
	v_xor_b32_e32 v98, 0x80000000, v23
	v_mov_b32_e32 v99, v22
	v_lshl_add_u64 v[24:25], v[88:89], 3, s[10:11]
	v_dual_add_nc_u32 v30, 2, v88 :: v_dual_add_nc_u32 v54, 6, v88
	v_dual_add_nc_u32 v66, 8, v88 :: v_dual_add_nc_u32 v78, 10, v88
	global_load_b128 v[24:27], v[24:25], off
	v_lshl_add_u64 v[42:43], v[30:31], 3, s[10:11]
	s_clause 0x1
	global_load_b128 v[28:31], v[40:41], off
	global_load_b128 v[32:35], v[40:41], off offset:16
	global_load_b128 v[36:39], v[42:43], off
	s_wait_xcnt 0x1
	v_dual_mov_b32 v41, v11 :: v_dual_add_nc_u32 v40, 8, v10
	s_wait_xcnt 0x0
	v_dual_mov_b32 v43, v11 :: v_dual_add_nc_u32 v42, 4, v88
	v_lshl_add_u64 v[62:63], v[54:55], 3, s[10:11]
	v_lshl_add_u64 v[74:75], v[66:67], 3, s[10:11]
	;; [unrolled: 1-line block ×5, first 2 shown]
	global_load_b128 v[40:43], v[48:49], off
	global_load_b128 v[44:47], v[50:51], off
	s_clause 0x1
	global_load_b128 v[48:51], v[48:49], off offset:16
	global_load_b128 v[52:55], v[60:61], off
	global_load_b128 v[56:59], v[62:63], off
	s_clause 0x1
	global_load_b128 v[60:63], v[60:61], off offset:16
	;; [unrolled: 4-line block ×3, first 2 shown]
	global_load_b128 v[76:79], v[84:85], off
	global_load_b128 v[80:83], v[86:87], off
	global_load_b128 v[84:87], v[84:85], off offset:16
	v_add_nc_u32_e32 v88, 12, v88
	v_lshl_add_u64 v[96:97], v[90:91], 3, s[8:9]
	v_add_nc_u32_e32 v10, 0x700, v10
	s_delay_alu instid0(VALU_DEP_3)
	v_lshl_add_u64 v[92:93], v[88:89], 3, s[10:11]
	global_load_b128 v[88:91], v[96:97], off
	global_load_b128 v[92:95], v[92:93], off
	s_wait_loadcnt 0x11
	v_pk_fma_f32 v[8:9], v[20:21], v[24:25], v[8:9] op_sel_hi:[1,0,1]
	v_pk_fma_f32 v[0:1], v[22:23], v[24:25], v[0:1] op_sel_hi:[1,0,1]
	s_delay_alu instid0(VALU_DEP_2)
	v_pk_fma_f32 v[8:9], v[20:21], v[24:25], v[8:9] op_sel:[1,1,0] op_sel_hi:[0,1,1] neg_lo:[1,0,0]
	global_load_b128 v[20:23], v[96:97], off offset:16
	v_pk_fma_f32 v[0:1], v[98:99], v[24:25], v[0:1] op_sel:[0,1,0]
	v_xor_b32_e32 v24, 0x80000000, v19
	s_wait_xcnt 0x0
	v_dual_mov_b32 v25, v18 :: v_dual_mov_b32 v96, v27
	v_pk_fma_f32 v[8:9], v[16:17], v[26:27], v[8:9] op_sel_hi:[1,0,1]
	v_pk_fma_f32 v[0:1], v[18:19], v[26:27], v[0:1] op_sel_hi:[1,0,1]
	s_wait_loadcnt 0xf
	v_mov_b32_e32 v18, v39
	s_delay_alu instid0(VALU_DEP_3) | instskip(SKIP_3) | instid1(VALU_DEP_4)
	v_pk_fma_f32 v[8:9], v[16:17], v[96:97], v[8:9] op_sel:[1,0,0] op_sel_hi:[0,0,1] neg_lo:[1,0,0]
	v_mov_b32_e32 v17, v30
	v_pk_fma_f32 v[0:1], v[24:25], v[96:97], v[0:1] op_sel_hi:[1,0,1]
	v_xor_b32_e32 v16, 0x80000000, v31
	v_pk_fma_f32 v[8:9], v[28:29], v[36:37], v[8:9] op_sel_hi:[1,0,1]
	s_delay_alu instid0(VALU_DEP_3) | instskip(NEXT) | instid1(VALU_DEP_2)
	v_pk_fma_f32 v[0:1], v[30:31], v[36:37], v[0:1] op_sel_hi:[1,0,1]
	v_pk_fma_f32 v[8:9], v[28:29], v[36:37], v[8:9] op_sel:[1,1,0] op_sel_hi:[0,1,1] neg_lo:[1,0,0]
	s_delay_alu instid0(VALU_DEP_2) | instskip(SKIP_2) | instid1(VALU_DEP_4)
	v_pk_fma_f32 v[0:1], v[16:17], v[36:37], v[0:1] op_sel:[0,1,0]
	v_xor_b32_e32 v16, 0x80000000, v35
	v_mov_b32_e32 v17, v34
	v_pk_fma_f32 v[8:9], v[32:33], v[38:39], v[8:9] op_sel_hi:[1,0,1]
	s_delay_alu instid0(VALU_DEP_4) | instskip(NEXT) | instid1(VALU_DEP_2)
	v_pk_fma_f32 v[0:1], v[34:35], v[38:39], v[0:1] op_sel_hi:[1,0,1]
	v_pk_fma_f32 v[8:9], v[32:33], v[18:19], v[8:9] op_sel:[1,0,0] op_sel_hi:[0,0,1] neg_lo:[1,0,0]
	s_delay_alu instid0(VALU_DEP_2)
	v_pk_fma_f32 v[0:1], v[16:17], v[18:19], v[0:1] op_sel_hi:[1,0,1]
	s_wait_loadcnt 0xe
	v_xor_b32_e32 v16, 0x80000000, v43
	s_wait_loadcnt 0xd
	v_dual_mov_b32 v17, v42 :: v_dual_mov_b32 v18, v47
	v_pk_fma_f32 v[8:9], v[40:41], v[44:45], v[8:9] op_sel_hi:[1,0,1]
	v_pk_fma_f32 v[0:1], v[42:43], v[44:45], v[0:1] op_sel_hi:[1,0,1]
	s_delay_alu instid0(VALU_DEP_2) | instskip(NEXT) | instid1(VALU_DEP_2)
	v_pk_fma_f32 v[8:9], v[40:41], v[44:45], v[8:9] op_sel:[1,1,0] op_sel_hi:[0,1,1] neg_lo:[1,0,0]
	v_pk_fma_f32 v[0:1], v[16:17], v[44:45], v[0:1] op_sel:[0,1,0]
	s_wait_loadcnt 0xc
	v_xor_b32_e32 v16, 0x80000000, v51
	v_mov_b32_e32 v17, v50
	v_pk_fma_f32 v[8:9], v[48:49], v[46:47], v[8:9] op_sel_hi:[1,0,1]
	v_pk_fma_f32 v[0:1], v[50:51], v[46:47], v[0:1] op_sel_hi:[1,0,1]
	s_delay_alu instid0(VALU_DEP_2) | instskip(NEXT) | instid1(VALU_DEP_2)
	v_pk_fma_f32 v[8:9], v[48:49], v[18:19], v[8:9] op_sel:[1,0,0] op_sel_hi:[0,0,1] neg_lo:[1,0,0]
	v_pk_fma_f32 v[0:1], v[16:17], v[18:19], v[0:1] op_sel_hi:[1,0,1]
	s_wait_loadcnt 0xb
	v_xor_b32_e32 v16, 0x80000000, v55
	s_wait_loadcnt 0xa
	v_dual_mov_b32 v17, v54 :: v_dual_mov_b32 v18, v59
	v_pk_fma_f32 v[8:9], v[52:53], v[56:57], v[8:9] op_sel_hi:[1,0,1]
	v_pk_fma_f32 v[0:1], v[54:55], v[56:57], v[0:1] op_sel_hi:[1,0,1]
	s_delay_alu instid0(VALU_DEP_2) | instskip(NEXT) | instid1(VALU_DEP_2)
	v_pk_fma_f32 v[8:9], v[52:53], v[56:57], v[8:9] op_sel:[1,1,0] op_sel_hi:[0,1,1] neg_lo:[1,0,0]
	v_pk_fma_f32 v[0:1], v[16:17], v[56:57], v[0:1] op_sel:[0,1,0]
	s_wait_loadcnt 0x9
	v_xor_b32_e32 v16, 0x80000000, v63
	v_mov_b32_e32 v17, v62
	v_pk_fma_f32 v[8:9], v[60:61], v[58:59], v[8:9] op_sel_hi:[1,0,1]
	v_pk_fma_f32 v[0:1], v[62:63], v[58:59], v[0:1] op_sel_hi:[1,0,1]
	s_delay_alu instid0(VALU_DEP_2) | instskip(NEXT) | instid1(VALU_DEP_2)
	v_pk_fma_f32 v[8:9], v[60:61], v[18:19], v[8:9] op_sel:[1,0,0] op_sel_hi:[0,0,1] neg_lo:[1,0,0]
	;; [unrolled: 17-line block ×5, first 2 shown]
	v_pk_fma_f32 v[0:1], v[16:17], v[18:19], v[0:1] op_sel_hi:[1,0,1]
	s_and_not1_b32 exec_lo, exec_lo, s4
	s_cbranch_execnz .LBB216_5
; %bb.6:
	s_or_b32 exec_lo, exec_lo, s4
.LBB216_7:
	s_delay_alu instid0(SALU_CYCLE_1)
	s_or_b32 exec_lo, exec_lo, s3
	s_cbranch_execz .LBB216_9
	s_branch .LBB216_14
.LBB216_8:
                                        ; implicit-def: $vgpr9
                                        ; implicit-def: $vgpr1
.LBB216_9:
	v_mov_b32_e32 v9, 0
	s_delay_alu instid0(VALU_DEP_1)
	v_dual_mov_b32 v8, v9 :: v_dual_mov_b32 v1, v9
	v_mov_b32_e32 v0, v9
	s_and_saveexec_b32 s3, s2
	s_cbranch_execz .LBB216_13
; %bb.10:
	v_mad_u32 v14, v13, 28, 27
	v_mov_b32_e32 v11, 0
	s_mov_b32 s2, 0
	s_delay_alu instid0(VALU_DEP_1)
	v_dual_mov_b32 v0, v11 :: v_dual_mov_b32 v1, v11
	v_dual_mov_b32 v8, v11 :: v_dual_mov_b32 v9, v11
.LBB216_11:                             ; =>This Inner Loop Header: Depth=1
	global_load_b32 v15, v13, s[6:7] scale_offset
	v_subrev_nc_u32_e32 v10, 27, v14
	v_dual_mov_b32 v41, v11 :: v_dual_add_nc_u32 v26, -13, v14
	v_dual_add_nc_u32 v27, -12, v14 :: v_dual_add_nc_u32 v28, -11, v14
	s_delay_alu instid0(VALU_DEP_3)
	v_lshl_add_u64 v[24:25], v[10:11], 3, s[8:9]
	v_dual_add_nc_u32 v34, -10, v14 :: v_dual_add_nc_u32 v36, -9, v14
	s_clause 0x4
	global_load_b64 v[42:43], v27, s[8:9] scale_offset
	global_load_b64 v[44:45], v28, s[8:9] scale_offset
	global_load_b128 v[16:19], v[24:25], off offset:16
	global_load_b128 v[20:23], v[24:25], off
	global_load_b64 v[46:47], v26, s[8:9] scale_offset
	v_subrev_nc_u32_e32 v35, 23, v14
	v_subrev_nc_u32_e32 v37, 22, v14
	v_dual_add_nc_u32 v38, -8, v14 :: v_dual_add_nc_u32 v74, -7, v14
	v_subrev_nc_u32_e32 v39, 21, v14
	v_subrev_nc_u32_e32 v75, 20, v14
	v_dual_add_nc_u32 v76, -6, v14 :: v_dual_add_nc_u32 v78, -5, v14
	;; [unrolled: 3-line block ×3, first 2 shown]
	v_subrev_nc_u32_e32 v81, 17, v14
	v_dual_add_nc_u32 v83, -16, v14 :: v_dual_add_nc_u32 v84, -2, v14
	v_dual_add_nc_u32 v85, -15, v14 :: v_dual_add_nc_u32 v86, -1, v14
	s_wait_xcnt 0x5
	v_add_nc_u32_e32 v13, 64, v13
	s_delay_alu instid0(VALU_DEP_1) | instskip(SKIP_3) | instid1(VALU_DEP_1)
	v_cmp_ge_i32_e32 vcc_lo, v13, v12
	s_or_b32 s2, vcc_lo, s2
	s_wait_loadcnt 0x5
	v_subrev_nc_u32_e32 v10, s12, v15
	v_mul_lo_u32 v40, v10, 14
	s_delay_alu instid0(VALU_DEP_1) | instskip(SKIP_2) | instid1(VALU_DEP_2)
	v_dual_add_nc_u32 v87, -14, v14 :: v_dual_add_nc_u32 v10, 2, v40
	s_wait_xcnt 0x1
	v_lshl_add_u64 v[24:25], v[40:41], 3, s[10:11]
	v_lshl_add_u64 v[32:33], v[10:11], 3, s[10:11]
	s_clause 0x1
	global_load_b128 v[24:27], v[24:25], off
	global_load_b128 v[28:31], v[32:33], off
	s_clause 0x1
	global_load_b64 v[48:49], v34, s[8:9] scale_offset
	global_load_b64 v[50:51], v35, s[8:9] scale_offset
	v_add_nc_u32_e32 v10, 4, v40
	s_clause 0x2
	global_load_b64 v[52:53], v36, s[8:9] scale_offset
	global_load_b64 v[54:55], v37, s[8:9] scale_offset
	;; [unrolled: 1-line block ×3, first 2 shown]
	s_wait_xcnt 0x1
	v_lshl_add_u64 v[36:37], v[10:11], 3, s[10:11]
	s_clause 0x2
	global_load_b64 v[58:59], v39, s[8:9] scale_offset
	global_load_b64 v[60:61], v74, s[8:9] scale_offset
	;; [unrolled: 1-line block ×3, first 2 shown]
	global_load_b128 v[32:35], v[36:37], off
	s_clause 0x4
	global_load_b64 v[64:65], v76, s[8:9] scale_offset
	global_load_b64 v[66:67], v77, s[8:9] scale_offset
	;; [unrolled: 1-line block ×5, first 2 shown]
	v_add_nc_u32_e32 v10, 6, v40
	s_wait_loadcnt 0x11
	s_wait_xcnt 0x7
	v_xor_b32_e32 v74, 0x80000000, v23
	s_wait_xcnt 0x6
	v_mov_b32_e32 v75, v22
	s_wait_loadcnt 0xf
	v_pk_fma_f32 v[8:9], v[20:21], v[24:25], v[8:9] op_sel_hi:[1,0,1]
	v_pk_fma_f32 v[0:1], v[46:47], v[24:25], v[0:1] op_sel_hi:[1,0,1]
	s_delay_alu instid0(VALU_DEP_2) | instskip(NEXT) | instid1(VALU_DEP_2)
	v_pk_fma_f32 v[8:9], v[20:21], v[24:25], v[8:9] op_sel:[1,1,0] op_sel_hi:[0,1,1] neg_lo:[1,0,0]
	v_pk_fma_f32 v[0:1], v[46:47], v[24:25], v[0:1] op_sel:[1,1,0] op_sel_hi:[0,1,1] neg_lo:[1,0,0]
	v_mov_b32_e32 v24, v27
	s_wait_xcnt 0x5
	v_lshl_add_u64 v[36:37], v[10:11], 3, s[10:11]
	v_add_nc_u32_e32 v10, 8, v40
	v_pk_fma_f32 v[8:9], v[22:23], v[26:27], v[8:9] op_sel_hi:[1,0,1]
	v_pk_fma_f32 v[0:1], v[42:43], v[26:27], v[0:1] op_sel_hi:[1,0,1]
	global_load_b128 v[36:39], v[36:37], off
	v_pk_fma_f32 v[8:9], v[74:75], v[24:25], v[8:9] op_sel_hi:[1,0,1]
	v_pk_fma_f32 v[0:1], v[42:43], v[24:25], v[0:1] op_sel:[1,0,0] op_sel_hi:[0,0,1] neg_lo:[1,0,0]
	v_mov_b32_e32 v43, v18
	v_lshl_add_u64 v[20:21], v[10:11], 3, s[10:11]
	v_add_nc_u32_e32 v10, 10, v40
	s_wait_loadcnt 0xf
	v_pk_fma_f32 v[8:9], v[16:17], v[28:29], v[8:9] op_sel_hi:[1,0,1]
	v_xor_b32_e32 v42, 0x80000000, v19
	v_pk_fma_f32 v[0:1], v[44:45], v[28:29], v[0:1] op_sel_hi:[1,0,1]
	global_load_b128 v[20:23], v[20:21], off
	v_lshl_add_u64 v[24:25], v[10:11], 3, s[10:11]
	s_clause 0x3
	global_load_b64 v[46:47], v81, s[8:9] scale_offset
	global_load_b64 v[76:77], v82, s[8:9] scale_offset
	;; [unrolled: 1-line block ×4, first 2 shown]
	v_add_nc_u32_e32 v10, 12, v40
	v_pk_fma_f32 v[8:9], v[16:17], v[28:29], v[8:9] op_sel:[1,1,0] op_sel_hi:[0,1,1] neg_lo:[1,0,0]
	global_load_b128 v[24:27], v[24:25], off
	global_load_b64 v[74:75], v85, s[8:9] scale_offset
	v_pk_fma_f32 v[0:1], v[44:45], v[28:29], v[0:1] op_sel:[1,1,0] op_sel_hi:[0,1,1] neg_lo:[1,0,0]
	v_lshl_add_u64 v[40:41], v[10:11], 3, s[10:11]
	v_pk_fma_f32 v[8:9], v[18:19], v[30:31], v[8:9] op_sel_hi:[1,0,1]
	global_load_b64 v[82:83], v86, s[8:9] scale_offset
	global_load_b128 v[16:19], v[40:41], off
	global_load_b64 v[28:29], v87, s[8:9] scale_offset
	s_wait_loadcnt 0x18
	v_pk_fma_f32 v[0:1], v[48:49], v[30:31], v[0:1] op_sel_hi:[1,0,1]
	v_mov_b32_e32 v10, v31
	global_load_b64 v[30:31], v14, s[8:9] scale_offset
	s_wait_xcnt 0x0
	v_add_nc_u32_e32 v14, 0x700, v14
	v_pk_fma_f32 v[8:9], v[42:43], v[10:11], v[8:9] op_sel_hi:[1,0,1]
	v_pk_fma_f32 v[0:1], v[48:49], v[10:11], v[0:1] op_sel:[1,0,0] op_sel_hi:[0,0,1] neg_lo:[1,0,0]
	s_wait_loadcnt 0x11
	v_mov_b32_e32 v10, v35
	s_delay_alu instid0(VALU_DEP_3) | instskip(NEXT) | instid1(VALU_DEP_3)
	v_pk_fma_f32 v[8:9], v[50:51], v[32:33], v[8:9] op_sel_hi:[1,0,1]
	v_pk_fma_f32 v[0:1], v[52:53], v[32:33], v[0:1] op_sel_hi:[1,0,1]
	s_delay_alu instid0(VALU_DEP_2) | instskip(NEXT) | instid1(VALU_DEP_2)
	v_pk_fma_f32 v[8:9], v[50:51], v[32:33], v[8:9] op_sel:[1,1,0] op_sel_hi:[0,1,1] neg_lo:[1,0,0]
	v_pk_fma_f32 v[0:1], v[52:53], v[32:33], v[0:1] op_sel:[1,1,0] op_sel_hi:[0,1,1] neg_lo:[1,0,0]
	s_delay_alu instid0(VALU_DEP_2) | instskip(NEXT) | instid1(VALU_DEP_2)
	v_pk_fma_f32 v[8:9], v[54:55], v[34:35], v[8:9] op_sel_hi:[1,0,1]
	v_pk_fma_f32 v[0:1], v[56:57], v[34:35], v[0:1] op_sel_hi:[1,0,1]
	s_delay_alu instid0(VALU_DEP_2) | instskip(NEXT) | instid1(VALU_DEP_2)
	v_pk_fma_f32 v[8:9], v[54:55], v[10:11], v[8:9] op_sel:[1,0,0] op_sel_hi:[0,0,1] neg_lo:[1,0,0]
	v_pk_fma_f32 v[0:1], v[56:57], v[10:11], v[0:1] op_sel:[1,0,0] op_sel_hi:[0,0,1] neg_lo:[1,0,0]
	s_wait_loadcnt 0xb
	s_delay_alu instid0(VALU_DEP_2) | instskip(NEXT) | instid1(VALU_DEP_2)
	v_pk_fma_f32 v[8:9], v[58:59], v[36:37], v[8:9] op_sel_hi:[1,0,1]
	v_pk_fma_f32 v[0:1], v[60:61], v[36:37], v[0:1] op_sel_hi:[1,0,1]
	v_mov_b32_e32 v10, v39
	s_delay_alu instid0(VALU_DEP_3) | instskip(NEXT) | instid1(VALU_DEP_3)
	v_pk_fma_f32 v[8:9], v[58:59], v[36:37], v[8:9] op_sel:[1,1,0] op_sel_hi:[0,1,1] neg_lo:[1,0,0]
	v_pk_fma_f32 v[0:1], v[60:61], v[36:37], v[0:1] op_sel:[1,1,0] op_sel_hi:[0,1,1] neg_lo:[1,0,0]
	s_delay_alu instid0(VALU_DEP_2) | instskip(NEXT) | instid1(VALU_DEP_2)
	v_pk_fma_f32 v[8:9], v[62:63], v[38:39], v[8:9] op_sel_hi:[1,0,1]
	v_pk_fma_f32 v[0:1], v[64:65], v[38:39], v[0:1] op_sel_hi:[1,0,1]
	s_delay_alu instid0(VALU_DEP_2) | instskip(NEXT) | instid1(VALU_DEP_2)
	v_pk_fma_f32 v[8:9], v[62:63], v[10:11], v[8:9] op_sel:[1,0,0] op_sel_hi:[0,0,1] neg_lo:[1,0,0]
	v_pk_fma_f32 v[0:1], v[64:65], v[10:11], v[0:1] op_sel:[1,0,0] op_sel_hi:[0,0,1] neg_lo:[1,0,0]
	s_wait_loadcnt 0xa
	v_mov_b32_e32 v10, v23
	s_delay_alu instid0(VALU_DEP_3) | instskip(NEXT) | instid1(VALU_DEP_3)
	v_pk_fma_f32 v[8:9], v[66:67], v[20:21], v[8:9] op_sel_hi:[1,0,1]
	v_pk_fma_f32 v[0:1], v[68:69], v[20:21], v[0:1] op_sel_hi:[1,0,1]
	s_delay_alu instid0(VALU_DEP_2) | instskip(NEXT) | instid1(VALU_DEP_2)
	v_pk_fma_f32 v[8:9], v[66:67], v[20:21], v[8:9] op_sel:[1,1,0] op_sel_hi:[0,1,1] neg_lo:[1,0,0]
	v_pk_fma_f32 v[0:1], v[68:69], v[20:21], v[0:1] op_sel:[1,1,0] op_sel_hi:[0,1,1] neg_lo:[1,0,0]
	s_delay_alu instid0(VALU_DEP_2) | instskip(NEXT) | instid1(VALU_DEP_2)
	v_pk_fma_f32 v[8:9], v[70:71], v[22:23], v[8:9] op_sel_hi:[1,0,1]
	v_pk_fma_f32 v[0:1], v[72:73], v[22:23], v[0:1] op_sel_hi:[1,0,1]
	s_delay_alu instid0(VALU_DEP_2) | instskip(NEXT) | instid1(VALU_DEP_2)
	v_pk_fma_f32 v[8:9], v[70:71], v[10:11], v[8:9] op_sel:[1,0,0] op_sel_hi:[0,0,1] neg_lo:[1,0,0]
	v_pk_fma_f32 v[0:1], v[72:73], v[10:11], v[0:1] op_sel:[1,0,0] op_sel_hi:[0,0,1] neg_lo:[1,0,0]
	s_wait_loadcnt 0x5
	v_mov_b32_e32 v10, v27
	s_delay_alu instid0(VALU_DEP_3) | instskip(NEXT) | instid1(VALU_DEP_3)
	v_pk_fma_f32 v[8:9], v[46:47], v[24:25], v[8:9] op_sel_hi:[1,0,1]
	v_pk_fma_f32 v[0:1], v[76:77], v[24:25], v[0:1] op_sel_hi:[1,0,1]
	s_delay_alu instid0(VALU_DEP_2) | instskip(NEXT) | instid1(VALU_DEP_2)
	;; [unrolled: 14-line block ×3, first 2 shown]
	v_pk_fma_f32 v[8:9], v[74:75], v[16:17], v[8:9] op_sel:[1,1,0] op_sel_hi:[0,1,1] neg_lo:[1,0,0]
	v_pk_fma_f32 v[0:1], v[82:83], v[16:17], v[0:1] op_sel:[1,1,0] op_sel_hi:[0,1,1] neg_lo:[1,0,0]
	s_wait_loadcnt 0x1
	s_delay_alu instid0(VALU_DEP_2) | instskip(SKIP_1) | instid1(VALU_DEP_2)
	v_pk_fma_f32 v[8:9], v[28:29], v[18:19], v[8:9] op_sel_hi:[1,0,1]
	s_wait_loadcnt 0x0
	v_pk_fma_f32 v[0:1], v[30:31], v[18:19], v[0:1] op_sel_hi:[1,0,1]
	s_delay_alu instid0(VALU_DEP_2) | instskip(NEXT) | instid1(VALU_DEP_2)
	v_pk_fma_f32 v[8:9], v[28:29], v[10:11], v[8:9] op_sel:[1,0,0] op_sel_hi:[0,0,1] neg_lo:[1,0,0]
	v_pk_fma_f32 v[0:1], v[30:31], v[10:11], v[0:1] op_sel:[1,0,0] op_sel_hi:[0,0,1] neg_lo:[1,0,0]
	s_and_not1_b32 exec_lo, exec_lo, s2
	s_cbranch_execnz .LBB216_11
; %bb.12:
	s_or_b32 exec_lo, exec_lo, s2
.LBB216_13:
	s_delay_alu instid0(SALU_CYCLE_1)
	s_or_b32 exec_lo, exec_lo, s3
.LBB216_14:
	v_mbcnt_lo_u32_b32 v10, -1, 0
	s_delay_alu instid0(VALU_DEP_1) | instskip(SKIP_1) | instid1(VALU_DEP_1)
	v_xor_b32_e32 v15, 16, v10
	v_or_b32_e32 v11, 32, v10
	v_cmp_gt_i32_e32 vcc_lo, 32, v11
	v_cndmask_b32_e32 v11, v10, v11, vcc_lo
	s_delay_alu instid0(VALU_DEP_1)
	v_lshlrev_b32_e32 v11, 2, v11
	ds_bpermute_b32 v13, v11, v9
	s_wait_dscnt 0x0
	v_add_f32_e32 v9, v9, v13
	ds_bpermute_b32 v12, v11, v8
	ds_bpermute_b32 v14, v11, v0
	;; [unrolled: 1-line block ×3, first 2 shown]
	s_wait_dscnt 0x2
	v_add_f32_e32 v8, v8, v12
	s_wait_dscnt 0x0
	v_dual_add_f32 v0, v0, v14 :: v_dual_add_f32 v1, v1, v11
	v_cmp_gt_i32_e32 vcc_lo, 32, v15
	v_cndmask_b32_e32 v15, v10, v15, vcc_lo
	s_delay_alu instid0(VALU_DEP_1)
	v_lshlrev_b32_e32 v15, 2, v15
	ds_bpermute_b32 v11, v15, v8
	ds_bpermute_b32 v12, v15, v9
	;; [unrolled: 1-line block ×4, first 2 shown]
	s_wait_dscnt 0x3
	v_dual_add_f32 v8, v8, v11 :: v_dual_bitop2_b32 v15, 8, v10 bitop3:0x14
	s_delay_alu instid0(VALU_DEP_1)
	v_cmp_gt_i32_e32 vcc_lo, 32, v15
	s_wait_dscnt 0x2
	v_add_f32_e32 v9, v9, v12
	s_wait_dscnt 0x0
	v_dual_add_f32 v1, v1, v14 :: v_dual_add_f32 v0, v0, v13
	v_cndmask_b32_e32 v15, v10, v15, vcc_lo
	s_delay_alu instid0(VALU_DEP_1)
	v_lshlrev_b32_e32 v15, 2, v15
	ds_bpermute_b32 v11, v15, v8
	ds_bpermute_b32 v12, v15, v9
	;; [unrolled: 1-line block ×4, first 2 shown]
	s_wait_dscnt 0x3
	v_dual_add_f32 v8, v8, v11 :: v_dual_bitop2_b32 v15, 4, v10 bitop3:0x14
	s_delay_alu instid0(VALU_DEP_1) | instskip(SKIP_4) | instid1(VALU_DEP_2)
	v_cmp_gt_i32_e32 vcc_lo, 32, v15
	s_wait_dscnt 0x2
	v_dual_add_f32 v9, v9, v12 :: v_dual_cndmask_b32 v15, v10, v15, vcc_lo
	s_wait_dscnt 0x0
	v_dual_add_f32 v0, v0, v13 :: v_dual_add_f32 v1, v1, v14
	v_lshlrev_b32_e32 v15, 2, v15
	ds_bpermute_b32 v11, v15, v8
	ds_bpermute_b32 v12, v15, v9
	;; [unrolled: 1-line block ×4, first 2 shown]
	s_wait_dscnt 0x3
	v_dual_add_f32 v8, v8, v11 :: v_dual_bitop2_b32 v15, 2, v10 bitop3:0x14
	s_delay_alu instid0(VALU_DEP_1) | instskip(SKIP_4) | instid1(VALU_DEP_1)
	v_cmp_gt_i32_e32 vcc_lo, 32, v15
	s_wait_dscnt 0x1
	v_dual_add_f32 v9, v9, v12 :: v_dual_add_f32 v11, v0, v13
	s_wait_dscnt 0x0
	v_dual_add_f32 v12, v1, v14 :: v_dual_cndmask_b32 v15, v10, v15
	v_lshlrev_b32_e32 v15, 2, v15
	ds_bpermute_b32 v0, v15, v8
	ds_bpermute_b32 v1, v15, v9
	;; [unrolled: 1-line block ×4, first 2 shown]
	s_wait_dscnt 0x3
	v_dual_add_f32 v0, v8, v0 :: v_dual_bitop2_b32 v15, 1, v10 bitop3:0x14
	s_delay_alu instid0(VALU_DEP_1)
	v_cmp_gt_i32_e32 vcc_lo, 32, v15
	s_wait_dscnt 0x2
	v_dual_add_f32 v8, v9, v1 :: v_dual_cndmask_b32 v10, v10, v15, vcc_lo
	s_wait_dscnt 0x0
	v_dual_add_f32 v1, v11, v13 :: v_dual_add_f32 v9, v12, v14
	v_cmp_eq_u32_e32 vcc_lo, 63, v7
	s_delay_alu instid0(VALU_DEP_3)
	v_lshlrev_b32_e32 v15, 2, v10
	ds_bpermute_b32 v12, v15, v0
	ds_bpermute_b32 v13, v15, v8
	;; [unrolled: 1-line block ×4, first 2 shown]
	s_and_b32 exec_lo, exec_lo, vcc_lo
	s_cbranch_execz .LBB216_19
; %bb.15:
	s_load_b64 s[2:3], s[0:1], 0x38
	v_cmp_eq_f32_e32 vcc_lo, 0, v4
	s_wait_xcnt 0x0
	v_cmp_eq_f32_e64 s0, 0, v5
	s_wait_dscnt 0x3
	v_add_f32_e32 v0, v0, v12
	s_wait_dscnt 0x1
	v_dual_add_f32 v12, v8, v13 :: v_dual_add_f32 v8, v1, v10
	s_wait_dscnt 0x0
	v_add_f32_e32 v10, v9, v11
	s_and_b32 s0, vcc_lo, s0
	s_delay_alu instid0(SALU_CYCLE_1) | instskip(NEXT) | instid1(SALU_CYCLE_1)
	s_and_saveexec_b32 s1, s0
	s_xor_b32 s0, exec_lo, s1
	s_cbranch_execz .LBB216_17
; %bb.16:
	v_xor_b32_e32 v4, 0x80000000, v3
	v_dual_mov_b32 v5, v2 :: v_dual_lshlrev_b32 v6, 1, v6
	s_delay_alu instid0(VALU_DEP_1) | instskip(NEXT) | instid1(VALU_DEP_2)
	v_ashrrev_i32_e32 v7, 31, v6
	v_pk_mul_f32 v[12:13], v[12:13], v[4:5] op_sel_hi:[0,1]
	v_pk_mul_f32 v[4:5], v[10:11], v[4:5] op_sel_hi:[0,1]
                                        ; implicit-def: $vgpr10
	s_wait_kmcnt 0x0
	s_delay_alu instid0(VALU_DEP_3) | instskip(NEXT) | instid1(VALU_DEP_3)
	v_lshl_add_u64 v[6:7], v[6:7], 3, s[2:3]
	v_pk_fma_f32 v[0:1], v[2:3], v[0:1], v[12:13] op_sel_hi:[1,0,1]
	s_delay_alu instid0(VALU_DEP_3)
	v_pk_fma_f32 v[2:3], v[2:3], v[8:9], v[4:5] op_sel_hi:[1,0,1]
                                        ; implicit-def: $vgpr4_vgpr5
                                        ; implicit-def: $vgpr12
                                        ; implicit-def: $vgpr8
	global_store_b128 v[6:7], v[0:3], off
                                        ; implicit-def: $vgpr6
                                        ; implicit-def: $vgpr2_vgpr3
                                        ; implicit-def: $vgpr0
.LBB216_17:
	s_wait_xcnt 0x0
	s_and_not1_saveexec_b32 s0, s0
	s_cbranch_execz .LBB216_19
; %bb.18:
	v_dual_mov_b32 v19, v2 :: v_dual_lshlrev_b32 v6, 1, v6
	v_xor_b32_e32 v18, 0x80000000, v3
	s_delay_alu instid0(VALU_DEP_2) | instskip(NEXT) | instid1(VALU_DEP_2)
	v_ashrrev_i32_e32 v7, 31, v6
	v_pk_mul_f32 v[12:13], v[12:13], v[18:19] op_sel_hi:[0,1]
	v_pk_mul_f32 v[10:11], v[10:11], v[18:19] op_sel_hi:[0,1]
	s_delay_alu instid0(VALU_DEP_2) | instskip(NEXT) | instid1(VALU_DEP_2)
	v_pk_fma_f32 v[0:1], v[2:3], v[0:1], v[12:13] op_sel_hi:[1,0,1]
	v_pk_fma_f32 v[2:3], v[2:3], v[8:9], v[10:11] op_sel_hi:[1,0,1]
	v_mov_b32_e32 v9, v4
	s_wait_kmcnt 0x0
	v_lshl_add_u64 v[6:7], v[6:7], 3, s[2:3]
	v_xor_b32_e32 v8, 0x80000000, v5
	global_load_b128 v[14:17], v[6:7], off
	s_wait_loadcnt 0x0
	v_pk_fma_f32 v[0:1], v[4:5], v[14:15], v[0:1] op_sel_hi:[1,0,1]
	v_pk_fma_f32 v[2:3], v[4:5], v[16:17], v[2:3] op_sel_hi:[1,0,1]
	v_mov_b32_e32 v4, v17
	s_delay_alu instid0(VALU_DEP_3) | instskip(NEXT) | instid1(VALU_DEP_2)
	v_pk_fma_f32 v[0:1], v[8:9], v[14:15], v[0:1] op_sel:[0,1,0]
	v_pk_fma_f32 v[2:3], v[8:9], v[4:5], v[2:3] op_sel_hi:[1,0,1]
	global_store_b128 v[6:7], v[0:3], off
.LBB216_19:
	s_sendmsg sendmsg(MSG_DEALLOC_VGPRS)
	s_endpgm
	.section	.rodata,"a",@progbits
	.p2align	6, 0x0
	.amdhsa_kernel _ZN9rocsparseL19gebsrmvn_2xn_kernelILj128ELj14ELj64E21rocsparse_complex_numIfEEEvi20rocsparse_direction_NS_24const_host_device_scalarIT2_EEPKiS8_PKS5_SA_S6_PS5_21rocsparse_index_base_b
		.amdhsa_group_segment_fixed_size 0
		.amdhsa_private_segment_fixed_size 0
		.amdhsa_kernarg_size 72
		.amdhsa_user_sgpr_count 2
		.amdhsa_user_sgpr_dispatch_ptr 0
		.amdhsa_user_sgpr_queue_ptr 0
		.amdhsa_user_sgpr_kernarg_segment_ptr 1
		.amdhsa_user_sgpr_dispatch_id 0
		.amdhsa_user_sgpr_kernarg_preload_length 0
		.amdhsa_user_sgpr_kernarg_preload_offset 0
		.amdhsa_user_sgpr_private_segment_size 0
		.amdhsa_wavefront_size32 1
		.amdhsa_uses_dynamic_stack 0
		.amdhsa_enable_private_segment 0
		.amdhsa_system_sgpr_workgroup_id_x 1
		.amdhsa_system_sgpr_workgroup_id_y 0
		.amdhsa_system_sgpr_workgroup_id_z 0
		.amdhsa_system_sgpr_workgroup_info 0
		.amdhsa_system_vgpr_workitem_id 0
		.amdhsa_next_free_vgpr 100
		.amdhsa_next_free_sgpr 14
		.amdhsa_named_barrier_count 0
		.amdhsa_reserve_vcc 1
		.amdhsa_float_round_mode_32 0
		.amdhsa_float_round_mode_16_64 0
		.amdhsa_float_denorm_mode_32 3
		.amdhsa_float_denorm_mode_16_64 3
		.amdhsa_fp16_overflow 0
		.amdhsa_memory_ordered 1
		.amdhsa_forward_progress 1
		.amdhsa_inst_pref_size 32
		.amdhsa_round_robin_scheduling 0
		.amdhsa_exception_fp_ieee_invalid_op 0
		.amdhsa_exception_fp_denorm_src 0
		.amdhsa_exception_fp_ieee_div_zero 0
		.amdhsa_exception_fp_ieee_overflow 0
		.amdhsa_exception_fp_ieee_underflow 0
		.amdhsa_exception_fp_ieee_inexact 0
		.amdhsa_exception_int_div_zero 0
	.end_amdhsa_kernel
	.section	.text._ZN9rocsparseL19gebsrmvn_2xn_kernelILj128ELj14ELj64E21rocsparse_complex_numIfEEEvi20rocsparse_direction_NS_24const_host_device_scalarIT2_EEPKiS8_PKS5_SA_S6_PS5_21rocsparse_index_base_b,"axG",@progbits,_ZN9rocsparseL19gebsrmvn_2xn_kernelILj128ELj14ELj64E21rocsparse_complex_numIfEEEvi20rocsparse_direction_NS_24const_host_device_scalarIT2_EEPKiS8_PKS5_SA_S6_PS5_21rocsparse_index_base_b,comdat
.Lfunc_end216:
	.size	_ZN9rocsparseL19gebsrmvn_2xn_kernelILj128ELj14ELj64E21rocsparse_complex_numIfEEEvi20rocsparse_direction_NS_24const_host_device_scalarIT2_EEPKiS8_PKS5_SA_S6_PS5_21rocsparse_index_base_b, .Lfunc_end216-_ZN9rocsparseL19gebsrmvn_2xn_kernelILj128ELj14ELj64E21rocsparse_complex_numIfEEEvi20rocsparse_direction_NS_24const_host_device_scalarIT2_EEPKiS8_PKS5_SA_S6_PS5_21rocsparse_index_base_b
                                        ; -- End function
	.set _ZN9rocsparseL19gebsrmvn_2xn_kernelILj128ELj14ELj64E21rocsparse_complex_numIfEEEvi20rocsparse_direction_NS_24const_host_device_scalarIT2_EEPKiS8_PKS5_SA_S6_PS5_21rocsparse_index_base_b.num_vgpr, 100
	.set _ZN9rocsparseL19gebsrmvn_2xn_kernelILj128ELj14ELj64E21rocsparse_complex_numIfEEEvi20rocsparse_direction_NS_24const_host_device_scalarIT2_EEPKiS8_PKS5_SA_S6_PS5_21rocsparse_index_base_b.num_agpr, 0
	.set _ZN9rocsparseL19gebsrmvn_2xn_kernelILj128ELj14ELj64E21rocsparse_complex_numIfEEEvi20rocsparse_direction_NS_24const_host_device_scalarIT2_EEPKiS8_PKS5_SA_S6_PS5_21rocsparse_index_base_b.numbered_sgpr, 14
	.set _ZN9rocsparseL19gebsrmvn_2xn_kernelILj128ELj14ELj64E21rocsparse_complex_numIfEEEvi20rocsparse_direction_NS_24const_host_device_scalarIT2_EEPKiS8_PKS5_SA_S6_PS5_21rocsparse_index_base_b.num_named_barrier, 0
	.set _ZN9rocsparseL19gebsrmvn_2xn_kernelILj128ELj14ELj64E21rocsparse_complex_numIfEEEvi20rocsparse_direction_NS_24const_host_device_scalarIT2_EEPKiS8_PKS5_SA_S6_PS5_21rocsparse_index_base_b.private_seg_size, 0
	.set _ZN9rocsparseL19gebsrmvn_2xn_kernelILj128ELj14ELj64E21rocsparse_complex_numIfEEEvi20rocsparse_direction_NS_24const_host_device_scalarIT2_EEPKiS8_PKS5_SA_S6_PS5_21rocsparse_index_base_b.uses_vcc, 1
	.set _ZN9rocsparseL19gebsrmvn_2xn_kernelILj128ELj14ELj64E21rocsparse_complex_numIfEEEvi20rocsparse_direction_NS_24const_host_device_scalarIT2_EEPKiS8_PKS5_SA_S6_PS5_21rocsparse_index_base_b.uses_flat_scratch, 1
	.set _ZN9rocsparseL19gebsrmvn_2xn_kernelILj128ELj14ELj64E21rocsparse_complex_numIfEEEvi20rocsparse_direction_NS_24const_host_device_scalarIT2_EEPKiS8_PKS5_SA_S6_PS5_21rocsparse_index_base_b.has_dyn_sized_stack, 0
	.set _ZN9rocsparseL19gebsrmvn_2xn_kernelILj128ELj14ELj64E21rocsparse_complex_numIfEEEvi20rocsparse_direction_NS_24const_host_device_scalarIT2_EEPKiS8_PKS5_SA_S6_PS5_21rocsparse_index_base_b.has_recursion, 0
	.set _ZN9rocsparseL19gebsrmvn_2xn_kernelILj128ELj14ELj64E21rocsparse_complex_numIfEEEvi20rocsparse_direction_NS_24const_host_device_scalarIT2_EEPKiS8_PKS5_SA_S6_PS5_21rocsparse_index_base_b.has_indirect_call, 0
	.section	.AMDGPU.csdata,"",@progbits
; Kernel info:
; codeLenInByte = 4080
; TotalNumSgprs: 16
; NumVgprs: 100
; ScratchSize: 0
; MemoryBound: 0
; FloatMode: 240
; IeeeMode: 1
; LDSByteSize: 0 bytes/workgroup (compile time only)
; SGPRBlocks: 0
; VGPRBlocks: 6
; NumSGPRsForWavesPerEU: 16
; NumVGPRsForWavesPerEU: 100
; NamedBarCnt: 0
; Occupancy: 9
; WaveLimiterHint : 1
; COMPUTE_PGM_RSRC2:SCRATCH_EN: 0
; COMPUTE_PGM_RSRC2:USER_SGPR: 2
; COMPUTE_PGM_RSRC2:TRAP_HANDLER: 0
; COMPUTE_PGM_RSRC2:TGID_X_EN: 1
; COMPUTE_PGM_RSRC2:TGID_Y_EN: 0
; COMPUTE_PGM_RSRC2:TGID_Z_EN: 0
; COMPUTE_PGM_RSRC2:TIDIG_COMP_CNT: 0
	.section	.text._ZN9rocsparseL19gebsrmvn_2xn_kernelILj128ELj15ELj4E21rocsparse_complex_numIfEEEvi20rocsparse_direction_NS_24const_host_device_scalarIT2_EEPKiS8_PKS5_SA_S6_PS5_21rocsparse_index_base_b,"axG",@progbits,_ZN9rocsparseL19gebsrmvn_2xn_kernelILj128ELj15ELj4E21rocsparse_complex_numIfEEEvi20rocsparse_direction_NS_24const_host_device_scalarIT2_EEPKiS8_PKS5_SA_S6_PS5_21rocsparse_index_base_b,comdat
	.globl	_ZN9rocsparseL19gebsrmvn_2xn_kernelILj128ELj15ELj4E21rocsparse_complex_numIfEEEvi20rocsparse_direction_NS_24const_host_device_scalarIT2_EEPKiS8_PKS5_SA_S6_PS5_21rocsparse_index_base_b ; -- Begin function _ZN9rocsparseL19gebsrmvn_2xn_kernelILj128ELj15ELj4E21rocsparse_complex_numIfEEEvi20rocsparse_direction_NS_24const_host_device_scalarIT2_EEPKiS8_PKS5_SA_S6_PS5_21rocsparse_index_base_b
	.p2align	8
	.type	_ZN9rocsparseL19gebsrmvn_2xn_kernelILj128ELj15ELj4E21rocsparse_complex_numIfEEEvi20rocsparse_direction_NS_24const_host_device_scalarIT2_EEPKiS8_PKS5_SA_S6_PS5_21rocsparse_index_base_b,@function
_ZN9rocsparseL19gebsrmvn_2xn_kernelILj128ELj15ELj4E21rocsparse_complex_numIfEEEvi20rocsparse_direction_NS_24const_host_device_scalarIT2_EEPKiS8_PKS5_SA_S6_PS5_21rocsparse_index_base_b: ; @_ZN9rocsparseL19gebsrmvn_2xn_kernelILj128ELj15ELj4E21rocsparse_complex_numIfEEEvi20rocsparse_direction_NS_24const_host_device_scalarIT2_EEPKiS8_PKS5_SA_S6_PS5_21rocsparse_index_base_b
; %bb.0:
	s_clause 0x2
	s_load_b64 s[12:13], s[0:1], 0x40
	s_load_b64 s[2:3], s[0:1], 0x8
	;; [unrolled: 1-line block ×3, first 2 shown]
	v_mov_b32_e32 v1, 0
	s_add_nc_u64 s[6:7], s[0:1], 8
	s_add_nc_u64 s[8:9], s[0:1], 48
	s_wait_kmcnt 0x0
	s_bitcmp1_b32 s13, 0
	s_cselect_b32 s3, s7, s3
	s_cselect_b32 s2, s6, s2
	;; [unrolled: 1-line block ×4, first 2 shown]
	s_clause 0x1
	flat_load_b64 v[2:3], v1, s[2:3]
	flat_load_b64 v[4:5], v1, s[4:5]
	s_wait_loadcnt_dscnt 0x101
	v_cmp_eq_f32_e32 vcc_lo, 0, v2
	v_cmp_eq_f32_e64 s2, 0, v3
	s_wait_loadcnt_dscnt 0x0
	v_cmp_eq_f32_e64 s3, 1.0, v4
	v_cmp_eq_f32_e64 s4, 0, v5
	s_and_b32 s2, vcc_lo, s2
	s_and_b32 s3, s3, s4
	s_delay_alu instid0(SALU_CYCLE_1) | instskip(NEXT) | instid1(SALU_CYCLE_1)
	s_and_b32 s2, s2, s3
	s_xor_b32 s2, s2, -1
	s_delay_alu instid0(SALU_CYCLE_1)
	s_and_saveexec_b32 s3, s2
	s_cbranch_execz .LBB217_19
; %bb.1:
	s_load_b64 s[2:3], s[0:1], 0x0
	s_bfe_u32 s4, ttmp6, 0x4000c
	s_and_b32 s5, ttmp6, 15
	s_add_co_i32 s4, s4, 1
	s_getreg_b32 s6, hwreg(HW_REG_IB_STS2, 6, 4)
	s_mul_i32 s4, ttmp9, s4
	v_lshrrev_b32_e32 v1, 2, v0
	s_add_co_i32 s5, s5, s4
	s_cmp_eq_u32 s6, 0
	s_cselect_b32 s4, ttmp9, s5
	s_delay_alu instid0(VALU_DEP_1) | instid1(SALU_CYCLE_1)
	v_lshl_or_b32 v6, s4, 5, v1
	s_wait_kmcnt 0x0
	s_delay_alu instid0(VALU_DEP_1)
	v_cmp_gt_i32_e32 vcc_lo, s2, v6
	s_and_b32 exec_lo, exec_lo, vcc_lo
	s_cbranch_execz .LBB217_19
; %bb.2:
	s_load_b256 s[4:11], s[0:1], 0x10
	v_ashrrev_i32_e32 v7, 31, v6
	s_cmp_lg_u32 s3, 0
	s_wait_kmcnt 0x0
	s_delay_alu instid0(VALU_DEP_1)
	v_lshl_add_u64 v[8:9], v[6:7], 2, s[4:5]
	v_and_b32_e32 v7, 3, v0
	global_load_b64 v[8:9], v[8:9], off
	s_wait_loadcnt 0x0
	v_subrev_nc_u32_e32 v0, s12, v8
	v_subrev_nc_u32_e32 v12, s12, v9
	s_delay_alu instid0(VALU_DEP_2) | instskip(NEXT) | instid1(VALU_DEP_1)
	v_add_nc_u32_e32 v13, v0, v7
	v_cmp_lt_i32_e64 s2, v13, v12
	s_cbranch_scc0 .LBB217_8
; %bb.3:
	v_mov_b32_e32 v1, 0
	s_delay_alu instid0(VALU_DEP_1)
	v_dual_mov_b32 v0, v1 :: v_dual_mov_b32 v9, v1
	v_mov_b32_e32 v8, v1
	s_and_saveexec_b32 s3, s2
	s_cbranch_execz .LBB217_7
; %bb.4:
	v_mul_lo_u32 v10, v13, 30
	v_dual_mov_b32 v11, 0 :: v_dual_mov_b32 v14, v13
	s_mov_b32 s4, 0
	s_delay_alu instid0(VALU_DEP_1)
	v_dual_mov_b32 v8, v11 :: v_dual_mov_b32 v9, v11
	v_dual_mov_b32 v0, v11 :: v_dual_mov_b32 v1, v11
.LBB217_5:                              ; =>This Inner Loop Header: Depth=1
	global_load_b32 v15, v14, s[6:7] scale_offset
	v_dual_mov_b32 v17, v11 :: v_dual_add_nc_u32 v16, 2, v10
	v_lshl_add_u64 v[24:25], v[10:11], 3, s[8:9]
	v_dual_mov_b32 v27, v11 :: v_dual_add_nc_u32 v26, 4, v10
	v_dual_mov_b32 v29, v11 :: v_dual_add_nc_u32 v28, 6, v10
	s_delay_alu instid0(VALU_DEP_4)
	v_lshl_add_u64 v[30:31], v[16:17], 3, s[8:9]
	s_clause 0x1
	global_load_b128 v[16:19], v[24:25], off
	global_load_b128 v[20:23], v[30:31], off
	s_wait_xcnt 0x0
	v_lshl_add_u64 v[30:31], v[26:27], 3, s[8:9]
	v_dual_mov_b32 v33, v11 :: v_dual_add_nc_u32 v32, 8, v10
	v_dual_mov_b32 v37, v11 :: v_dual_add_nc_u32 v36, 10, v10
	v_dual_mov_b32 v41, v11 :: v_dual_add_nc_u32 v40, 12, v10
	v_dual_mov_b32 v49, v11 :: v_dual_add_nc_u32 v48, 16, v10
	v_dual_mov_b32 v55, v11 :: v_dual_add_nc_u32 v54, 20, v10
	v_dual_mov_b32 v61, v11 :: v_dual_add_nc_u32 v60, 24, v10
	v_dual_mov_b32 v87, v11 :: v_dual_add_nc_u32 v86, 28, v10
	v_dual_add_nc_u32 v52, 18, v10 :: v_dual_add_nc_u32 v56, 22, v10
	v_add_nc_u32_e32 v82, 26, v10
	s_delay_alu instid0(VALU_DEP_4) | instskip(SKIP_1) | instid1(VALU_DEP_1)
	v_lshl_add_u64 v[96:97], v[60:61], 3, s[8:9]
	v_add_nc_u32_e32 v14, 4, v14
	v_cmp_ge_i32_e32 vcc_lo, v14, v12
	s_or_b32 s4, vcc_lo, s4
	s_wait_loadcnt 0x2
	v_subrev_nc_u32_e32 v15, s12, v15
	s_delay_alu instid0(VALU_DEP_1)
	v_mul_lo_u32 v15, v15, 15
	v_dual_mov_b32 v45, v11 :: v_dual_add_nc_u32 v44, 14, v10
	v_dual_mov_b32 v53, v11 :: v_dual_mov_b32 v57, v11
	v_dual_mov_b32 v83, v11 :: v_dual_add_nc_u32 v10, 0x78, v10
	global_load_b64 v[68:69], v15, s[10:11] scale_offset
	v_dual_add_nc_u32 v24, 1, v15 :: v_dual_add_nc_u32 v34, 2, v15
	v_dual_add_nc_u32 v38, 3, v15 :: v_dual_add_nc_u32 v42, 4, v15
	v_add_nc_u32_e32 v46, 5, v15
	global_load_b64 v[70:71], v24, s[10:11] scale_offset
	global_load_b128 v[24:27], v[30:31], off
	global_load_b64 v[72:73], v34, s[10:11] scale_offset
	s_wait_xcnt 0x0
	v_lshl_add_u64 v[34:35], v[28:29], 3, s[8:9]
	global_load_b128 v[28:31], v[34:35], off
	global_load_b64 v[74:75], v38, s[10:11] scale_offset
	s_wait_xcnt 0x0
	v_lshl_add_u64 v[38:39], v[32:33], 3, s[8:9]
	;; [unrolled: 4-line block ×4, first 2 shown]
	v_add_nc_u32_e32 v50, 6, v15
	global_load_b128 v[40:43], v[46:47], off
	global_load_b64 v[80:81], v50, s[10:11] scale_offset
	s_wait_xcnt 0x0
	v_lshl_add_u64 v[50:51], v[44:45], 3, s[8:9]
	v_add_nc_u32_e32 v58, 7, v15
	global_load_b128 v[44:47], v[50:51], off
	global_load_b64 v[84:85], v58, s[10:11] scale_offset
	s_wait_xcnt 0x0
	v_lshl_add_u64 v[58:59], v[48:49], 3, s[8:9]
	;; [unrolled: 5-line block ×3, first 2 shown]
	v_add_nc_u32_e32 v64, 9, v15
	s_wait_xcnt 0x0
	v_lshl_add_u64 v[62:63], v[54:55], 3, s[8:9]
	global_load_b128 v[52:55], v[58:59], off
	global_load_b64 v[90:91], v64, s[10:11] scale_offset
	s_wait_xcnt 0x0
	v_add_nc_u32_e32 v64, 10, v15
	v_lshl_add_u64 v[92:93], v[56:57], 3, s[8:9]
	global_load_b128 v[56:59], v[62:63], off
	global_load_b64 v[94:95], v64, s[10:11] scale_offset
	s_clause 0x1
	global_load_b128 v[60:63], v[92:93], off
	global_load_b128 v[64:67], v[96:97], off
	s_wait_xcnt 0x0
	v_dual_add_nc_u32 v96, 11, v15 :: v_dual_add_nc_u32 v98, 12, v15
	s_wait_loadcnt 0x17
	v_xor_b32_e32 v92, 0x80000000, v19
	v_mov_b32_e32 v93, v18
	global_load_b64 v[96:97], v96, s[10:11] scale_offset
	s_wait_loadcnt 0x16
	v_pk_fma_f32 v[0:1], v[16:17], v[68:69], v[0:1] op_sel_hi:[1,0,1]
	v_pk_fma_f32 v[8:9], v[18:19], v[68:69], v[8:9] op_sel_hi:[1,0,1]
	s_delay_alu instid0(VALU_DEP_2)
	v_pk_fma_f32 v[0:1], v[16:17], v[68:69], v[0:1] op_sel:[1,1,0] op_sel_hi:[0,1,1] neg_lo:[1,0,0]
	v_lshl_add_u64 v[16:17], v[82:83], 3, s[8:9]
	v_lshl_add_u64 v[82:83], v[86:87], 3, s[8:9]
	v_add_nc_u32_e32 v86, 13, v15
	global_load_b64 v[98:99], v98, s[10:11] scale_offset
	v_pk_fma_f32 v[8:9], v[92:93], v[68:69], v[8:9] op_sel:[0,1,0]
	global_load_b128 v[16:19], v[16:17], off
	s_wait_loadcnt 0x17
	v_pk_fma_f32 v[0:1], v[20:21], v[70:71], v[0:1] op_sel_hi:[1,0,1]
	global_load_b64 v[86:87], v86, s[10:11] scale_offset
	v_dual_mov_b32 v69, v22 :: v_dual_add_nc_u32 v15, 14, v15
	v_xor_b32_e32 v68, 0x80000000, v23
	v_pk_fma_f32 v[8:9], v[22:23], v[70:71], v[8:9] op_sel_hi:[1,0,1]
	v_pk_fma_f32 v[0:1], v[20:21], v[70:71], v[0:1] op_sel:[1,1,0] op_sel_hi:[0,1,1] neg_lo:[1,0,0]
	global_load_b128 v[20:23], v[82:83], off
	global_load_b64 v[92:93], v15, s[10:11] scale_offset
	v_pk_fma_f32 v[8:9], v[68:69], v[70:71], v[8:9] op_sel:[0,1,0]
	s_wait_loadcnt 0x18
	v_pk_fma_f32 v[0:1], v[24:25], v[72:73], v[0:1] op_sel_hi:[1,0,1]
	v_xor_b32_e32 v68, 0x80000000, v27
	v_mov_b32_e32 v69, v26
	v_pk_fma_f32 v[8:9], v[26:27], v[72:73], v[8:9] op_sel_hi:[1,0,1]
	s_delay_alu instid0(VALU_DEP_4)
	v_pk_fma_f32 v[0:1], v[24:25], v[72:73], v[0:1] op_sel:[1,1,0] op_sel_hi:[0,1,1] neg_lo:[1,0,0]
	s_wait_loadcnt 0x17
	v_mov_b32_e32 v25, v30
	v_xor_b32_e32 v24, 0x80000000, v31
	v_pk_fma_f32 v[8:9], v[68:69], v[72:73], v[8:9] op_sel:[0,1,0]
	s_wait_loadcnt 0x16
	v_pk_fma_f32 v[0:1], v[28:29], v[74:75], v[0:1] op_sel_hi:[1,0,1]
	s_delay_alu instid0(VALU_DEP_2) | instskip(NEXT) | instid1(VALU_DEP_2)
	v_pk_fma_f32 v[8:9], v[30:31], v[74:75], v[8:9] op_sel_hi:[1,0,1]
	v_pk_fma_f32 v[0:1], v[28:29], v[74:75], v[0:1] op_sel:[1,1,0] op_sel_hi:[0,1,1] neg_lo:[1,0,0]
	s_delay_alu instid0(VALU_DEP_2) | instskip(SKIP_1) | instid1(VALU_DEP_2)
	v_pk_fma_f32 v[8:9], v[24:25], v[74:75], v[8:9] op_sel:[0,1,0]
	s_wait_loadcnt 0x14
	v_pk_fma_f32 v[0:1], v[32:33], v[76:77], v[0:1] op_sel_hi:[1,0,1]
	v_xor_b32_e32 v24, 0x80000000, v35
	v_mov_b32_e32 v25, v34
	v_pk_fma_f32 v[8:9], v[34:35], v[76:77], v[8:9] op_sel_hi:[1,0,1]
	s_delay_alu instid0(VALU_DEP_4) | instskip(NEXT) | instid1(VALU_DEP_2)
	v_pk_fma_f32 v[0:1], v[32:33], v[76:77], v[0:1] op_sel:[1,1,0] op_sel_hi:[0,1,1] neg_lo:[1,0,0]
	v_pk_fma_f32 v[8:9], v[24:25], v[76:77], v[8:9] op_sel:[0,1,0]
	s_wait_loadcnt 0x12
	s_delay_alu instid0(VALU_DEP_2) | instskip(SKIP_3) | instid1(VALU_DEP_4)
	v_pk_fma_f32 v[0:1], v[36:37], v[78:79], v[0:1] op_sel_hi:[1,0,1]
	v_xor_b32_e32 v24, 0x80000000, v39
	v_mov_b32_e32 v25, v38
	v_pk_fma_f32 v[8:9], v[38:39], v[78:79], v[8:9] op_sel_hi:[1,0,1]
	v_pk_fma_f32 v[0:1], v[36:37], v[78:79], v[0:1] op_sel:[1,1,0] op_sel_hi:[0,1,1] neg_lo:[1,0,0]
	s_wait_loadcnt 0x10
	s_delay_alu instid0(VALU_DEP_1) | instskip(NEXT) | instid1(VALU_DEP_1)
	v_pk_fma_f32 v[0:1], v[40:41], v[80:81], v[0:1] op_sel_hi:[1,0,1]
	v_pk_fma_f32 v[0:1], v[40:41], v[80:81], v[0:1] op_sel:[1,1,0] op_sel_hi:[0,1,1] neg_lo:[1,0,0]
	s_wait_loadcnt 0xe
	s_delay_alu instid0(VALU_DEP_1) | instskip(NEXT) | instid1(VALU_DEP_1)
	v_pk_fma_f32 v[0:1], v[44:45], v[84:85], v[0:1] op_sel_hi:[1,0,1]
	v_pk_fma_f32 v[0:1], v[44:45], v[84:85], v[0:1] op_sel:[1,1,0] op_sel_hi:[0,1,1] neg_lo:[1,0,0]
	s_wait_loadcnt 0xc
	s_delay_alu instid0(VALU_DEP_1) | instskip(NEXT) | instid1(VALU_DEP_1)
	v_pk_fma_f32 v[0:1], v[48:49], v[88:89], v[0:1] op_sel_hi:[1,0,1]
	v_pk_fma_f32 v[0:1], v[48:49], v[88:89], v[0:1] op_sel:[1,1,0] op_sel_hi:[0,1,1] neg_lo:[1,0,0]
	s_wait_loadcnt 0xa
	s_delay_alu instid0(VALU_DEP_1) | instskip(NEXT) | instid1(VALU_DEP_1)
	v_pk_fma_f32 v[0:1], v[52:53], v[90:91], v[0:1] op_sel_hi:[1,0,1]
	v_pk_fma_f32 v[0:1], v[52:53], v[90:91], v[0:1] op_sel:[1,1,0] op_sel_hi:[0,1,1] neg_lo:[1,0,0]
	s_wait_loadcnt 0x8
	s_delay_alu instid0(VALU_DEP_1) | instskip(NEXT) | instid1(VALU_DEP_1)
	v_pk_fma_f32 v[0:1], v[56:57], v[94:95], v[0:1] op_sel_hi:[1,0,1]
	v_pk_fma_f32 v[0:1], v[56:57], v[94:95], v[0:1] op_sel:[1,1,0] op_sel_hi:[0,1,1] neg_lo:[1,0,0]
	s_wait_loadcnt 0x5
	s_delay_alu instid0(VALU_DEP_1) | instskip(NEXT) | instid1(VALU_DEP_1)
	v_pk_fma_f32 v[0:1], v[60:61], v[96:97], v[0:1] op_sel_hi:[1,0,1]
	v_pk_fma_f32 v[0:1], v[60:61], v[96:97], v[0:1] op_sel:[1,1,0] op_sel_hi:[0,1,1] neg_lo:[1,0,0]
	s_wait_loadcnt 0x4
	s_delay_alu instid0(VALU_DEP_1) | instskip(NEXT) | instid1(VALU_DEP_1)
	v_pk_fma_f32 v[0:1], v[64:65], v[98:99], v[0:1] op_sel_hi:[1,0,1]
	v_pk_fma_f32 v[0:1], v[64:65], v[98:99], v[0:1] op_sel:[1,1,0] op_sel_hi:[0,1,1] neg_lo:[1,0,0]
	s_wait_loadcnt 0x2
	s_delay_alu instid0(VALU_DEP_1) | instskip(NEXT) | instid1(VALU_DEP_1)
	v_pk_fma_f32 v[0:1], v[16:17], v[86:87], v[0:1] op_sel_hi:[1,0,1]
	v_pk_fma_f32 v[0:1], v[16:17], v[86:87], v[0:1] op_sel:[1,1,0] op_sel_hi:[0,1,1] neg_lo:[1,0,0]
	s_wait_loadcnt 0x1
	v_mov_b32_e32 v17, v22
	v_pk_fma_f32 v[8:9], v[24:25], v[78:79], v[8:9] op_sel:[0,1,0]
	v_xor_b32_e32 v24, 0x80000000, v43
	v_mov_b32_e32 v25, v42
	v_xor_b32_e32 v16, 0x80000000, v23
	s_wait_loadcnt 0x0
	v_pk_fma_f32 v[0:1], v[20:21], v[92:93], v[0:1] op_sel_hi:[1,0,1]
	v_pk_fma_f32 v[8:9], v[42:43], v[80:81], v[8:9] op_sel_hi:[1,0,1]
	s_delay_alu instid0(VALU_DEP_2) | instskip(NEXT) | instid1(VALU_DEP_2)
	v_pk_fma_f32 v[0:1], v[20:21], v[92:93], v[0:1] op_sel:[1,1,0] op_sel_hi:[0,1,1] neg_lo:[1,0,0]
	v_pk_fma_f32 v[8:9], v[24:25], v[80:81], v[8:9] op_sel:[0,1,0]
	v_xor_b32_e32 v24, 0x80000000, v47
	v_mov_b32_e32 v25, v46
	s_delay_alu instid0(VALU_DEP_3) | instskip(NEXT) | instid1(VALU_DEP_1)
	v_pk_fma_f32 v[8:9], v[46:47], v[84:85], v[8:9] op_sel_hi:[1,0,1]
	v_pk_fma_f32 v[8:9], v[24:25], v[84:85], v[8:9] op_sel:[0,1,0]
	v_xor_b32_e32 v24, 0x80000000, v51
	v_mov_b32_e32 v25, v50
	s_delay_alu instid0(VALU_DEP_3) | instskip(NEXT) | instid1(VALU_DEP_1)
	v_pk_fma_f32 v[8:9], v[50:51], v[88:89], v[8:9] op_sel_hi:[1,0,1]
	;; [unrolled: 5-line block ×7, first 2 shown]
	v_pk_fma_f32 v[8:9], v[24:25], v[86:87], v[8:9] op_sel:[0,1,0]
	s_delay_alu instid0(VALU_DEP_1) | instskip(NEXT) | instid1(VALU_DEP_1)
	v_pk_fma_f32 v[8:9], v[22:23], v[92:93], v[8:9] op_sel_hi:[1,0,1]
	v_pk_fma_f32 v[8:9], v[16:17], v[92:93], v[8:9] op_sel:[0,1,0]
	s_and_not1_b32 exec_lo, exec_lo, s4
	s_cbranch_execnz .LBB217_5
; %bb.6:
	s_or_b32 exec_lo, exec_lo, s4
.LBB217_7:
	s_delay_alu instid0(SALU_CYCLE_1)
	s_or_b32 exec_lo, exec_lo, s3
	s_cbranch_execz .LBB217_9
	s_branch .LBB217_14
.LBB217_8:
                                        ; implicit-def: $vgpr1
                                        ; implicit-def: $vgpr9
.LBB217_9:
	v_mov_b32_e32 v1, 0
	s_delay_alu instid0(VALU_DEP_1)
	v_dual_mov_b32 v0, v1 :: v_dual_mov_b32 v9, v1
	v_mov_b32_e32 v8, v1
	s_and_saveexec_b32 s3, s2
	s_cbranch_execz .LBB217_13
; %bb.10:
	v_mad_u32 v14, v13, 30, 29
	v_mov_b32_e32 v11, 0
	s_mov_b32 s2, 0
	s_delay_alu instid0(VALU_DEP_1)
	v_dual_mov_b32 v8, v11 :: v_dual_mov_b32 v9, v11
	v_dual_mov_b32 v0, v11 :: v_dual_mov_b32 v1, v11
.LBB217_11:                             ; =>This Inner Loop Header: Depth=1
	global_load_b32 v15, v13, s[6:7] scale_offset
	v_subrev_nc_u32_e32 v10, 29, v14
	v_dual_add_nc_u32 v34, -14, v14 :: v_dual_add_nc_u32 v35, -13, v14
	v_subrev_nc_u32_e32 v36, 27, v14
	v_dual_add_nc_u32 v37, -12, v14 :: v_dual_add_nc_u32 v39, -11, v14
	s_delay_alu instid0(VALU_DEP_4)
	v_lshl_add_u64 v[20:21], v[10:11], 3, s[8:9]
	v_subrev_nc_u32_e32 v38, 26, v14
	s_clause 0x6
	global_load_b64 v[22:23], v34, s[8:9] scale_offset
	global_load_b64 v[24:25], v35, s[8:9] scale_offset
	;; [unrolled: 1-line block ×6, first 2 shown]
	global_load_b128 v[16:19], v[20:21], off
	v_subrev_nc_u32_e32 v46, 25, v14
	v_dual_add_nc_u32 v47, -10, v14 :: v_dual_add_nc_u32 v51, -9, v14
	v_subrev_nc_u32_e32 v50, 24, v14
	v_subrev_nc_u32_e32 v64, 23, v14
	v_dual_add_nc_u32 v65, -8, v14 :: v_dual_add_nc_u32 v67, -7, v14
	v_subrev_nc_u32_e32 v66, 22, v14
	;; [unrolled: 3-line block ×4, first 2 shown]
	v_dual_add_nc_u32 v78, -2, v14 :: v_dual_add_nc_u32 v80, -16, v14
	v_dual_add_nc_u32 v81, -1, v14 :: v_dual_add_nc_u32 v82, -15, v14
	s_wait_xcnt 0x7
	v_add_nc_u32_e32 v13, 4, v13
	s_delay_alu instid0(VALU_DEP_1) | instskip(SKIP_3) | instid1(VALU_DEP_1)
	v_cmp_ge_i32_e32 vcc_lo, v13, v12
	s_or_b32 s2, vcc_lo, s2
	s_wait_loadcnt 0x7
	v_subrev_nc_u32_e32 v10, s12, v15
	v_mul_lo_u32 v10, v10, 15
	global_load_b64 v[20:21], v10, s[10:11] scale_offset
	v_dual_add_nc_u32 v15, 1, v10 :: v_dual_add_nc_u32 v40, 2, v10
	v_dual_add_nc_u32 v41, 3, v10 :: v_dual_add_nc_u32 v48, 4, v10
	s_clause 0x2
	global_load_b64 v[34:35], v15, s[10:11] scale_offset
	global_load_b64 v[36:37], v40, s[10:11] scale_offset
	global_load_b64 v[38:39], v41, s[10:11] scale_offset
	s_clause 0x1
	global_load_b64 v[40:41], v46, s[8:9] scale_offset
	global_load_b64 v[42:43], v47, s[8:9] scale_offset
	;; [unrolled: 1-line block ×3, first 2 shown]
	s_clause 0x1
	global_load_b64 v[46:47], v50, s[8:9] scale_offset
	global_load_b64 v[48:49], v51, s[8:9] scale_offset
	v_dual_add_nc_u32 v70, 5, v10 :: v_dual_add_nc_u32 v79, 6, v10
	s_clause 0x2
	global_load_b64 v[50:51], v64, s[8:9] scale_offset
	global_load_b64 v[52:53], v65, s[8:9] scale_offset
	;; [unrolled: 1-line block ×4, first 2 shown]
	s_clause 0x5
	global_load_b64 v[58:59], v67, s[8:9] scale_offset
	global_load_b64 v[60:61], v68, s[8:9] scale_offset
	;; [unrolled: 1-line block ×7, first 2 shown]
	s_wait_xcnt 0x2
	v_dual_add_nc_u32 v72, 7, v10 :: v_dual_add_nc_u32 v73, 8, v10
	v_subrev_nc_u32_e32 v15, 17, v14
	s_wait_xcnt 0x0
	v_dual_add_nc_u32 v79, 10, v10 :: v_dual_add_nc_u32 v83, 12, v10
	s_wait_loadcnt 0x13
	v_pk_fma_f32 v[8:9], v[22:23], v[20:21], v[8:9] op_sel_hi:[1,0,1]
	v_pk_fma_f32 v[0:1], v[16:17], v[20:21], v[0:1] op_sel_hi:[1,0,1]
	s_delay_alu instid0(VALU_DEP_2)
	v_pk_fma_f32 v[8:9], v[22:23], v[20:21], v[8:9] op_sel:[1,1,0] op_sel_hi:[0,1,1] neg_lo:[1,0,0]
	global_load_b64 v[22:23], v72, s[10:11] scale_offset
	v_pk_fma_f32 v[0:1], v[16:17], v[20:21], v[0:1] op_sel:[1,1,0] op_sel_hi:[0,1,1] neg_lo:[1,0,0]
	global_load_b64 v[20:21], v73, s[10:11] scale_offset
	v_xor_b32_e32 v16, 0x80000000, v19
	v_mov_b32_e32 v17, v18
	s_wait_loadcnt 0x14
	v_pk_fma_f32 v[8:9], v[24:25], v[34:35], v[8:9] op_sel_hi:[1,0,1]
	v_pk_fma_f32 v[0:1], v[18:19], v[34:35], v[0:1] op_sel_hi:[1,0,1]
	s_clause 0x1
	global_load_b64 v[18:19], v75, s[8:9] scale_offset
	global_load_b64 v[72:73], v76, s[8:9] scale_offset
	s_wait_xcnt 0x0
	v_add_nc_u32_e32 v76, 9, v10
	global_load_b64 v[74:75], v77, s[8:9] scale_offset
	v_pk_fma_f32 v[8:9], v[24:25], v[34:35], v[8:9] op_sel:[1,1,0] op_sel_hi:[0,1,1] neg_lo:[1,0,0]
	v_pk_fma_f32 v[0:1], v[16:17], v[34:35], v[0:1] op_sel:[0,1,0]
	global_load_b64 v[16:17], v76, s[10:11] scale_offset
	s_clause 0x1
	global_load_b64 v[24:25], v15, s[8:9] scale_offset
	global_load_b64 v[34:35], v78, s[8:9] scale_offset
	;; [unrolled: 1-line block ×3, first 2 shown]
	s_wait_xcnt 0x2
	v_add_nc_u32_e32 v15, 11, v10
	s_wait_loadcnt 0x1a
	v_pk_fma_f32 v[0:1], v[26:27], v[36:37], v[0:1] op_sel_hi:[1,0,1]
	v_pk_fma_f32 v[8:9], v[28:29], v[36:37], v[8:9] op_sel_hi:[1,0,1]
	s_delay_alu instid0(VALU_DEP_2)
	v_pk_fma_f32 v[0:1], v[26:27], v[36:37], v[0:1] op_sel:[1,1,0] op_sel_hi:[0,1,1] neg_lo:[1,0,0]
	global_load_b64 v[26:27], v15, s[10:11] scale_offset
	v_pk_fma_f32 v[8:9], v[28:29], v[36:37], v[8:9] op_sel:[1,1,0] op_sel_hi:[0,1,1] neg_lo:[1,0,0]
	s_wait_xcnt 0x0
	v_add_nc_u32_e32 v15, 13, v10
	s_clause 0x1
	global_load_b64 v[28:29], v80, s[8:9] scale_offset
	global_load_b64 v[36:37], v81, s[8:9] scale_offset
	global_load_b64 v[78:79], v83, s[10:11] scale_offset
	s_wait_loadcnt 0x1d
	v_pk_fma_f32 v[0:1], v[30:31], v[38:39], v[0:1] op_sel_hi:[1,0,1]
	v_add_nc_u32_e32 v10, 14, v10
	v_pk_fma_f32 v[8:9], v[32:33], v[38:39], v[8:9] op_sel_hi:[1,0,1]
	s_delay_alu instid0(VALU_DEP_3)
	v_pk_fma_f32 v[0:1], v[30:31], v[38:39], v[0:1] op_sel:[1,1,0] op_sel_hi:[0,1,1] neg_lo:[1,0,0]
	global_load_b64 v[30:31], v15, s[10:11] scale_offset
	v_pk_fma_f32 v[8:9], v[32:33], v[38:39], v[8:9] op_sel:[1,1,0] op_sel_hi:[0,1,1] neg_lo:[1,0,0]
	s_clause 0x1
	global_load_b64 v[32:33], v14, s[8:9] scale_offset
	global_load_b64 v[38:39], v82, s[8:9] scale_offset
	;; [unrolled: 1-line block ×3, first 2 shown]
	s_wait_xcnt 0x2
	v_add_nc_u32_e32 v14, 0x78, v14
	s_wait_loadcnt 0x1e
	v_pk_fma_f32 v[0:1], v[40:41], v[44:45], v[0:1] op_sel_hi:[1,0,1]
	v_pk_fma_f32 v[8:9], v[42:43], v[44:45], v[8:9] op_sel_hi:[1,0,1]
	s_delay_alu instid0(VALU_DEP_2) | instskip(NEXT) | instid1(VALU_DEP_2)
	v_pk_fma_f32 v[0:1], v[40:41], v[44:45], v[0:1] op_sel:[1,1,0] op_sel_hi:[0,1,1] neg_lo:[1,0,0]
	v_pk_fma_f32 v[8:9], v[42:43], v[44:45], v[8:9] op_sel:[1,1,0] op_sel_hi:[0,1,1] neg_lo:[1,0,0]
	s_wait_loadcnt 0x18
	s_delay_alu instid0(VALU_DEP_2) | instskip(NEXT) | instid1(VALU_DEP_2)
	v_pk_fma_f32 v[0:1], v[46:47], v[56:57], v[0:1] op_sel_hi:[1,0,1]
	v_pk_fma_f32 v[8:9], v[48:49], v[56:57], v[8:9] op_sel_hi:[1,0,1]
	s_delay_alu instid0(VALU_DEP_2) | instskip(NEXT) | instid1(VALU_DEP_2)
	v_pk_fma_f32 v[0:1], v[46:47], v[56:57], v[0:1] op_sel:[1,1,0] op_sel_hi:[0,1,1] neg_lo:[1,0,0]
	v_pk_fma_f32 v[8:9], v[48:49], v[56:57], v[8:9] op_sel:[1,1,0] op_sel_hi:[0,1,1] neg_lo:[1,0,0]
	s_wait_loadcnt 0x11
	s_delay_alu instid0(VALU_DEP_2) | instskip(NEXT) | instid1(VALU_DEP_2)
	;; [unrolled: 7-line block ×10, first 2 shown]
	v_pk_fma_f32 v[0:1], v[38:39], v[80:81], v[0:1] op_sel_hi:[1,0,1]
	v_pk_fma_f32 v[8:9], v[32:33], v[80:81], v[8:9] op_sel_hi:[1,0,1]
	s_delay_alu instid0(VALU_DEP_2) | instskip(NEXT) | instid1(VALU_DEP_2)
	v_pk_fma_f32 v[0:1], v[38:39], v[80:81], v[0:1] op_sel:[1,1,0] op_sel_hi:[0,1,1] neg_lo:[1,0,0]
	v_pk_fma_f32 v[8:9], v[32:33], v[80:81], v[8:9] op_sel:[1,1,0] op_sel_hi:[0,1,1] neg_lo:[1,0,0]
	s_and_not1_b32 exec_lo, exec_lo, s2
	s_cbranch_execnz .LBB217_11
; %bb.12:
	s_or_b32 exec_lo, exec_lo, s2
.LBB217_13:
	s_delay_alu instid0(SALU_CYCLE_1)
	s_or_b32 exec_lo, exec_lo, s3
.LBB217_14:
	v_mbcnt_lo_u32_b32 v10, -1, 0
	s_delay_alu instid0(VALU_DEP_1) | instskip(SKIP_1) | instid1(VALU_DEP_1)
	v_xor_b32_e32 v15, 1, v10
	v_xor_b32_e32 v11, 2, v10
	v_cmp_gt_i32_e32 vcc_lo, 32, v11
	v_cndmask_b32_e32 v11, v10, v11, vcc_lo
	s_delay_alu instid0(VALU_DEP_4) | instskip(SKIP_2) | instid1(VALU_DEP_2)
	v_cmp_gt_i32_e32 vcc_lo, 32, v15
	v_cndmask_b32_e32 v10, v10, v15, vcc_lo
	v_cmp_eq_u32_e32 vcc_lo, 3, v7
	v_dual_lshlrev_b32 v15, 2, v10 :: v_dual_lshlrev_b32 v11, 2, v11
	ds_bpermute_b32 v12, v11, v0
	s_wait_dscnt 0x0
	v_add_f32_e32 v0, v0, v12
	ds_bpermute_b32 v13, v11, v1
	ds_bpermute_b32 v14, v11, v8
	;; [unrolled: 1-line block ×4, first 2 shown]
	s_wait_dscnt 0x2
	v_dual_add_f32 v10, v1, v13 :: v_dual_add_f32 v1, v8, v14
	s_wait_dscnt 0x1
	v_add_f32_e32 v9, v9, v11
	ds_bpermute_b32 v13, v15, v10
	ds_bpermute_b32 v8, v15, v1
	;; [unrolled: 1-line block ×3, first 2 shown]
	s_and_b32 exec_lo, exec_lo, vcc_lo
	s_cbranch_execz .LBB217_19
; %bb.15:
	s_load_b64 s[2:3], s[0:1], 0x38
	v_cmp_eq_f32_e32 vcc_lo, 0, v4
	s_wait_xcnt 0x0
	v_cmp_eq_f32_e64 s0, 0, v5
	s_wait_dscnt 0x2
	v_dual_add_f32 v0, v0, v12 :: v_dual_add_f32 v12, v10, v13
	s_wait_dscnt 0x1
	v_add_f32_e32 v8, v1, v8
	s_wait_dscnt 0x0
	v_add_f32_e32 v10, v9, v11
	s_and_b32 s0, vcc_lo, s0
	s_delay_alu instid0(SALU_CYCLE_1) | instskip(NEXT) | instid1(SALU_CYCLE_1)
	s_and_saveexec_b32 s1, s0
	s_xor_b32 s0, exec_lo, s1
	s_cbranch_execz .LBB217_17
; %bb.16:
	v_xor_b32_e32 v4, 0x80000000, v3
	v_dual_mov_b32 v5, v2 :: v_dual_lshlrev_b32 v6, 1, v6
	s_delay_alu instid0(VALU_DEP_1) | instskip(NEXT) | instid1(VALU_DEP_2)
	v_ashrrev_i32_e32 v7, 31, v6
	v_pk_mul_f32 v[12:13], v[12:13], v[4:5] op_sel_hi:[0,1]
	v_pk_mul_f32 v[4:5], v[10:11], v[4:5] op_sel_hi:[0,1]
                                        ; implicit-def: $vgpr10
	s_wait_kmcnt 0x0
	s_delay_alu instid0(VALU_DEP_3) | instskip(NEXT) | instid1(VALU_DEP_3)
	v_lshl_add_u64 v[6:7], v[6:7], 3, s[2:3]
	v_pk_fma_f32 v[0:1], v[2:3], v[0:1], v[12:13] op_sel_hi:[1,0,1]
	s_delay_alu instid0(VALU_DEP_3)
	v_pk_fma_f32 v[2:3], v[2:3], v[8:9], v[4:5] op_sel_hi:[1,0,1]
                                        ; implicit-def: $vgpr4_vgpr5
                                        ; implicit-def: $vgpr12
                                        ; implicit-def: $vgpr8
	global_store_b128 v[6:7], v[0:3], off
                                        ; implicit-def: $vgpr6
                                        ; implicit-def: $vgpr2_vgpr3
                                        ; implicit-def: $vgpr0
.LBB217_17:
	s_wait_xcnt 0x0
	s_and_not1_saveexec_b32 s0, s0
	s_cbranch_execz .LBB217_19
; %bb.18:
	v_dual_mov_b32 v19, v2 :: v_dual_lshlrev_b32 v6, 1, v6
	v_xor_b32_e32 v18, 0x80000000, v3
	s_delay_alu instid0(VALU_DEP_2) | instskip(NEXT) | instid1(VALU_DEP_2)
	v_ashrrev_i32_e32 v7, 31, v6
	v_pk_mul_f32 v[12:13], v[12:13], v[18:19] op_sel_hi:[0,1]
	v_pk_mul_f32 v[10:11], v[10:11], v[18:19] op_sel_hi:[0,1]
	s_delay_alu instid0(VALU_DEP_2) | instskip(NEXT) | instid1(VALU_DEP_2)
	v_pk_fma_f32 v[0:1], v[2:3], v[0:1], v[12:13] op_sel_hi:[1,0,1]
	v_pk_fma_f32 v[2:3], v[2:3], v[8:9], v[10:11] op_sel_hi:[1,0,1]
	v_mov_b32_e32 v9, v4
	s_wait_kmcnt 0x0
	v_lshl_add_u64 v[6:7], v[6:7], 3, s[2:3]
	v_xor_b32_e32 v8, 0x80000000, v5
	global_load_b128 v[14:17], v[6:7], off
	s_wait_loadcnt 0x0
	v_pk_fma_f32 v[0:1], v[4:5], v[14:15], v[0:1] op_sel_hi:[1,0,1]
	v_pk_fma_f32 v[2:3], v[4:5], v[16:17], v[2:3] op_sel_hi:[1,0,1]
	v_mov_b32_e32 v4, v17
	s_delay_alu instid0(VALU_DEP_3) | instskip(NEXT) | instid1(VALU_DEP_2)
	v_pk_fma_f32 v[0:1], v[8:9], v[14:15], v[0:1] op_sel:[0,1,0]
	v_pk_fma_f32 v[2:3], v[8:9], v[4:5], v[2:3] op_sel_hi:[1,0,1]
	global_store_b128 v[6:7], v[0:3], off
.LBB217_19:
	s_sendmsg sendmsg(MSG_DEALLOC_VGPRS)
	s_endpgm
	.section	.rodata,"a",@progbits
	.p2align	6, 0x0
	.amdhsa_kernel _ZN9rocsparseL19gebsrmvn_2xn_kernelILj128ELj15ELj4E21rocsparse_complex_numIfEEEvi20rocsparse_direction_NS_24const_host_device_scalarIT2_EEPKiS8_PKS5_SA_S6_PS5_21rocsparse_index_base_b
		.amdhsa_group_segment_fixed_size 0
		.amdhsa_private_segment_fixed_size 0
		.amdhsa_kernarg_size 72
		.amdhsa_user_sgpr_count 2
		.amdhsa_user_sgpr_dispatch_ptr 0
		.amdhsa_user_sgpr_queue_ptr 0
		.amdhsa_user_sgpr_kernarg_segment_ptr 1
		.amdhsa_user_sgpr_dispatch_id 0
		.amdhsa_user_sgpr_kernarg_preload_length 0
		.amdhsa_user_sgpr_kernarg_preload_offset 0
		.amdhsa_user_sgpr_private_segment_size 0
		.amdhsa_wavefront_size32 1
		.amdhsa_uses_dynamic_stack 0
		.amdhsa_enable_private_segment 0
		.amdhsa_system_sgpr_workgroup_id_x 1
		.amdhsa_system_sgpr_workgroup_id_y 0
		.amdhsa_system_sgpr_workgroup_id_z 0
		.amdhsa_system_sgpr_workgroup_info 0
		.amdhsa_system_vgpr_workitem_id 0
		.amdhsa_next_free_vgpr 100
		.amdhsa_next_free_sgpr 14
		.amdhsa_named_barrier_count 0
		.amdhsa_reserve_vcc 1
		.amdhsa_float_round_mode_32 0
		.amdhsa_float_round_mode_16_64 0
		.amdhsa_float_denorm_mode_32 3
		.amdhsa_float_denorm_mode_16_64 3
		.amdhsa_fp16_overflow 0
		.amdhsa_memory_ordered 1
		.amdhsa_forward_progress 1
		.amdhsa_inst_pref_size 33
		.amdhsa_round_robin_scheduling 0
		.amdhsa_exception_fp_ieee_invalid_op 0
		.amdhsa_exception_fp_denorm_src 0
		.amdhsa_exception_fp_ieee_div_zero 0
		.amdhsa_exception_fp_ieee_overflow 0
		.amdhsa_exception_fp_ieee_underflow 0
		.amdhsa_exception_fp_ieee_inexact 0
		.amdhsa_exception_int_div_zero 0
	.end_amdhsa_kernel
	.section	.text._ZN9rocsparseL19gebsrmvn_2xn_kernelILj128ELj15ELj4E21rocsparse_complex_numIfEEEvi20rocsparse_direction_NS_24const_host_device_scalarIT2_EEPKiS8_PKS5_SA_S6_PS5_21rocsparse_index_base_b,"axG",@progbits,_ZN9rocsparseL19gebsrmvn_2xn_kernelILj128ELj15ELj4E21rocsparse_complex_numIfEEEvi20rocsparse_direction_NS_24const_host_device_scalarIT2_EEPKiS8_PKS5_SA_S6_PS5_21rocsparse_index_base_b,comdat
.Lfunc_end217:
	.size	_ZN9rocsparseL19gebsrmvn_2xn_kernelILj128ELj15ELj4E21rocsparse_complex_numIfEEEvi20rocsparse_direction_NS_24const_host_device_scalarIT2_EEPKiS8_PKS5_SA_S6_PS5_21rocsparse_index_base_b, .Lfunc_end217-_ZN9rocsparseL19gebsrmvn_2xn_kernelILj128ELj15ELj4E21rocsparse_complex_numIfEEEvi20rocsparse_direction_NS_24const_host_device_scalarIT2_EEPKiS8_PKS5_SA_S6_PS5_21rocsparse_index_base_b
                                        ; -- End function
	.set _ZN9rocsparseL19gebsrmvn_2xn_kernelILj128ELj15ELj4E21rocsparse_complex_numIfEEEvi20rocsparse_direction_NS_24const_host_device_scalarIT2_EEPKiS8_PKS5_SA_S6_PS5_21rocsparse_index_base_b.num_vgpr, 100
	.set _ZN9rocsparseL19gebsrmvn_2xn_kernelILj128ELj15ELj4E21rocsparse_complex_numIfEEEvi20rocsparse_direction_NS_24const_host_device_scalarIT2_EEPKiS8_PKS5_SA_S6_PS5_21rocsparse_index_base_b.num_agpr, 0
	.set _ZN9rocsparseL19gebsrmvn_2xn_kernelILj128ELj15ELj4E21rocsparse_complex_numIfEEEvi20rocsparse_direction_NS_24const_host_device_scalarIT2_EEPKiS8_PKS5_SA_S6_PS5_21rocsparse_index_base_b.numbered_sgpr, 14
	.set _ZN9rocsparseL19gebsrmvn_2xn_kernelILj128ELj15ELj4E21rocsparse_complex_numIfEEEvi20rocsparse_direction_NS_24const_host_device_scalarIT2_EEPKiS8_PKS5_SA_S6_PS5_21rocsparse_index_base_b.num_named_barrier, 0
	.set _ZN9rocsparseL19gebsrmvn_2xn_kernelILj128ELj15ELj4E21rocsparse_complex_numIfEEEvi20rocsparse_direction_NS_24const_host_device_scalarIT2_EEPKiS8_PKS5_SA_S6_PS5_21rocsparse_index_base_b.private_seg_size, 0
	.set _ZN9rocsparseL19gebsrmvn_2xn_kernelILj128ELj15ELj4E21rocsparse_complex_numIfEEEvi20rocsparse_direction_NS_24const_host_device_scalarIT2_EEPKiS8_PKS5_SA_S6_PS5_21rocsparse_index_base_b.uses_vcc, 1
	.set _ZN9rocsparseL19gebsrmvn_2xn_kernelILj128ELj15ELj4E21rocsparse_complex_numIfEEEvi20rocsparse_direction_NS_24const_host_device_scalarIT2_EEPKiS8_PKS5_SA_S6_PS5_21rocsparse_index_base_b.uses_flat_scratch, 1
	.set _ZN9rocsparseL19gebsrmvn_2xn_kernelILj128ELj15ELj4E21rocsparse_complex_numIfEEEvi20rocsparse_direction_NS_24const_host_device_scalarIT2_EEPKiS8_PKS5_SA_S6_PS5_21rocsparse_index_base_b.has_dyn_sized_stack, 0
	.set _ZN9rocsparseL19gebsrmvn_2xn_kernelILj128ELj15ELj4E21rocsparse_complex_numIfEEEvi20rocsparse_direction_NS_24const_host_device_scalarIT2_EEPKiS8_PKS5_SA_S6_PS5_21rocsparse_index_base_b.has_recursion, 0
	.set _ZN9rocsparseL19gebsrmvn_2xn_kernelILj128ELj15ELj4E21rocsparse_complex_numIfEEEvi20rocsparse_direction_NS_24const_host_device_scalarIT2_EEPKiS8_PKS5_SA_S6_PS5_21rocsparse_index_base_b.has_indirect_call, 0
	.section	.AMDGPU.csdata,"",@progbits
; Kernel info:
; codeLenInByte = 4128
; TotalNumSgprs: 16
; NumVgprs: 100
; ScratchSize: 0
; MemoryBound: 0
; FloatMode: 240
; IeeeMode: 1
; LDSByteSize: 0 bytes/workgroup (compile time only)
; SGPRBlocks: 0
; VGPRBlocks: 6
; NumSGPRsForWavesPerEU: 16
; NumVGPRsForWavesPerEU: 100
; NamedBarCnt: 0
; Occupancy: 9
; WaveLimiterHint : 1
; COMPUTE_PGM_RSRC2:SCRATCH_EN: 0
; COMPUTE_PGM_RSRC2:USER_SGPR: 2
; COMPUTE_PGM_RSRC2:TRAP_HANDLER: 0
; COMPUTE_PGM_RSRC2:TGID_X_EN: 1
; COMPUTE_PGM_RSRC2:TGID_Y_EN: 0
; COMPUTE_PGM_RSRC2:TGID_Z_EN: 0
; COMPUTE_PGM_RSRC2:TIDIG_COMP_CNT: 0
	.section	.text._ZN9rocsparseL19gebsrmvn_2xn_kernelILj128ELj15ELj8E21rocsparse_complex_numIfEEEvi20rocsparse_direction_NS_24const_host_device_scalarIT2_EEPKiS8_PKS5_SA_S6_PS5_21rocsparse_index_base_b,"axG",@progbits,_ZN9rocsparseL19gebsrmvn_2xn_kernelILj128ELj15ELj8E21rocsparse_complex_numIfEEEvi20rocsparse_direction_NS_24const_host_device_scalarIT2_EEPKiS8_PKS5_SA_S6_PS5_21rocsparse_index_base_b,comdat
	.globl	_ZN9rocsparseL19gebsrmvn_2xn_kernelILj128ELj15ELj8E21rocsparse_complex_numIfEEEvi20rocsparse_direction_NS_24const_host_device_scalarIT2_EEPKiS8_PKS5_SA_S6_PS5_21rocsparse_index_base_b ; -- Begin function _ZN9rocsparseL19gebsrmvn_2xn_kernelILj128ELj15ELj8E21rocsparse_complex_numIfEEEvi20rocsparse_direction_NS_24const_host_device_scalarIT2_EEPKiS8_PKS5_SA_S6_PS5_21rocsparse_index_base_b
	.p2align	8
	.type	_ZN9rocsparseL19gebsrmvn_2xn_kernelILj128ELj15ELj8E21rocsparse_complex_numIfEEEvi20rocsparse_direction_NS_24const_host_device_scalarIT2_EEPKiS8_PKS5_SA_S6_PS5_21rocsparse_index_base_b,@function
_ZN9rocsparseL19gebsrmvn_2xn_kernelILj128ELj15ELj8E21rocsparse_complex_numIfEEEvi20rocsparse_direction_NS_24const_host_device_scalarIT2_EEPKiS8_PKS5_SA_S6_PS5_21rocsparse_index_base_b: ; @_ZN9rocsparseL19gebsrmvn_2xn_kernelILj128ELj15ELj8E21rocsparse_complex_numIfEEEvi20rocsparse_direction_NS_24const_host_device_scalarIT2_EEPKiS8_PKS5_SA_S6_PS5_21rocsparse_index_base_b
; %bb.0:
	s_clause 0x2
	s_load_b64 s[12:13], s[0:1], 0x40
	s_load_b64 s[2:3], s[0:1], 0x8
	;; [unrolled: 1-line block ×3, first 2 shown]
	v_mov_b32_e32 v1, 0
	s_add_nc_u64 s[6:7], s[0:1], 8
	s_add_nc_u64 s[8:9], s[0:1], 48
	s_wait_kmcnt 0x0
	s_bitcmp1_b32 s13, 0
	s_cselect_b32 s3, s7, s3
	s_cselect_b32 s2, s6, s2
	;; [unrolled: 1-line block ×4, first 2 shown]
	s_clause 0x1
	flat_load_b64 v[2:3], v1, s[2:3]
	flat_load_b64 v[4:5], v1, s[4:5]
	s_wait_loadcnt_dscnt 0x101
	v_cmp_eq_f32_e32 vcc_lo, 0, v2
	v_cmp_eq_f32_e64 s2, 0, v3
	s_wait_loadcnt_dscnt 0x0
	v_cmp_eq_f32_e64 s3, 1.0, v4
	v_cmp_eq_f32_e64 s4, 0, v5
	s_and_b32 s2, vcc_lo, s2
	s_and_b32 s3, s3, s4
	s_delay_alu instid0(SALU_CYCLE_1) | instskip(NEXT) | instid1(SALU_CYCLE_1)
	s_and_b32 s2, s2, s3
	s_xor_b32 s2, s2, -1
	s_delay_alu instid0(SALU_CYCLE_1)
	s_and_saveexec_b32 s3, s2
	s_cbranch_execz .LBB218_19
; %bb.1:
	s_load_b64 s[2:3], s[0:1], 0x0
	s_bfe_u32 s4, ttmp6, 0x4000c
	s_and_b32 s5, ttmp6, 15
	s_add_co_i32 s4, s4, 1
	s_getreg_b32 s6, hwreg(HW_REG_IB_STS2, 6, 4)
	s_mul_i32 s4, ttmp9, s4
	v_lshrrev_b32_e32 v1, 3, v0
	s_add_co_i32 s5, s5, s4
	s_cmp_eq_u32 s6, 0
	s_cselect_b32 s4, ttmp9, s5
	s_delay_alu instid0(VALU_DEP_1) | instid1(SALU_CYCLE_1)
	v_lshl_or_b32 v6, s4, 4, v1
	s_wait_kmcnt 0x0
	s_delay_alu instid0(VALU_DEP_1)
	v_cmp_gt_i32_e32 vcc_lo, s2, v6
	s_and_b32 exec_lo, exec_lo, vcc_lo
	s_cbranch_execz .LBB218_19
; %bb.2:
	s_load_b256 s[4:11], s[0:1], 0x10
	v_ashrrev_i32_e32 v7, 31, v6
	s_cmp_lg_u32 s3, 0
	s_wait_kmcnt 0x0
	s_delay_alu instid0(VALU_DEP_1)
	v_lshl_add_u64 v[8:9], v[6:7], 2, s[4:5]
	v_and_b32_e32 v7, 7, v0
	global_load_b64 v[8:9], v[8:9], off
	s_wait_loadcnt 0x0
	v_subrev_nc_u32_e32 v0, s12, v8
	v_subrev_nc_u32_e32 v12, s12, v9
	s_delay_alu instid0(VALU_DEP_2) | instskip(NEXT) | instid1(VALU_DEP_1)
	v_add_nc_u32_e32 v13, v0, v7
	v_cmp_lt_i32_e64 s2, v13, v12
	s_cbranch_scc0 .LBB218_8
; %bb.3:
	v_mov_b32_e32 v1, 0
	s_delay_alu instid0(VALU_DEP_1)
	v_dual_mov_b32 v0, v1 :: v_dual_mov_b32 v9, v1
	v_mov_b32_e32 v8, v1
	s_and_saveexec_b32 s3, s2
	s_cbranch_execz .LBB218_7
; %bb.4:
	v_mul_lo_u32 v10, v13, 30
	v_dual_mov_b32 v11, 0 :: v_dual_mov_b32 v14, v13
	s_mov_b32 s4, 0
	s_delay_alu instid0(VALU_DEP_1)
	v_dual_mov_b32 v8, v11 :: v_dual_mov_b32 v9, v11
	v_dual_mov_b32 v0, v11 :: v_dual_mov_b32 v1, v11
.LBB218_5:                              ; =>This Inner Loop Header: Depth=1
	global_load_b32 v15, v14, s[6:7] scale_offset
	v_dual_mov_b32 v17, v11 :: v_dual_add_nc_u32 v16, 2, v10
	v_lshl_add_u64 v[24:25], v[10:11], 3, s[8:9]
	v_dual_mov_b32 v27, v11 :: v_dual_add_nc_u32 v26, 4, v10
	v_dual_mov_b32 v29, v11 :: v_dual_add_nc_u32 v28, 6, v10
	s_delay_alu instid0(VALU_DEP_4)
	v_lshl_add_u64 v[30:31], v[16:17], 3, s[8:9]
	s_clause 0x1
	global_load_b128 v[16:19], v[24:25], off
	global_load_b128 v[20:23], v[30:31], off
	s_wait_xcnt 0x0
	v_lshl_add_u64 v[30:31], v[26:27], 3, s[8:9]
	v_dual_mov_b32 v33, v11 :: v_dual_add_nc_u32 v32, 8, v10
	v_dual_mov_b32 v37, v11 :: v_dual_add_nc_u32 v36, 10, v10
	;; [unrolled: 1-line block ×7, first 2 shown]
	v_dual_add_nc_u32 v52, 18, v10 :: v_dual_add_nc_u32 v56, 22, v10
	v_add_nc_u32_e32 v82, 26, v10
	s_delay_alu instid0(VALU_DEP_4) | instskip(SKIP_1) | instid1(VALU_DEP_1)
	v_lshl_add_u64 v[96:97], v[60:61], 3, s[8:9]
	v_add_nc_u32_e32 v14, 8, v14
	v_cmp_ge_i32_e32 vcc_lo, v14, v12
	s_or_b32 s4, vcc_lo, s4
	s_wait_loadcnt 0x2
	v_subrev_nc_u32_e32 v15, s12, v15
	s_delay_alu instid0(VALU_DEP_1)
	v_mul_lo_u32 v15, v15, 15
	v_dual_mov_b32 v45, v11 :: v_dual_add_nc_u32 v44, 14, v10
	v_dual_mov_b32 v53, v11 :: v_dual_mov_b32 v57, v11
	v_dual_mov_b32 v83, v11 :: v_dual_add_nc_u32 v10, 0xf0, v10
	global_load_b64 v[68:69], v15, s[10:11] scale_offset
	v_dual_add_nc_u32 v24, 1, v15 :: v_dual_add_nc_u32 v34, 2, v15
	v_dual_add_nc_u32 v38, 3, v15 :: v_dual_add_nc_u32 v42, 4, v15
	v_add_nc_u32_e32 v46, 5, v15
	global_load_b64 v[70:71], v24, s[10:11] scale_offset
	global_load_b128 v[24:27], v[30:31], off
	global_load_b64 v[72:73], v34, s[10:11] scale_offset
	s_wait_xcnt 0x0
	v_lshl_add_u64 v[34:35], v[28:29], 3, s[8:9]
	global_load_b128 v[28:31], v[34:35], off
	global_load_b64 v[74:75], v38, s[10:11] scale_offset
	s_wait_xcnt 0x0
	v_lshl_add_u64 v[38:39], v[32:33], 3, s[8:9]
	;; [unrolled: 4-line block ×4, first 2 shown]
	v_add_nc_u32_e32 v50, 6, v15
	global_load_b128 v[40:43], v[46:47], off
	global_load_b64 v[80:81], v50, s[10:11] scale_offset
	s_wait_xcnt 0x0
	v_lshl_add_u64 v[50:51], v[44:45], 3, s[8:9]
	v_add_nc_u32_e32 v58, 7, v15
	global_load_b128 v[44:47], v[50:51], off
	global_load_b64 v[84:85], v58, s[10:11] scale_offset
	s_wait_xcnt 0x0
	v_lshl_add_u64 v[58:59], v[48:49], 3, s[8:9]
	;; [unrolled: 5-line block ×3, first 2 shown]
	v_add_nc_u32_e32 v64, 9, v15
	s_wait_xcnt 0x0
	v_lshl_add_u64 v[62:63], v[54:55], 3, s[8:9]
	global_load_b128 v[52:55], v[58:59], off
	global_load_b64 v[90:91], v64, s[10:11] scale_offset
	s_wait_xcnt 0x0
	v_add_nc_u32_e32 v64, 10, v15
	v_lshl_add_u64 v[92:93], v[56:57], 3, s[8:9]
	global_load_b128 v[56:59], v[62:63], off
	global_load_b64 v[94:95], v64, s[10:11] scale_offset
	s_clause 0x1
	global_load_b128 v[60:63], v[92:93], off
	global_load_b128 v[64:67], v[96:97], off
	s_wait_xcnt 0x0
	v_dual_add_nc_u32 v96, 11, v15 :: v_dual_add_nc_u32 v98, 12, v15
	s_wait_loadcnt 0x17
	v_xor_b32_e32 v92, 0x80000000, v19
	v_mov_b32_e32 v93, v18
	global_load_b64 v[96:97], v96, s[10:11] scale_offset
	s_wait_loadcnt 0x16
	v_pk_fma_f32 v[0:1], v[16:17], v[68:69], v[0:1] op_sel_hi:[1,0,1]
	v_pk_fma_f32 v[8:9], v[18:19], v[68:69], v[8:9] op_sel_hi:[1,0,1]
	s_delay_alu instid0(VALU_DEP_2)
	v_pk_fma_f32 v[0:1], v[16:17], v[68:69], v[0:1] op_sel:[1,1,0] op_sel_hi:[0,1,1] neg_lo:[1,0,0]
	v_lshl_add_u64 v[16:17], v[82:83], 3, s[8:9]
	v_lshl_add_u64 v[82:83], v[86:87], 3, s[8:9]
	v_add_nc_u32_e32 v86, 13, v15
	global_load_b64 v[98:99], v98, s[10:11] scale_offset
	v_pk_fma_f32 v[8:9], v[92:93], v[68:69], v[8:9] op_sel:[0,1,0]
	global_load_b128 v[16:19], v[16:17], off
	s_wait_loadcnt 0x17
	v_pk_fma_f32 v[0:1], v[20:21], v[70:71], v[0:1] op_sel_hi:[1,0,1]
	global_load_b64 v[86:87], v86, s[10:11] scale_offset
	v_dual_mov_b32 v69, v22 :: v_dual_add_nc_u32 v15, 14, v15
	v_xor_b32_e32 v68, 0x80000000, v23
	v_pk_fma_f32 v[8:9], v[22:23], v[70:71], v[8:9] op_sel_hi:[1,0,1]
	v_pk_fma_f32 v[0:1], v[20:21], v[70:71], v[0:1] op_sel:[1,1,0] op_sel_hi:[0,1,1] neg_lo:[1,0,0]
	global_load_b128 v[20:23], v[82:83], off
	global_load_b64 v[92:93], v15, s[10:11] scale_offset
	v_pk_fma_f32 v[8:9], v[68:69], v[70:71], v[8:9] op_sel:[0,1,0]
	s_wait_loadcnt 0x18
	v_pk_fma_f32 v[0:1], v[24:25], v[72:73], v[0:1] op_sel_hi:[1,0,1]
	v_xor_b32_e32 v68, 0x80000000, v27
	v_mov_b32_e32 v69, v26
	v_pk_fma_f32 v[8:9], v[26:27], v[72:73], v[8:9] op_sel_hi:[1,0,1]
	s_delay_alu instid0(VALU_DEP_4)
	v_pk_fma_f32 v[0:1], v[24:25], v[72:73], v[0:1] op_sel:[1,1,0] op_sel_hi:[0,1,1] neg_lo:[1,0,0]
	s_wait_loadcnt 0x17
	v_mov_b32_e32 v25, v30
	v_xor_b32_e32 v24, 0x80000000, v31
	v_pk_fma_f32 v[8:9], v[68:69], v[72:73], v[8:9] op_sel:[0,1,0]
	s_wait_loadcnt 0x16
	v_pk_fma_f32 v[0:1], v[28:29], v[74:75], v[0:1] op_sel_hi:[1,0,1]
	s_delay_alu instid0(VALU_DEP_2) | instskip(NEXT) | instid1(VALU_DEP_2)
	v_pk_fma_f32 v[8:9], v[30:31], v[74:75], v[8:9] op_sel_hi:[1,0,1]
	v_pk_fma_f32 v[0:1], v[28:29], v[74:75], v[0:1] op_sel:[1,1,0] op_sel_hi:[0,1,1] neg_lo:[1,0,0]
	s_delay_alu instid0(VALU_DEP_2) | instskip(SKIP_1) | instid1(VALU_DEP_2)
	v_pk_fma_f32 v[8:9], v[24:25], v[74:75], v[8:9] op_sel:[0,1,0]
	s_wait_loadcnt 0x14
	v_pk_fma_f32 v[0:1], v[32:33], v[76:77], v[0:1] op_sel_hi:[1,0,1]
	v_xor_b32_e32 v24, 0x80000000, v35
	v_mov_b32_e32 v25, v34
	v_pk_fma_f32 v[8:9], v[34:35], v[76:77], v[8:9] op_sel_hi:[1,0,1]
	s_delay_alu instid0(VALU_DEP_4) | instskip(NEXT) | instid1(VALU_DEP_2)
	v_pk_fma_f32 v[0:1], v[32:33], v[76:77], v[0:1] op_sel:[1,1,0] op_sel_hi:[0,1,1] neg_lo:[1,0,0]
	v_pk_fma_f32 v[8:9], v[24:25], v[76:77], v[8:9] op_sel:[0,1,0]
	s_wait_loadcnt 0x12
	s_delay_alu instid0(VALU_DEP_2) | instskip(SKIP_3) | instid1(VALU_DEP_4)
	v_pk_fma_f32 v[0:1], v[36:37], v[78:79], v[0:1] op_sel_hi:[1,0,1]
	v_xor_b32_e32 v24, 0x80000000, v39
	v_mov_b32_e32 v25, v38
	v_pk_fma_f32 v[8:9], v[38:39], v[78:79], v[8:9] op_sel_hi:[1,0,1]
	v_pk_fma_f32 v[0:1], v[36:37], v[78:79], v[0:1] op_sel:[1,1,0] op_sel_hi:[0,1,1] neg_lo:[1,0,0]
	s_wait_loadcnt 0x10
	s_delay_alu instid0(VALU_DEP_1) | instskip(NEXT) | instid1(VALU_DEP_1)
	v_pk_fma_f32 v[0:1], v[40:41], v[80:81], v[0:1] op_sel_hi:[1,0,1]
	v_pk_fma_f32 v[0:1], v[40:41], v[80:81], v[0:1] op_sel:[1,1,0] op_sel_hi:[0,1,1] neg_lo:[1,0,0]
	s_wait_loadcnt 0xe
	s_delay_alu instid0(VALU_DEP_1) | instskip(NEXT) | instid1(VALU_DEP_1)
	;; [unrolled: 4-line block ×8, first 2 shown]
	v_pk_fma_f32 v[0:1], v[16:17], v[86:87], v[0:1] op_sel_hi:[1,0,1]
	v_pk_fma_f32 v[0:1], v[16:17], v[86:87], v[0:1] op_sel:[1,1,0] op_sel_hi:[0,1,1] neg_lo:[1,0,0]
	s_wait_loadcnt 0x1
	v_mov_b32_e32 v17, v22
	v_pk_fma_f32 v[8:9], v[24:25], v[78:79], v[8:9] op_sel:[0,1,0]
	v_xor_b32_e32 v24, 0x80000000, v43
	v_mov_b32_e32 v25, v42
	v_xor_b32_e32 v16, 0x80000000, v23
	s_wait_loadcnt 0x0
	v_pk_fma_f32 v[0:1], v[20:21], v[92:93], v[0:1] op_sel_hi:[1,0,1]
	v_pk_fma_f32 v[8:9], v[42:43], v[80:81], v[8:9] op_sel_hi:[1,0,1]
	s_delay_alu instid0(VALU_DEP_2) | instskip(NEXT) | instid1(VALU_DEP_2)
	v_pk_fma_f32 v[0:1], v[20:21], v[92:93], v[0:1] op_sel:[1,1,0] op_sel_hi:[0,1,1] neg_lo:[1,0,0]
	v_pk_fma_f32 v[8:9], v[24:25], v[80:81], v[8:9] op_sel:[0,1,0]
	v_xor_b32_e32 v24, 0x80000000, v47
	v_mov_b32_e32 v25, v46
	s_delay_alu instid0(VALU_DEP_3) | instskip(NEXT) | instid1(VALU_DEP_1)
	v_pk_fma_f32 v[8:9], v[46:47], v[84:85], v[8:9] op_sel_hi:[1,0,1]
	v_pk_fma_f32 v[8:9], v[24:25], v[84:85], v[8:9] op_sel:[0,1,0]
	v_xor_b32_e32 v24, 0x80000000, v51
	v_mov_b32_e32 v25, v50
	s_delay_alu instid0(VALU_DEP_3) | instskip(NEXT) | instid1(VALU_DEP_1)
	v_pk_fma_f32 v[8:9], v[50:51], v[88:89], v[8:9] op_sel_hi:[1,0,1]
	;; [unrolled: 5-line block ×7, first 2 shown]
	v_pk_fma_f32 v[8:9], v[24:25], v[86:87], v[8:9] op_sel:[0,1,0]
	s_delay_alu instid0(VALU_DEP_1) | instskip(NEXT) | instid1(VALU_DEP_1)
	v_pk_fma_f32 v[8:9], v[22:23], v[92:93], v[8:9] op_sel_hi:[1,0,1]
	v_pk_fma_f32 v[8:9], v[16:17], v[92:93], v[8:9] op_sel:[0,1,0]
	s_and_not1_b32 exec_lo, exec_lo, s4
	s_cbranch_execnz .LBB218_5
; %bb.6:
	s_or_b32 exec_lo, exec_lo, s4
.LBB218_7:
	s_delay_alu instid0(SALU_CYCLE_1)
	s_or_b32 exec_lo, exec_lo, s3
	s_cbranch_execz .LBB218_9
	s_branch .LBB218_14
.LBB218_8:
                                        ; implicit-def: $vgpr1
                                        ; implicit-def: $vgpr9
.LBB218_9:
	v_mov_b32_e32 v1, 0
	s_delay_alu instid0(VALU_DEP_1)
	v_dual_mov_b32 v0, v1 :: v_dual_mov_b32 v9, v1
	v_mov_b32_e32 v8, v1
	s_and_saveexec_b32 s3, s2
	s_cbranch_execz .LBB218_13
; %bb.10:
	v_mad_u32 v14, v13, 30, 29
	v_mov_b32_e32 v11, 0
	s_mov_b32 s2, 0
	s_delay_alu instid0(VALU_DEP_1)
	v_dual_mov_b32 v8, v11 :: v_dual_mov_b32 v9, v11
	v_dual_mov_b32 v0, v11 :: v_dual_mov_b32 v1, v11
.LBB218_11:                             ; =>This Inner Loop Header: Depth=1
	global_load_b32 v15, v13, s[6:7] scale_offset
	v_subrev_nc_u32_e32 v10, 29, v14
	v_dual_add_nc_u32 v34, -14, v14 :: v_dual_add_nc_u32 v35, -13, v14
	v_subrev_nc_u32_e32 v36, 27, v14
	v_dual_add_nc_u32 v37, -12, v14 :: v_dual_add_nc_u32 v39, -11, v14
	s_delay_alu instid0(VALU_DEP_4)
	v_lshl_add_u64 v[20:21], v[10:11], 3, s[8:9]
	v_subrev_nc_u32_e32 v38, 26, v14
	s_clause 0x6
	global_load_b64 v[22:23], v34, s[8:9] scale_offset
	global_load_b64 v[24:25], v35, s[8:9] scale_offset
	global_load_b64 v[26:27], v36, s[8:9] scale_offset
	global_load_b64 v[28:29], v37, s[8:9] scale_offset
	global_load_b64 v[30:31], v38, s[8:9] scale_offset
	global_load_b64 v[32:33], v39, s[8:9] scale_offset
	global_load_b128 v[16:19], v[20:21], off
	v_subrev_nc_u32_e32 v46, 25, v14
	v_dual_add_nc_u32 v47, -10, v14 :: v_dual_add_nc_u32 v51, -9, v14
	v_subrev_nc_u32_e32 v50, 24, v14
	v_subrev_nc_u32_e32 v64, 23, v14
	v_dual_add_nc_u32 v65, -8, v14 :: v_dual_add_nc_u32 v67, -7, v14
	v_subrev_nc_u32_e32 v66, 22, v14
	;; [unrolled: 3-line block ×4, first 2 shown]
	v_dual_add_nc_u32 v78, -2, v14 :: v_dual_add_nc_u32 v80, -16, v14
	v_dual_add_nc_u32 v81, -1, v14 :: v_dual_add_nc_u32 v82, -15, v14
	s_wait_xcnt 0x7
	v_add_nc_u32_e32 v13, 8, v13
	s_delay_alu instid0(VALU_DEP_1) | instskip(SKIP_3) | instid1(VALU_DEP_1)
	v_cmp_ge_i32_e32 vcc_lo, v13, v12
	s_or_b32 s2, vcc_lo, s2
	s_wait_loadcnt 0x7
	v_subrev_nc_u32_e32 v10, s12, v15
	v_mul_lo_u32 v10, v10, 15
	global_load_b64 v[20:21], v10, s[10:11] scale_offset
	v_dual_add_nc_u32 v15, 1, v10 :: v_dual_add_nc_u32 v40, 2, v10
	v_dual_add_nc_u32 v41, 3, v10 :: v_dual_add_nc_u32 v48, 4, v10
	s_clause 0x2
	global_load_b64 v[34:35], v15, s[10:11] scale_offset
	global_load_b64 v[36:37], v40, s[10:11] scale_offset
	;; [unrolled: 1-line block ×3, first 2 shown]
	s_clause 0x1
	global_load_b64 v[40:41], v46, s[8:9] scale_offset
	global_load_b64 v[42:43], v47, s[8:9] scale_offset
	;; [unrolled: 1-line block ×3, first 2 shown]
	s_clause 0x1
	global_load_b64 v[46:47], v50, s[8:9] scale_offset
	global_load_b64 v[48:49], v51, s[8:9] scale_offset
	v_dual_add_nc_u32 v70, 5, v10 :: v_dual_add_nc_u32 v79, 6, v10
	s_clause 0x2
	global_load_b64 v[50:51], v64, s[8:9] scale_offset
	global_load_b64 v[52:53], v65, s[8:9] scale_offset
	;; [unrolled: 1-line block ×4, first 2 shown]
	s_clause 0x5
	global_load_b64 v[58:59], v67, s[8:9] scale_offset
	global_load_b64 v[60:61], v68, s[8:9] scale_offset
	global_load_b64 v[62:63], v69, s[8:9] scale_offset
	global_load_b64 v[64:65], v72, s[8:9] scale_offset
	global_load_b64 v[66:67], v73, s[8:9] scale_offset
	global_load_b64 v[68:69], v74, s[8:9] scale_offset
	global_load_b64 v[70:71], v79, s[10:11] scale_offset
	s_wait_xcnt 0x2
	v_dual_add_nc_u32 v72, 7, v10 :: v_dual_add_nc_u32 v73, 8, v10
	v_subrev_nc_u32_e32 v15, 17, v14
	s_wait_xcnt 0x0
	v_dual_add_nc_u32 v79, 10, v10 :: v_dual_add_nc_u32 v83, 12, v10
	s_wait_loadcnt 0x13
	v_pk_fma_f32 v[8:9], v[22:23], v[20:21], v[8:9] op_sel_hi:[1,0,1]
	v_pk_fma_f32 v[0:1], v[16:17], v[20:21], v[0:1] op_sel_hi:[1,0,1]
	s_delay_alu instid0(VALU_DEP_2)
	v_pk_fma_f32 v[8:9], v[22:23], v[20:21], v[8:9] op_sel:[1,1,0] op_sel_hi:[0,1,1] neg_lo:[1,0,0]
	global_load_b64 v[22:23], v72, s[10:11] scale_offset
	v_pk_fma_f32 v[0:1], v[16:17], v[20:21], v[0:1] op_sel:[1,1,0] op_sel_hi:[0,1,1] neg_lo:[1,0,0]
	global_load_b64 v[20:21], v73, s[10:11] scale_offset
	v_xor_b32_e32 v16, 0x80000000, v19
	v_mov_b32_e32 v17, v18
	s_wait_loadcnt 0x14
	v_pk_fma_f32 v[8:9], v[24:25], v[34:35], v[8:9] op_sel_hi:[1,0,1]
	v_pk_fma_f32 v[0:1], v[18:19], v[34:35], v[0:1] op_sel_hi:[1,0,1]
	s_clause 0x1
	global_load_b64 v[18:19], v75, s[8:9] scale_offset
	global_load_b64 v[72:73], v76, s[8:9] scale_offset
	s_wait_xcnt 0x0
	v_add_nc_u32_e32 v76, 9, v10
	global_load_b64 v[74:75], v77, s[8:9] scale_offset
	v_pk_fma_f32 v[8:9], v[24:25], v[34:35], v[8:9] op_sel:[1,1,0] op_sel_hi:[0,1,1] neg_lo:[1,0,0]
	v_pk_fma_f32 v[0:1], v[16:17], v[34:35], v[0:1] op_sel:[0,1,0]
	global_load_b64 v[16:17], v76, s[10:11] scale_offset
	s_clause 0x1
	global_load_b64 v[24:25], v15, s[8:9] scale_offset
	global_load_b64 v[34:35], v78, s[8:9] scale_offset
	;; [unrolled: 1-line block ×3, first 2 shown]
	s_wait_xcnt 0x2
	v_add_nc_u32_e32 v15, 11, v10
	s_wait_loadcnt 0x1a
	v_pk_fma_f32 v[0:1], v[26:27], v[36:37], v[0:1] op_sel_hi:[1,0,1]
	v_pk_fma_f32 v[8:9], v[28:29], v[36:37], v[8:9] op_sel_hi:[1,0,1]
	s_delay_alu instid0(VALU_DEP_2)
	v_pk_fma_f32 v[0:1], v[26:27], v[36:37], v[0:1] op_sel:[1,1,0] op_sel_hi:[0,1,1] neg_lo:[1,0,0]
	global_load_b64 v[26:27], v15, s[10:11] scale_offset
	v_pk_fma_f32 v[8:9], v[28:29], v[36:37], v[8:9] op_sel:[1,1,0] op_sel_hi:[0,1,1] neg_lo:[1,0,0]
	s_wait_xcnt 0x0
	v_add_nc_u32_e32 v15, 13, v10
	s_clause 0x1
	global_load_b64 v[28:29], v80, s[8:9] scale_offset
	global_load_b64 v[36:37], v81, s[8:9] scale_offset
	;; [unrolled: 1-line block ×3, first 2 shown]
	s_wait_loadcnt 0x1d
	v_pk_fma_f32 v[0:1], v[30:31], v[38:39], v[0:1] op_sel_hi:[1,0,1]
	v_add_nc_u32_e32 v10, 14, v10
	v_pk_fma_f32 v[8:9], v[32:33], v[38:39], v[8:9] op_sel_hi:[1,0,1]
	s_delay_alu instid0(VALU_DEP_3)
	v_pk_fma_f32 v[0:1], v[30:31], v[38:39], v[0:1] op_sel:[1,1,0] op_sel_hi:[0,1,1] neg_lo:[1,0,0]
	global_load_b64 v[30:31], v15, s[10:11] scale_offset
	v_pk_fma_f32 v[8:9], v[32:33], v[38:39], v[8:9] op_sel:[1,1,0] op_sel_hi:[0,1,1] neg_lo:[1,0,0]
	s_clause 0x1
	global_load_b64 v[32:33], v14, s[8:9] scale_offset
	global_load_b64 v[38:39], v82, s[8:9] scale_offset
	;; [unrolled: 1-line block ×3, first 2 shown]
	s_wait_xcnt 0x2
	v_add_nc_u32_e32 v14, 0xf0, v14
	s_wait_loadcnt 0x1e
	v_pk_fma_f32 v[0:1], v[40:41], v[44:45], v[0:1] op_sel_hi:[1,0,1]
	v_pk_fma_f32 v[8:9], v[42:43], v[44:45], v[8:9] op_sel_hi:[1,0,1]
	s_delay_alu instid0(VALU_DEP_2) | instskip(NEXT) | instid1(VALU_DEP_2)
	v_pk_fma_f32 v[0:1], v[40:41], v[44:45], v[0:1] op_sel:[1,1,0] op_sel_hi:[0,1,1] neg_lo:[1,0,0]
	v_pk_fma_f32 v[8:9], v[42:43], v[44:45], v[8:9] op_sel:[1,1,0] op_sel_hi:[0,1,1] neg_lo:[1,0,0]
	s_wait_loadcnt 0x18
	s_delay_alu instid0(VALU_DEP_2) | instskip(NEXT) | instid1(VALU_DEP_2)
	v_pk_fma_f32 v[0:1], v[46:47], v[56:57], v[0:1] op_sel_hi:[1,0,1]
	v_pk_fma_f32 v[8:9], v[48:49], v[56:57], v[8:9] op_sel_hi:[1,0,1]
	s_delay_alu instid0(VALU_DEP_2) | instskip(NEXT) | instid1(VALU_DEP_2)
	v_pk_fma_f32 v[0:1], v[46:47], v[56:57], v[0:1] op_sel:[1,1,0] op_sel_hi:[0,1,1] neg_lo:[1,0,0]
	v_pk_fma_f32 v[8:9], v[48:49], v[56:57], v[8:9] op_sel:[1,1,0] op_sel_hi:[0,1,1] neg_lo:[1,0,0]
	s_wait_loadcnt 0x11
	s_delay_alu instid0(VALU_DEP_2) | instskip(NEXT) | instid1(VALU_DEP_2)
	;; [unrolled: 7-line block ×10, first 2 shown]
	v_pk_fma_f32 v[0:1], v[38:39], v[80:81], v[0:1] op_sel_hi:[1,0,1]
	v_pk_fma_f32 v[8:9], v[32:33], v[80:81], v[8:9] op_sel_hi:[1,0,1]
	s_delay_alu instid0(VALU_DEP_2) | instskip(NEXT) | instid1(VALU_DEP_2)
	v_pk_fma_f32 v[0:1], v[38:39], v[80:81], v[0:1] op_sel:[1,1,0] op_sel_hi:[0,1,1] neg_lo:[1,0,0]
	v_pk_fma_f32 v[8:9], v[32:33], v[80:81], v[8:9] op_sel:[1,1,0] op_sel_hi:[0,1,1] neg_lo:[1,0,0]
	s_and_not1_b32 exec_lo, exec_lo, s2
	s_cbranch_execnz .LBB218_11
; %bb.12:
	s_or_b32 exec_lo, exec_lo, s2
.LBB218_13:
	s_delay_alu instid0(SALU_CYCLE_1)
	s_or_b32 exec_lo, exec_lo, s3
.LBB218_14:
	v_mbcnt_lo_u32_b32 v10, -1, 0
	s_delay_alu instid0(VALU_DEP_1) | instskip(SKIP_1) | instid1(VALU_DEP_1)
	v_xor_b32_e32 v15, 2, v10
	v_xor_b32_e32 v11, 4, v10
	v_cmp_gt_i32_e32 vcc_lo, 32, v11
	v_cndmask_b32_e32 v11, v10, v11, vcc_lo
	s_delay_alu instid0(VALU_DEP_1)
	v_lshlrev_b32_e32 v11, 2, v11
	ds_bpermute_b32 v13, v11, v1
	s_wait_dscnt 0x0
	v_add_f32_e32 v1, v1, v13
	ds_bpermute_b32 v12, v11, v0
	ds_bpermute_b32 v14, v11, v8
	;; [unrolled: 1-line block ×3, first 2 shown]
	s_wait_dscnt 0x2
	v_add_f32_e32 v0, v0, v12
	s_wait_dscnt 0x0
	v_dual_add_f32 v12, v8, v14 :: v_dual_add_f32 v9, v9, v11
	v_cmp_gt_i32_e32 vcc_lo, 32, v15
	v_cndmask_b32_e32 v15, v10, v15, vcc_lo
	s_delay_alu instid0(VALU_DEP_1)
	v_lshlrev_b32_e32 v15, 2, v15
	ds_bpermute_b32 v8, v15, v0
	ds_bpermute_b32 v11, v15, v1
	;; [unrolled: 1-line block ×4, first 2 shown]
	s_wait_dscnt 0x3
	v_dual_add_f32 v0, v0, v8 :: v_dual_bitop2_b32 v15, 1, v10 bitop3:0x14
	s_delay_alu instid0(VALU_DEP_1)
	v_cmp_gt_i32_e32 vcc_lo, 32, v15
	s_wait_dscnt 0x1
	v_dual_add_f32 v8, v1, v11 :: v_dual_add_f32 v1, v12, v13
	s_wait_dscnt 0x0
	v_dual_add_f32 v9, v9, v14 :: v_dual_cndmask_b32 v10, v10, v15
	v_cmp_eq_u32_e32 vcc_lo, 7, v7
	s_delay_alu instid0(VALU_DEP_2)
	v_lshlrev_b32_e32 v15, 2, v10
	ds_bpermute_b32 v12, v15, v0
	ds_bpermute_b32 v13, v15, v8
	;; [unrolled: 1-line block ×4, first 2 shown]
	s_and_b32 exec_lo, exec_lo, vcc_lo
	s_cbranch_execz .LBB218_19
; %bb.15:
	s_load_b64 s[2:3], s[0:1], 0x38
	v_cmp_eq_f32_e32 vcc_lo, 0, v4
	s_wait_xcnt 0x0
	v_cmp_eq_f32_e64 s0, 0, v5
	s_wait_dscnt 0x3
	v_add_f32_e32 v0, v0, v12
	s_wait_dscnt 0x1
	v_dual_add_f32 v12, v8, v13 :: v_dual_add_f32 v8, v1, v10
	s_wait_dscnt 0x0
	v_add_f32_e32 v10, v9, v11
	s_and_b32 s0, vcc_lo, s0
	s_delay_alu instid0(SALU_CYCLE_1) | instskip(NEXT) | instid1(SALU_CYCLE_1)
	s_and_saveexec_b32 s1, s0
	s_xor_b32 s0, exec_lo, s1
	s_cbranch_execz .LBB218_17
; %bb.16:
	v_xor_b32_e32 v4, 0x80000000, v3
	v_dual_mov_b32 v5, v2 :: v_dual_lshlrev_b32 v6, 1, v6
	s_delay_alu instid0(VALU_DEP_1) | instskip(NEXT) | instid1(VALU_DEP_2)
	v_ashrrev_i32_e32 v7, 31, v6
	v_pk_mul_f32 v[12:13], v[12:13], v[4:5] op_sel_hi:[0,1]
	v_pk_mul_f32 v[4:5], v[10:11], v[4:5] op_sel_hi:[0,1]
                                        ; implicit-def: $vgpr10
	s_wait_kmcnt 0x0
	s_delay_alu instid0(VALU_DEP_3) | instskip(NEXT) | instid1(VALU_DEP_3)
	v_lshl_add_u64 v[6:7], v[6:7], 3, s[2:3]
	v_pk_fma_f32 v[0:1], v[2:3], v[0:1], v[12:13] op_sel_hi:[1,0,1]
	s_delay_alu instid0(VALU_DEP_3)
	v_pk_fma_f32 v[2:3], v[2:3], v[8:9], v[4:5] op_sel_hi:[1,0,1]
                                        ; implicit-def: $vgpr4_vgpr5
                                        ; implicit-def: $vgpr12
                                        ; implicit-def: $vgpr8
	global_store_b128 v[6:7], v[0:3], off
                                        ; implicit-def: $vgpr6
                                        ; implicit-def: $vgpr2_vgpr3
                                        ; implicit-def: $vgpr0
.LBB218_17:
	s_wait_xcnt 0x0
	s_and_not1_saveexec_b32 s0, s0
	s_cbranch_execz .LBB218_19
; %bb.18:
	v_dual_mov_b32 v19, v2 :: v_dual_lshlrev_b32 v6, 1, v6
	v_xor_b32_e32 v18, 0x80000000, v3
	s_delay_alu instid0(VALU_DEP_2) | instskip(NEXT) | instid1(VALU_DEP_2)
	v_ashrrev_i32_e32 v7, 31, v6
	v_pk_mul_f32 v[12:13], v[12:13], v[18:19] op_sel_hi:[0,1]
	v_pk_mul_f32 v[10:11], v[10:11], v[18:19] op_sel_hi:[0,1]
	s_delay_alu instid0(VALU_DEP_2) | instskip(NEXT) | instid1(VALU_DEP_2)
	v_pk_fma_f32 v[0:1], v[2:3], v[0:1], v[12:13] op_sel_hi:[1,0,1]
	v_pk_fma_f32 v[2:3], v[2:3], v[8:9], v[10:11] op_sel_hi:[1,0,1]
	v_mov_b32_e32 v9, v4
	s_wait_kmcnt 0x0
	v_lshl_add_u64 v[6:7], v[6:7], 3, s[2:3]
	v_xor_b32_e32 v8, 0x80000000, v5
	global_load_b128 v[14:17], v[6:7], off
	s_wait_loadcnt 0x0
	v_pk_fma_f32 v[0:1], v[4:5], v[14:15], v[0:1] op_sel_hi:[1,0,1]
	v_pk_fma_f32 v[2:3], v[4:5], v[16:17], v[2:3] op_sel_hi:[1,0,1]
	v_mov_b32_e32 v4, v17
	s_delay_alu instid0(VALU_DEP_3) | instskip(NEXT) | instid1(VALU_DEP_2)
	v_pk_fma_f32 v[0:1], v[8:9], v[14:15], v[0:1] op_sel:[0,1,0]
	v_pk_fma_f32 v[2:3], v[8:9], v[4:5], v[2:3] op_sel_hi:[1,0,1]
	global_store_b128 v[6:7], v[0:3], off
.LBB218_19:
	s_sendmsg sendmsg(MSG_DEALLOC_VGPRS)
	s_endpgm
	.section	.rodata,"a",@progbits
	.p2align	6, 0x0
	.amdhsa_kernel _ZN9rocsparseL19gebsrmvn_2xn_kernelILj128ELj15ELj8E21rocsparse_complex_numIfEEEvi20rocsparse_direction_NS_24const_host_device_scalarIT2_EEPKiS8_PKS5_SA_S6_PS5_21rocsparse_index_base_b
		.amdhsa_group_segment_fixed_size 0
		.amdhsa_private_segment_fixed_size 0
		.amdhsa_kernarg_size 72
		.amdhsa_user_sgpr_count 2
		.amdhsa_user_sgpr_dispatch_ptr 0
		.amdhsa_user_sgpr_queue_ptr 0
		.amdhsa_user_sgpr_kernarg_segment_ptr 1
		.amdhsa_user_sgpr_dispatch_id 0
		.amdhsa_user_sgpr_kernarg_preload_length 0
		.amdhsa_user_sgpr_kernarg_preload_offset 0
		.amdhsa_user_sgpr_private_segment_size 0
		.amdhsa_wavefront_size32 1
		.amdhsa_uses_dynamic_stack 0
		.amdhsa_enable_private_segment 0
		.amdhsa_system_sgpr_workgroup_id_x 1
		.amdhsa_system_sgpr_workgroup_id_y 0
		.amdhsa_system_sgpr_workgroup_id_z 0
		.amdhsa_system_sgpr_workgroup_info 0
		.amdhsa_system_vgpr_workitem_id 0
		.amdhsa_next_free_vgpr 100
		.amdhsa_next_free_sgpr 14
		.amdhsa_named_barrier_count 0
		.amdhsa_reserve_vcc 1
		.amdhsa_float_round_mode_32 0
		.amdhsa_float_round_mode_16_64 0
		.amdhsa_float_denorm_mode_32 3
		.amdhsa_float_denorm_mode_16_64 3
		.amdhsa_fp16_overflow 0
		.amdhsa_memory_ordered 1
		.amdhsa_forward_progress 1
		.amdhsa_inst_pref_size 33
		.amdhsa_round_robin_scheduling 0
		.amdhsa_exception_fp_ieee_invalid_op 0
		.amdhsa_exception_fp_denorm_src 0
		.amdhsa_exception_fp_ieee_div_zero 0
		.amdhsa_exception_fp_ieee_overflow 0
		.amdhsa_exception_fp_ieee_underflow 0
		.amdhsa_exception_fp_ieee_inexact 0
		.amdhsa_exception_int_div_zero 0
	.end_amdhsa_kernel
	.section	.text._ZN9rocsparseL19gebsrmvn_2xn_kernelILj128ELj15ELj8E21rocsparse_complex_numIfEEEvi20rocsparse_direction_NS_24const_host_device_scalarIT2_EEPKiS8_PKS5_SA_S6_PS5_21rocsparse_index_base_b,"axG",@progbits,_ZN9rocsparseL19gebsrmvn_2xn_kernelILj128ELj15ELj8E21rocsparse_complex_numIfEEEvi20rocsparse_direction_NS_24const_host_device_scalarIT2_EEPKiS8_PKS5_SA_S6_PS5_21rocsparse_index_base_b,comdat
.Lfunc_end218:
	.size	_ZN9rocsparseL19gebsrmvn_2xn_kernelILj128ELj15ELj8E21rocsparse_complex_numIfEEEvi20rocsparse_direction_NS_24const_host_device_scalarIT2_EEPKiS8_PKS5_SA_S6_PS5_21rocsparse_index_base_b, .Lfunc_end218-_ZN9rocsparseL19gebsrmvn_2xn_kernelILj128ELj15ELj8E21rocsparse_complex_numIfEEEvi20rocsparse_direction_NS_24const_host_device_scalarIT2_EEPKiS8_PKS5_SA_S6_PS5_21rocsparse_index_base_b
                                        ; -- End function
	.set _ZN9rocsparseL19gebsrmvn_2xn_kernelILj128ELj15ELj8E21rocsparse_complex_numIfEEEvi20rocsparse_direction_NS_24const_host_device_scalarIT2_EEPKiS8_PKS5_SA_S6_PS5_21rocsparse_index_base_b.num_vgpr, 100
	.set _ZN9rocsparseL19gebsrmvn_2xn_kernelILj128ELj15ELj8E21rocsparse_complex_numIfEEEvi20rocsparse_direction_NS_24const_host_device_scalarIT2_EEPKiS8_PKS5_SA_S6_PS5_21rocsparse_index_base_b.num_agpr, 0
	.set _ZN9rocsparseL19gebsrmvn_2xn_kernelILj128ELj15ELj8E21rocsparse_complex_numIfEEEvi20rocsparse_direction_NS_24const_host_device_scalarIT2_EEPKiS8_PKS5_SA_S6_PS5_21rocsparse_index_base_b.numbered_sgpr, 14
	.set _ZN9rocsparseL19gebsrmvn_2xn_kernelILj128ELj15ELj8E21rocsparse_complex_numIfEEEvi20rocsparse_direction_NS_24const_host_device_scalarIT2_EEPKiS8_PKS5_SA_S6_PS5_21rocsparse_index_base_b.num_named_barrier, 0
	.set _ZN9rocsparseL19gebsrmvn_2xn_kernelILj128ELj15ELj8E21rocsparse_complex_numIfEEEvi20rocsparse_direction_NS_24const_host_device_scalarIT2_EEPKiS8_PKS5_SA_S6_PS5_21rocsparse_index_base_b.private_seg_size, 0
	.set _ZN9rocsparseL19gebsrmvn_2xn_kernelILj128ELj15ELj8E21rocsparse_complex_numIfEEEvi20rocsparse_direction_NS_24const_host_device_scalarIT2_EEPKiS8_PKS5_SA_S6_PS5_21rocsparse_index_base_b.uses_vcc, 1
	.set _ZN9rocsparseL19gebsrmvn_2xn_kernelILj128ELj15ELj8E21rocsparse_complex_numIfEEEvi20rocsparse_direction_NS_24const_host_device_scalarIT2_EEPKiS8_PKS5_SA_S6_PS5_21rocsparse_index_base_b.uses_flat_scratch, 1
	.set _ZN9rocsparseL19gebsrmvn_2xn_kernelILj128ELj15ELj8E21rocsparse_complex_numIfEEEvi20rocsparse_direction_NS_24const_host_device_scalarIT2_EEPKiS8_PKS5_SA_S6_PS5_21rocsparse_index_base_b.has_dyn_sized_stack, 0
	.set _ZN9rocsparseL19gebsrmvn_2xn_kernelILj128ELj15ELj8E21rocsparse_complex_numIfEEEvi20rocsparse_direction_NS_24const_host_device_scalarIT2_EEPKiS8_PKS5_SA_S6_PS5_21rocsparse_index_base_b.has_recursion, 0
	.set _ZN9rocsparseL19gebsrmvn_2xn_kernelILj128ELj15ELj8E21rocsparse_complex_numIfEEEvi20rocsparse_direction_NS_24const_host_device_scalarIT2_EEPKiS8_PKS5_SA_S6_PS5_21rocsparse_index_base_b.has_indirect_call, 0
	.section	.AMDGPU.csdata,"",@progbits
; Kernel info:
; codeLenInByte = 4216
; TotalNumSgprs: 16
; NumVgprs: 100
; ScratchSize: 0
; MemoryBound: 0
; FloatMode: 240
; IeeeMode: 1
; LDSByteSize: 0 bytes/workgroup (compile time only)
; SGPRBlocks: 0
; VGPRBlocks: 6
; NumSGPRsForWavesPerEU: 16
; NumVGPRsForWavesPerEU: 100
; NamedBarCnt: 0
; Occupancy: 9
; WaveLimiterHint : 1
; COMPUTE_PGM_RSRC2:SCRATCH_EN: 0
; COMPUTE_PGM_RSRC2:USER_SGPR: 2
; COMPUTE_PGM_RSRC2:TRAP_HANDLER: 0
; COMPUTE_PGM_RSRC2:TGID_X_EN: 1
; COMPUTE_PGM_RSRC2:TGID_Y_EN: 0
; COMPUTE_PGM_RSRC2:TGID_Z_EN: 0
; COMPUTE_PGM_RSRC2:TIDIG_COMP_CNT: 0
	.section	.text._ZN9rocsparseL19gebsrmvn_2xn_kernelILj128ELj15ELj16E21rocsparse_complex_numIfEEEvi20rocsparse_direction_NS_24const_host_device_scalarIT2_EEPKiS8_PKS5_SA_S6_PS5_21rocsparse_index_base_b,"axG",@progbits,_ZN9rocsparseL19gebsrmvn_2xn_kernelILj128ELj15ELj16E21rocsparse_complex_numIfEEEvi20rocsparse_direction_NS_24const_host_device_scalarIT2_EEPKiS8_PKS5_SA_S6_PS5_21rocsparse_index_base_b,comdat
	.globl	_ZN9rocsparseL19gebsrmvn_2xn_kernelILj128ELj15ELj16E21rocsparse_complex_numIfEEEvi20rocsparse_direction_NS_24const_host_device_scalarIT2_EEPKiS8_PKS5_SA_S6_PS5_21rocsparse_index_base_b ; -- Begin function _ZN9rocsparseL19gebsrmvn_2xn_kernelILj128ELj15ELj16E21rocsparse_complex_numIfEEEvi20rocsparse_direction_NS_24const_host_device_scalarIT2_EEPKiS8_PKS5_SA_S6_PS5_21rocsparse_index_base_b
	.p2align	8
	.type	_ZN9rocsparseL19gebsrmvn_2xn_kernelILj128ELj15ELj16E21rocsparse_complex_numIfEEEvi20rocsparse_direction_NS_24const_host_device_scalarIT2_EEPKiS8_PKS5_SA_S6_PS5_21rocsparse_index_base_b,@function
_ZN9rocsparseL19gebsrmvn_2xn_kernelILj128ELj15ELj16E21rocsparse_complex_numIfEEEvi20rocsparse_direction_NS_24const_host_device_scalarIT2_EEPKiS8_PKS5_SA_S6_PS5_21rocsparse_index_base_b: ; @_ZN9rocsparseL19gebsrmvn_2xn_kernelILj128ELj15ELj16E21rocsparse_complex_numIfEEEvi20rocsparse_direction_NS_24const_host_device_scalarIT2_EEPKiS8_PKS5_SA_S6_PS5_21rocsparse_index_base_b
; %bb.0:
	s_clause 0x2
	s_load_b64 s[12:13], s[0:1], 0x40
	s_load_b64 s[2:3], s[0:1], 0x8
	;; [unrolled: 1-line block ×3, first 2 shown]
	v_mov_b32_e32 v1, 0
	s_add_nc_u64 s[6:7], s[0:1], 8
	s_add_nc_u64 s[8:9], s[0:1], 48
	s_wait_kmcnt 0x0
	s_bitcmp1_b32 s13, 0
	s_cselect_b32 s3, s7, s3
	s_cselect_b32 s2, s6, s2
	s_cselect_b32 s5, s9, s5
	s_cselect_b32 s4, s8, s4
	s_clause 0x1
	flat_load_b64 v[2:3], v1, s[2:3]
	flat_load_b64 v[4:5], v1, s[4:5]
	s_wait_loadcnt_dscnt 0x101
	v_cmp_eq_f32_e32 vcc_lo, 0, v2
	v_cmp_eq_f32_e64 s2, 0, v3
	s_wait_loadcnt_dscnt 0x0
	v_cmp_eq_f32_e64 s3, 1.0, v4
	v_cmp_eq_f32_e64 s4, 0, v5
	s_and_b32 s2, vcc_lo, s2
	s_and_b32 s3, s3, s4
	s_delay_alu instid0(SALU_CYCLE_1) | instskip(NEXT) | instid1(SALU_CYCLE_1)
	s_and_b32 s2, s2, s3
	s_xor_b32 s2, s2, -1
	s_delay_alu instid0(SALU_CYCLE_1)
	s_and_saveexec_b32 s3, s2
	s_cbranch_execz .LBB219_19
; %bb.1:
	s_load_b64 s[2:3], s[0:1], 0x0
	s_bfe_u32 s4, ttmp6, 0x4000c
	s_and_b32 s5, ttmp6, 15
	s_add_co_i32 s4, s4, 1
	s_getreg_b32 s6, hwreg(HW_REG_IB_STS2, 6, 4)
	s_mul_i32 s4, ttmp9, s4
	v_lshrrev_b32_e32 v1, 4, v0
	s_add_co_i32 s5, s5, s4
	s_cmp_eq_u32 s6, 0
	s_cselect_b32 s4, ttmp9, s5
	s_delay_alu instid0(VALU_DEP_1) | instid1(SALU_CYCLE_1)
	v_lshl_or_b32 v6, s4, 3, v1
	s_wait_kmcnt 0x0
	s_delay_alu instid0(VALU_DEP_1)
	v_cmp_gt_i32_e32 vcc_lo, s2, v6
	s_and_b32 exec_lo, exec_lo, vcc_lo
	s_cbranch_execz .LBB219_19
; %bb.2:
	s_load_b256 s[4:11], s[0:1], 0x10
	v_ashrrev_i32_e32 v7, 31, v6
	s_cmp_lg_u32 s3, 0
	s_wait_kmcnt 0x0
	s_delay_alu instid0(VALU_DEP_1)
	v_lshl_add_u64 v[8:9], v[6:7], 2, s[4:5]
	v_and_b32_e32 v7, 15, v0
	global_load_b64 v[8:9], v[8:9], off
	s_wait_loadcnt 0x0
	v_subrev_nc_u32_e32 v0, s12, v8
	v_subrev_nc_u32_e32 v12, s12, v9
	s_delay_alu instid0(VALU_DEP_2) | instskip(NEXT) | instid1(VALU_DEP_1)
	v_add_nc_u32_e32 v13, v0, v7
	v_cmp_lt_i32_e64 s2, v13, v12
	s_cbranch_scc0 .LBB219_8
; %bb.3:
	v_mov_b32_e32 v1, 0
	s_delay_alu instid0(VALU_DEP_1)
	v_dual_mov_b32 v0, v1 :: v_dual_mov_b32 v9, v1
	v_mov_b32_e32 v8, v1
	s_and_saveexec_b32 s3, s2
	s_cbranch_execz .LBB219_7
; %bb.4:
	v_mul_lo_u32 v10, v13, 30
	v_dual_mov_b32 v11, 0 :: v_dual_mov_b32 v14, v13
	s_mov_b32 s4, 0
	s_delay_alu instid0(VALU_DEP_1)
	v_dual_mov_b32 v8, v11 :: v_dual_mov_b32 v9, v11
	v_dual_mov_b32 v0, v11 :: v_dual_mov_b32 v1, v11
.LBB219_5:                              ; =>This Inner Loop Header: Depth=1
	global_load_b32 v15, v14, s[6:7] scale_offset
	v_dual_mov_b32 v17, v11 :: v_dual_add_nc_u32 v16, 2, v10
	v_lshl_add_u64 v[24:25], v[10:11], 3, s[8:9]
	v_dual_mov_b32 v27, v11 :: v_dual_add_nc_u32 v26, 4, v10
	v_dual_mov_b32 v29, v11 :: v_dual_add_nc_u32 v28, 6, v10
	s_delay_alu instid0(VALU_DEP_4)
	v_lshl_add_u64 v[30:31], v[16:17], 3, s[8:9]
	s_clause 0x1
	global_load_b128 v[16:19], v[24:25], off
	global_load_b128 v[20:23], v[30:31], off
	s_wait_xcnt 0x0
	v_lshl_add_u64 v[30:31], v[26:27], 3, s[8:9]
	v_dual_mov_b32 v33, v11 :: v_dual_add_nc_u32 v32, 8, v10
	v_dual_mov_b32 v37, v11 :: v_dual_add_nc_u32 v36, 10, v10
	;; [unrolled: 1-line block ×7, first 2 shown]
	v_dual_add_nc_u32 v52, 18, v10 :: v_dual_add_nc_u32 v56, 22, v10
	v_add_nc_u32_e32 v82, 26, v10
	s_delay_alu instid0(VALU_DEP_4) | instskip(SKIP_1) | instid1(VALU_DEP_1)
	v_lshl_add_u64 v[96:97], v[60:61], 3, s[8:9]
	v_add_nc_u32_e32 v14, 16, v14
	v_cmp_ge_i32_e32 vcc_lo, v14, v12
	s_or_b32 s4, vcc_lo, s4
	s_wait_loadcnt 0x2
	v_subrev_nc_u32_e32 v15, s12, v15
	s_delay_alu instid0(VALU_DEP_1)
	v_mul_lo_u32 v15, v15, 15
	v_dual_mov_b32 v45, v11 :: v_dual_add_nc_u32 v44, 14, v10
	v_dual_mov_b32 v53, v11 :: v_dual_mov_b32 v57, v11
	v_dual_mov_b32 v83, v11 :: v_dual_add_nc_u32 v10, 0x1e0, v10
	global_load_b64 v[68:69], v15, s[10:11] scale_offset
	v_dual_add_nc_u32 v24, 1, v15 :: v_dual_add_nc_u32 v34, 2, v15
	v_dual_add_nc_u32 v38, 3, v15 :: v_dual_add_nc_u32 v42, 4, v15
	v_add_nc_u32_e32 v46, 5, v15
	global_load_b64 v[70:71], v24, s[10:11] scale_offset
	global_load_b128 v[24:27], v[30:31], off
	global_load_b64 v[72:73], v34, s[10:11] scale_offset
	s_wait_xcnt 0x0
	v_lshl_add_u64 v[34:35], v[28:29], 3, s[8:9]
	global_load_b128 v[28:31], v[34:35], off
	global_load_b64 v[74:75], v38, s[10:11] scale_offset
	s_wait_xcnt 0x0
	v_lshl_add_u64 v[38:39], v[32:33], 3, s[8:9]
	;; [unrolled: 4-line block ×4, first 2 shown]
	v_add_nc_u32_e32 v50, 6, v15
	global_load_b128 v[40:43], v[46:47], off
	global_load_b64 v[80:81], v50, s[10:11] scale_offset
	s_wait_xcnt 0x0
	v_lshl_add_u64 v[50:51], v[44:45], 3, s[8:9]
	v_add_nc_u32_e32 v58, 7, v15
	global_load_b128 v[44:47], v[50:51], off
	global_load_b64 v[84:85], v58, s[10:11] scale_offset
	s_wait_xcnt 0x0
	v_lshl_add_u64 v[58:59], v[48:49], 3, s[8:9]
	;; [unrolled: 5-line block ×3, first 2 shown]
	v_add_nc_u32_e32 v64, 9, v15
	s_wait_xcnt 0x0
	v_lshl_add_u64 v[62:63], v[54:55], 3, s[8:9]
	global_load_b128 v[52:55], v[58:59], off
	global_load_b64 v[90:91], v64, s[10:11] scale_offset
	s_wait_xcnt 0x0
	v_add_nc_u32_e32 v64, 10, v15
	v_lshl_add_u64 v[92:93], v[56:57], 3, s[8:9]
	global_load_b128 v[56:59], v[62:63], off
	global_load_b64 v[94:95], v64, s[10:11] scale_offset
	s_clause 0x1
	global_load_b128 v[60:63], v[92:93], off
	global_load_b128 v[64:67], v[96:97], off
	s_wait_xcnt 0x0
	v_dual_add_nc_u32 v96, 11, v15 :: v_dual_add_nc_u32 v98, 12, v15
	s_wait_loadcnt 0x17
	v_xor_b32_e32 v92, 0x80000000, v19
	v_mov_b32_e32 v93, v18
	global_load_b64 v[96:97], v96, s[10:11] scale_offset
	s_wait_loadcnt 0x16
	v_pk_fma_f32 v[0:1], v[16:17], v[68:69], v[0:1] op_sel_hi:[1,0,1]
	v_pk_fma_f32 v[8:9], v[18:19], v[68:69], v[8:9] op_sel_hi:[1,0,1]
	s_delay_alu instid0(VALU_DEP_2)
	v_pk_fma_f32 v[0:1], v[16:17], v[68:69], v[0:1] op_sel:[1,1,0] op_sel_hi:[0,1,1] neg_lo:[1,0,0]
	v_lshl_add_u64 v[16:17], v[82:83], 3, s[8:9]
	v_lshl_add_u64 v[82:83], v[86:87], 3, s[8:9]
	v_add_nc_u32_e32 v86, 13, v15
	global_load_b64 v[98:99], v98, s[10:11] scale_offset
	v_pk_fma_f32 v[8:9], v[92:93], v[68:69], v[8:9] op_sel:[0,1,0]
	global_load_b128 v[16:19], v[16:17], off
	s_wait_loadcnt 0x17
	v_pk_fma_f32 v[0:1], v[20:21], v[70:71], v[0:1] op_sel_hi:[1,0,1]
	global_load_b64 v[86:87], v86, s[10:11] scale_offset
	v_dual_mov_b32 v69, v22 :: v_dual_add_nc_u32 v15, 14, v15
	v_xor_b32_e32 v68, 0x80000000, v23
	v_pk_fma_f32 v[8:9], v[22:23], v[70:71], v[8:9] op_sel_hi:[1,0,1]
	v_pk_fma_f32 v[0:1], v[20:21], v[70:71], v[0:1] op_sel:[1,1,0] op_sel_hi:[0,1,1] neg_lo:[1,0,0]
	global_load_b128 v[20:23], v[82:83], off
	global_load_b64 v[92:93], v15, s[10:11] scale_offset
	v_pk_fma_f32 v[8:9], v[68:69], v[70:71], v[8:9] op_sel:[0,1,0]
	s_wait_loadcnt 0x18
	v_pk_fma_f32 v[0:1], v[24:25], v[72:73], v[0:1] op_sel_hi:[1,0,1]
	v_xor_b32_e32 v68, 0x80000000, v27
	v_mov_b32_e32 v69, v26
	v_pk_fma_f32 v[8:9], v[26:27], v[72:73], v[8:9] op_sel_hi:[1,0,1]
	s_delay_alu instid0(VALU_DEP_4)
	v_pk_fma_f32 v[0:1], v[24:25], v[72:73], v[0:1] op_sel:[1,1,0] op_sel_hi:[0,1,1] neg_lo:[1,0,0]
	s_wait_loadcnt 0x17
	v_mov_b32_e32 v25, v30
	v_xor_b32_e32 v24, 0x80000000, v31
	v_pk_fma_f32 v[8:9], v[68:69], v[72:73], v[8:9] op_sel:[0,1,0]
	s_wait_loadcnt 0x16
	v_pk_fma_f32 v[0:1], v[28:29], v[74:75], v[0:1] op_sel_hi:[1,0,1]
	s_delay_alu instid0(VALU_DEP_2) | instskip(NEXT) | instid1(VALU_DEP_2)
	v_pk_fma_f32 v[8:9], v[30:31], v[74:75], v[8:9] op_sel_hi:[1,0,1]
	v_pk_fma_f32 v[0:1], v[28:29], v[74:75], v[0:1] op_sel:[1,1,0] op_sel_hi:[0,1,1] neg_lo:[1,0,0]
	s_delay_alu instid0(VALU_DEP_2) | instskip(SKIP_1) | instid1(VALU_DEP_2)
	v_pk_fma_f32 v[8:9], v[24:25], v[74:75], v[8:9] op_sel:[0,1,0]
	s_wait_loadcnt 0x14
	v_pk_fma_f32 v[0:1], v[32:33], v[76:77], v[0:1] op_sel_hi:[1,0,1]
	v_xor_b32_e32 v24, 0x80000000, v35
	v_mov_b32_e32 v25, v34
	v_pk_fma_f32 v[8:9], v[34:35], v[76:77], v[8:9] op_sel_hi:[1,0,1]
	s_delay_alu instid0(VALU_DEP_4) | instskip(NEXT) | instid1(VALU_DEP_2)
	v_pk_fma_f32 v[0:1], v[32:33], v[76:77], v[0:1] op_sel:[1,1,0] op_sel_hi:[0,1,1] neg_lo:[1,0,0]
	v_pk_fma_f32 v[8:9], v[24:25], v[76:77], v[8:9] op_sel:[0,1,0]
	s_wait_loadcnt 0x12
	s_delay_alu instid0(VALU_DEP_2) | instskip(SKIP_3) | instid1(VALU_DEP_4)
	v_pk_fma_f32 v[0:1], v[36:37], v[78:79], v[0:1] op_sel_hi:[1,0,1]
	v_xor_b32_e32 v24, 0x80000000, v39
	v_mov_b32_e32 v25, v38
	v_pk_fma_f32 v[8:9], v[38:39], v[78:79], v[8:9] op_sel_hi:[1,0,1]
	v_pk_fma_f32 v[0:1], v[36:37], v[78:79], v[0:1] op_sel:[1,1,0] op_sel_hi:[0,1,1] neg_lo:[1,0,0]
	s_wait_loadcnt 0x10
	s_delay_alu instid0(VALU_DEP_1) | instskip(NEXT) | instid1(VALU_DEP_1)
	v_pk_fma_f32 v[0:1], v[40:41], v[80:81], v[0:1] op_sel_hi:[1,0,1]
	v_pk_fma_f32 v[0:1], v[40:41], v[80:81], v[0:1] op_sel:[1,1,0] op_sel_hi:[0,1,1] neg_lo:[1,0,0]
	s_wait_loadcnt 0xe
	s_delay_alu instid0(VALU_DEP_1) | instskip(NEXT) | instid1(VALU_DEP_1)
	;; [unrolled: 4-line block ×8, first 2 shown]
	v_pk_fma_f32 v[0:1], v[16:17], v[86:87], v[0:1] op_sel_hi:[1,0,1]
	v_pk_fma_f32 v[0:1], v[16:17], v[86:87], v[0:1] op_sel:[1,1,0] op_sel_hi:[0,1,1] neg_lo:[1,0,0]
	s_wait_loadcnt 0x1
	v_mov_b32_e32 v17, v22
	v_pk_fma_f32 v[8:9], v[24:25], v[78:79], v[8:9] op_sel:[0,1,0]
	v_xor_b32_e32 v24, 0x80000000, v43
	v_mov_b32_e32 v25, v42
	v_xor_b32_e32 v16, 0x80000000, v23
	s_wait_loadcnt 0x0
	v_pk_fma_f32 v[0:1], v[20:21], v[92:93], v[0:1] op_sel_hi:[1,0,1]
	v_pk_fma_f32 v[8:9], v[42:43], v[80:81], v[8:9] op_sel_hi:[1,0,1]
	s_delay_alu instid0(VALU_DEP_2) | instskip(NEXT) | instid1(VALU_DEP_2)
	v_pk_fma_f32 v[0:1], v[20:21], v[92:93], v[0:1] op_sel:[1,1,0] op_sel_hi:[0,1,1] neg_lo:[1,0,0]
	v_pk_fma_f32 v[8:9], v[24:25], v[80:81], v[8:9] op_sel:[0,1,0]
	v_xor_b32_e32 v24, 0x80000000, v47
	v_mov_b32_e32 v25, v46
	s_delay_alu instid0(VALU_DEP_3) | instskip(NEXT) | instid1(VALU_DEP_1)
	v_pk_fma_f32 v[8:9], v[46:47], v[84:85], v[8:9] op_sel_hi:[1,0,1]
	v_pk_fma_f32 v[8:9], v[24:25], v[84:85], v[8:9] op_sel:[0,1,0]
	v_xor_b32_e32 v24, 0x80000000, v51
	v_mov_b32_e32 v25, v50
	s_delay_alu instid0(VALU_DEP_3) | instskip(NEXT) | instid1(VALU_DEP_1)
	v_pk_fma_f32 v[8:9], v[50:51], v[88:89], v[8:9] op_sel_hi:[1,0,1]
	;; [unrolled: 5-line block ×7, first 2 shown]
	v_pk_fma_f32 v[8:9], v[24:25], v[86:87], v[8:9] op_sel:[0,1,0]
	s_delay_alu instid0(VALU_DEP_1) | instskip(NEXT) | instid1(VALU_DEP_1)
	v_pk_fma_f32 v[8:9], v[22:23], v[92:93], v[8:9] op_sel_hi:[1,0,1]
	v_pk_fma_f32 v[8:9], v[16:17], v[92:93], v[8:9] op_sel:[0,1,0]
	s_and_not1_b32 exec_lo, exec_lo, s4
	s_cbranch_execnz .LBB219_5
; %bb.6:
	s_or_b32 exec_lo, exec_lo, s4
.LBB219_7:
	s_delay_alu instid0(SALU_CYCLE_1)
	s_or_b32 exec_lo, exec_lo, s3
	s_cbranch_execz .LBB219_9
	s_branch .LBB219_14
.LBB219_8:
                                        ; implicit-def: $vgpr1
                                        ; implicit-def: $vgpr9
.LBB219_9:
	v_mov_b32_e32 v1, 0
	s_delay_alu instid0(VALU_DEP_1)
	v_dual_mov_b32 v0, v1 :: v_dual_mov_b32 v9, v1
	v_mov_b32_e32 v8, v1
	s_and_saveexec_b32 s3, s2
	s_cbranch_execz .LBB219_13
; %bb.10:
	v_mad_u32 v14, v13, 30, 29
	v_mov_b32_e32 v11, 0
	s_mov_b32 s2, 0
	s_delay_alu instid0(VALU_DEP_1)
	v_dual_mov_b32 v8, v11 :: v_dual_mov_b32 v9, v11
	v_dual_mov_b32 v0, v11 :: v_dual_mov_b32 v1, v11
.LBB219_11:                             ; =>This Inner Loop Header: Depth=1
	global_load_b32 v15, v13, s[6:7] scale_offset
	v_subrev_nc_u32_e32 v10, 29, v14
	v_dual_add_nc_u32 v34, -14, v14 :: v_dual_add_nc_u32 v35, -13, v14
	v_subrev_nc_u32_e32 v36, 27, v14
	v_dual_add_nc_u32 v37, -12, v14 :: v_dual_add_nc_u32 v39, -11, v14
	s_delay_alu instid0(VALU_DEP_4)
	v_lshl_add_u64 v[20:21], v[10:11], 3, s[8:9]
	v_subrev_nc_u32_e32 v38, 26, v14
	s_clause 0x6
	global_load_b64 v[22:23], v34, s[8:9] scale_offset
	global_load_b64 v[24:25], v35, s[8:9] scale_offset
	;; [unrolled: 1-line block ×6, first 2 shown]
	global_load_b128 v[16:19], v[20:21], off
	v_subrev_nc_u32_e32 v46, 25, v14
	v_dual_add_nc_u32 v47, -10, v14 :: v_dual_add_nc_u32 v51, -9, v14
	v_subrev_nc_u32_e32 v50, 24, v14
	v_subrev_nc_u32_e32 v64, 23, v14
	v_dual_add_nc_u32 v65, -8, v14 :: v_dual_add_nc_u32 v67, -7, v14
	v_subrev_nc_u32_e32 v66, 22, v14
	;; [unrolled: 3-line block ×4, first 2 shown]
	v_dual_add_nc_u32 v78, -2, v14 :: v_dual_add_nc_u32 v80, -16, v14
	v_dual_add_nc_u32 v81, -1, v14 :: v_dual_add_nc_u32 v82, -15, v14
	s_wait_xcnt 0x7
	v_add_nc_u32_e32 v13, 16, v13
	s_delay_alu instid0(VALU_DEP_1) | instskip(SKIP_3) | instid1(VALU_DEP_1)
	v_cmp_ge_i32_e32 vcc_lo, v13, v12
	s_or_b32 s2, vcc_lo, s2
	s_wait_loadcnt 0x7
	v_subrev_nc_u32_e32 v10, s12, v15
	v_mul_lo_u32 v10, v10, 15
	global_load_b64 v[20:21], v10, s[10:11] scale_offset
	v_dual_add_nc_u32 v15, 1, v10 :: v_dual_add_nc_u32 v40, 2, v10
	v_dual_add_nc_u32 v41, 3, v10 :: v_dual_add_nc_u32 v48, 4, v10
	s_clause 0x2
	global_load_b64 v[34:35], v15, s[10:11] scale_offset
	global_load_b64 v[36:37], v40, s[10:11] scale_offset
	;; [unrolled: 1-line block ×3, first 2 shown]
	s_clause 0x1
	global_load_b64 v[40:41], v46, s[8:9] scale_offset
	global_load_b64 v[42:43], v47, s[8:9] scale_offset
	;; [unrolled: 1-line block ×3, first 2 shown]
	s_clause 0x1
	global_load_b64 v[46:47], v50, s[8:9] scale_offset
	global_load_b64 v[48:49], v51, s[8:9] scale_offset
	v_dual_add_nc_u32 v70, 5, v10 :: v_dual_add_nc_u32 v79, 6, v10
	s_clause 0x2
	global_load_b64 v[50:51], v64, s[8:9] scale_offset
	global_load_b64 v[52:53], v65, s[8:9] scale_offset
	;; [unrolled: 1-line block ×4, first 2 shown]
	s_clause 0x5
	global_load_b64 v[58:59], v67, s[8:9] scale_offset
	global_load_b64 v[60:61], v68, s[8:9] scale_offset
	global_load_b64 v[62:63], v69, s[8:9] scale_offset
	global_load_b64 v[64:65], v72, s[8:9] scale_offset
	global_load_b64 v[66:67], v73, s[8:9] scale_offset
	global_load_b64 v[68:69], v74, s[8:9] scale_offset
	global_load_b64 v[70:71], v79, s[10:11] scale_offset
	s_wait_xcnt 0x2
	v_dual_add_nc_u32 v72, 7, v10 :: v_dual_add_nc_u32 v73, 8, v10
	v_subrev_nc_u32_e32 v15, 17, v14
	s_wait_xcnt 0x0
	v_dual_add_nc_u32 v79, 10, v10 :: v_dual_add_nc_u32 v83, 12, v10
	s_wait_loadcnt 0x13
	v_pk_fma_f32 v[8:9], v[22:23], v[20:21], v[8:9] op_sel_hi:[1,0,1]
	v_pk_fma_f32 v[0:1], v[16:17], v[20:21], v[0:1] op_sel_hi:[1,0,1]
	s_delay_alu instid0(VALU_DEP_2)
	v_pk_fma_f32 v[8:9], v[22:23], v[20:21], v[8:9] op_sel:[1,1,0] op_sel_hi:[0,1,1] neg_lo:[1,0,0]
	global_load_b64 v[22:23], v72, s[10:11] scale_offset
	v_pk_fma_f32 v[0:1], v[16:17], v[20:21], v[0:1] op_sel:[1,1,0] op_sel_hi:[0,1,1] neg_lo:[1,0,0]
	global_load_b64 v[20:21], v73, s[10:11] scale_offset
	v_xor_b32_e32 v16, 0x80000000, v19
	v_mov_b32_e32 v17, v18
	s_wait_loadcnt 0x14
	v_pk_fma_f32 v[8:9], v[24:25], v[34:35], v[8:9] op_sel_hi:[1,0,1]
	v_pk_fma_f32 v[0:1], v[18:19], v[34:35], v[0:1] op_sel_hi:[1,0,1]
	s_clause 0x1
	global_load_b64 v[18:19], v75, s[8:9] scale_offset
	global_load_b64 v[72:73], v76, s[8:9] scale_offset
	s_wait_xcnt 0x0
	v_add_nc_u32_e32 v76, 9, v10
	global_load_b64 v[74:75], v77, s[8:9] scale_offset
	v_pk_fma_f32 v[8:9], v[24:25], v[34:35], v[8:9] op_sel:[1,1,0] op_sel_hi:[0,1,1] neg_lo:[1,0,0]
	v_pk_fma_f32 v[0:1], v[16:17], v[34:35], v[0:1] op_sel:[0,1,0]
	global_load_b64 v[16:17], v76, s[10:11] scale_offset
	s_clause 0x1
	global_load_b64 v[24:25], v15, s[8:9] scale_offset
	global_load_b64 v[34:35], v78, s[8:9] scale_offset
	;; [unrolled: 1-line block ×3, first 2 shown]
	s_wait_xcnt 0x2
	v_add_nc_u32_e32 v15, 11, v10
	s_wait_loadcnt 0x1a
	v_pk_fma_f32 v[0:1], v[26:27], v[36:37], v[0:1] op_sel_hi:[1,0,1]
	v_pk_fma_f32 v[8:9], v[28:29], v[36:37], v[8:9] op_sel_hi:[1,0,1]
	s_delay_alu instid0(VALU_DEP_2)
	v_pk_fma_f32 v[0:1], v[26:27], v[36:37], v[0:1] op_sel:[1,1,0] op_sel_hi:[0,1,1] neg_lo:[1,0,0]
	global_load_b64 v[26:27], v15, s[10:11] scale_offset
	v_pk_fma_f32 v[8:9], v[28:29], v[36:37], v[8:9] op_sel:[1,1,0] op_sel_hi:[0,1,1] neg_lo:[1,0,0]
	s_wait_xcnt 0x0
	v_add_nc_u32_e32 v15, 13, v10
	s_clause 0x1
	global_load_b64 v[28:29], v80, s[8:9] scale_offset
	global_load_b64 v[36:37], v81, s[8:9] scale_offset
	global_load_b64 v[78:79], v83, s[10:11] scale_offset
	s_wait_loadcnt 0x1d
	v_pk_fma_f32 v[0:1], v[30:31], v[38:39], v[0:1] op_sel_hi:[1,0,1]
	v_add_nc_u32_e32 v10, 14, v10
	v_pk_fma_f32 v[8:9], v[32:33], v[38:39], v[8:9] op_sel_hi:[1,0,1]
	s_delay_alu instid0(VALU_DEP_3)
	v_pk_fma_f32 v[0:1], v[30:31], v[38:39], v[0:1] op_sel:[1,1,0] op_sel_hi:[0,1,1] neg_lo:[1,0,0]
	global_load_b64 v[30:31], v15, s[10:11] scale_offset
	v_pk_fma_f32 v[8:9], v[32:33], v[38:39], v[8:9] op_sel:[1,1,0] op_sel_hi:[0,1,1] neg_lo:[1,0,0]
	s_clause 0x1
	global_load_b64 v[32:33], v14, s[8:9] scale_offset
	global_load_b64 v[38:39], v82, s[8:9] scale_offset
	;; [unrolled: 1-line block ×3, first 2 shown]
	s_wait_xcnt 0x2
	v_add_nc_u32_e32 v14, 0x1e0, v14
	s_wait_loadcnt 0x1e
	v_pk_fma_f32 v[0:1], v[40:41], v[44:45], v[0:1] op_sel_hi:[1,0,1]
	v_pk_fma_f32 v[8:9], v[42:43], v[44:45], v[8:9] op_sel_hi:[1,0,1]
	s_delay_alu instid0(VALU_DEP_2) | instskip(NEXT) | instid1(VALU_DEP_2)
	v_pk_fma_f32 v[0:1], v[40:41], v[44:45], v[0:1] op_sel:[1,1,0] op_sel_hi:[0,1,1] neg_lo:[1,0,0]
	v_pk_fma_f32 v[8:9], v[42:43], v[44:45], v[8:9] op_sel:[1,1,0] op_sel_hi:[0,1,1] neg_lo:[1,0,0]
	s_wait_loadcnt 0x18
	s_delay_alu instid0(VALU_DEP_2) | instskip(NEXT) | instid1(VALU_DEP_2)
	v_pk_fma_f32 v[0:1], v[46:47], v[56:57], v[0:1] op_sel_hi:[1,0,1]
	v_pk_fma_f32 v[8:9], v[48:49], v[56:57], v[8:9] op_sel_hi:[1,0,1]
	s_delay_alu instid0(VALU_DEP_2) | instskip(NEXT) | instid1(VALU_DEP_2)
	v_pk_fma_f32 v[0:1], v[46:47], v[56:57], v[0:1] op_sel:[1,1,0] op_sel_hi:[0,1,1] neg_lo:[1,0,0]
	v_pk_fma_f32 v[8:9], v[48:49], v[56:57], v[8:9] op_sel:[1,1,0] op_sel_hi:[0,1,1] neg_lo:[1,0,0]
	s_wait_loadcnt 0x11
	s_delay_alu instid0(VALU_DEP_2) | instskip(NEXT) | instid1(VALU_DEP_2)
	;; [unrolled: 7-line block ×10, first 2 shown]
	v_pk_fma_f32 v[0:1], v[38:39], v[80:81], v[0:1] op_sel_hi:[1,0,1]
	v_pk_fma_f32 v[8:9], v[32:33], v[80:81], v[8:9] op_sel_hi:[1,0,1]
	s_delay_alu instid0(VALU_DEP_2) | instskip(NEXT) | instid1(VALU_DEP_2)
	v_pk_fma_f32 v[0:1], v[38:39], v[80:81], v[0:1] op_sel:[1,1,0] op_sel_hi:[0,1,1] neg_lo:[1,0,0]
	v_pk_fma_f32 v[8:9], v[32:33], v[80:81], v[8:9] op_sel:[1,1,0] op_sel_hi:[0,1,1] neg_lo:[1,0,0]
	s_and_not1_b32 exec_lo, exec_lo, s2
	s_cbranch_execnz .LBB219_11
; %bb.12:
	s_or_b32 exec_lo, exec_lo, s2
.LBB219_13:
	s_delay_alu instid0(SALU_CYCLE_1)
	s_or_b32 exec_lo, exec_lo, s3
.LBB219_14:
	v_mbcnt_lo_u32_b32 v10, -1, 0
	s_delay_alu instid0(VALU_DEP_1) | instskip(SKIP_1) | instid1(VALU_DEP_1)
	v_xor_b32_e32 v15, 4, v10
	v_xor_b32_e32 v11, 8, v10
	v_cmp_gt_i32_e32 vcc_lo, 32, v11
	v_cndmask_b32_e32 v11, v10, v11, vcc_lo
	s_delay_alu instid0(VALU_DEP_1)
	v_lshlrev_b32_e32 v11, 2, v11
	ds_bpermute_b32 v13, v11, v1
	s_wait_dscnt 0x0
	v_add_f32_e32 v1, v1, v13
	ds_bpermute_b32 v12, v11, v0
	ds_bpermute_b32 v14, v11, v8
	ds_bpermute_b32 v11, v11, v9
	s_wait_dscnt 0x2
	v_add_f32_e32 v0, v0, v12
	s_wait_dscnt 0x0
	v_dual_add_f32 v8, v8, v14 :: v_dual_add_f32 v9, v9, v11
	v_cmp_gt_i32_e32 vcc_lo, 32, v15
	v_cndmask_b32_e32 v15, v10, v15, vcc_lo
	s_delay_alu instid0(VALU_DEP_1)
	v_lshlrev_b32_e32 v15, 2, v15
	ds_bpermute_b32 v11, v15, v0
	ds_bpermute_b32 v12, v15, v1
	;; [unrolled: 1-line block ×4, first 2 shown]
	s_wait_dscnt 0x3
	v_dual_add_f32 v0, v0, v11 :: v_dual_bitop2_b32 v15, 2, v10 bitop3:0x14
	s_delay_alu instid0(VALU_DEP_1)
	v_cmp_gt_i32_e32 vcc_lo, 32, v15
	s_wait_dscnt 0x2
	v_add_f32_e32 v1, v1, v12
	s_wait_dscnt 0x0
	v_dual_add_f32 v9, v9, v14 :: v_dual_add_f32 v11, v8, v13
	v_cndmask_b32_e32 v15, v10, v15, vcc_lo
	s_delay_alu instid0(VALU_DEP_1)
	v_lshlrev_b32_e32 v15, 2, v15
	ds_bpermute_b32 v8, v15, v0
	ds_bpermute_b32 v12, v15, v1
	;; [unrolled: 1-line block ×4, first 2 shown]
	s_wait_dscnt 0x3
	v_dual_add_f32 v0, v0, v8 :: v_dual_bitop2_b32 v15, 1, v10 bitop3:0x14
	s_delay_alu instid0(VALU_DEP_1)
	v_cmp_gt_i32_e32 vcc_lo, 32, v15
	s_wait_dscnt 0x2
	v_dual_add_f32 v8, v1, v12 :: v_dual_cndmask_b32 v10, v10, v15, vcc_lo
	s_wait_dscnt 0x0
	v_dual_add_f32 v1, v11, v13 :: v_dual_add_f32 v9, v9, v14
	v_cmp_eq_u32_e32 vcc_lo, 15, v7
	s_delay_alu instid0(VALU_DEP_3)
	v_lshlrev_b32_e32 v15, 2, v10
	ds_bpermute_b32 v12, v15, v0
	ds_bpermute_b32 v13, v15, v8
	;; [unrolled: 1-line block ×4, first 2 shown]
	s_and_b32 exec_lo, exec_lo, vcc_lo
	s_cbranch_execz .LBB219_19
; %bb.15:
	s_load_b64 s[2:3], s[0:1], 0x38
	v_cmp_eq_f32_e32 vcc_lo, 0, v4
	s_wait_xcnt 0x0
	v_cmp_eq_f32_e64 s0, 0, v5
	s_wait_dscnt 0x3
	v_add_f32_e32 v0, v0, v12
	s_wait_dscnt 0x1
	v_dual_add_f32 v12, v8, v13 :: v_dual_add_f32 v8, v1, v10
	s_wait_dscnt 0x0
	v_add_f32_e32 v10, v9, v11
	s_and_b32 s0, vcc_lo, s0
	s_delay_alu instid0(SALU_CYCLE_1) | instskip(NEXT) | instid1(SALU_CYCLE_1)
	s_and_saveexec_b32 s1, s0
	s_xor_b32 s0, exec_lo, s1
	s_cbranch_execz .LBB219_17
; %bb.16:
	v_xor_b32_e32 v4, 0x80000000, v3
	v_dual_mov_b32 v5, v2 :: v_dual_lshlrev_b32 v6, 1, v6
	s_delay_alu instid0(VALU_DEP_1) | instskip(NEXT) | instid1(VALU_DEP_2)
	v_ashrrev_i32_e32 v7, 31, v6
	v_pk_mul_f32 v[12:13], v[12:13], v[4:5] op_sel_hi:[0,1]
	v_pk_mul_f32 v[4:5], v[10:11], v[4:5] op_sel_hi:[0,1]
                                        ; implicit-def: $vgpr10
	s_wait_kmcnt 0x0
	s_delay_alu instid0(VALU_DEP_3) | instskip(NEXT) | instid1(VALU_DEP_3)
	v_lshl_add_u64 v[6:7], v[6:7], 3, s[2:3]
	v_pk_fma_f32 v[0:1], v[2:3], v[0:1], v[12:13] op_sel_hi:[1,0,1]
	s_delay_alu instid0(VALU_DEP_3)
	v_pk_fma_f32 v[2:3], v[2:3], v[8:9], v[4:5] op_sel_hi:[1,0,1]
                                        ; implicit-def: $vgpr4_vgpr5
                                        ; implicit-def: $vgpr12
                                        ; implicit-def: $vgpr8
	global_store_b128 v[6:7], v[0:3], off
                                        ; implicit-def: $vgpr6
                                        ; implicit-def: $vgpr2_vgpr3
                                        ; implicit-def: $vgpr0
.LBB219_17:
	s_wait_xcnt 0x0
	s_and_not1_saveexec_b32 s0, s0
	s_cbranch_execz .LBB219_19
; %bb.18:
	v_dual_mov_b32 v19, v2 :: v_dual_lshlrev_b32 v6, 1, v6
	v_xor_b32_e32 v18, 0x80000000, v3
	s_delay_alu instid0(VALU_DEP_2) | instskip(NEXT) | instid1(VALU_DEP_2)
	v_ashrrev_i32_e32 v7, 31, v6
	v_pk_mul_f32 v[12:13], v[12:13], v[18:19] op_sel_hi:[0,1]
	v_pk_mul_f32 v[10:11], v[10:11], v[18:19] op_sel_hi:[0,1]
	s_delay_alu instid0(VALU_DEP_2) | instskip(NEXT) | instid1(VALU_DEP_2)
	v_pk_fma_f32 v[0:1], v[2:3], v[0:1], v[12:13] op_sel_hi:[1,0,1]
	v_pk_fma_f32 v[2:3], v[2:3], v[8:9], v[10:11] op_sel_hi:[1,0,1]
	v_mov_b32_e32 v9, v4
	s_wait_kmcnt 0x0
	v_lshl_add_u64 v[6:7], v[6:7], 3, s[2:3]
	v_xor_b32_e32 v8, 0x80000000, v5
	global_load_b128 v[14:17], v[6:7], off
	s_wait_loadcnt 0x0
	v_pk_fma_f32 v[0:1], v[4:5], v[14:15], v[0:1] op_sel_hi:[1,0,1]
	v_pk_fma_f32 v[2:3], v[4:5], v[16:17], v[2:3] op_sel_hi:[1,0,1]
	v_mov_b32_e32 v4, v17
	s_delay_alu instid0(VALU_DEP_3) | instskip(NEXT) | instid1(VALU_DEP_2)
	v_pk_fma_f32 v[0:1], v[8:9], v[14:15], v[0:1] op_sel:[0,1,0]
	v_pk_fma_f32 v[2:3], v[8:9], v[4:5], v[2:3] op_sel_hi:[1,0,1]
	global_store_b128 v[6:7], v[0:3], off
.LBB219_19:
	s_sendmsg sendmsg(MSG_DEALLOC_VGPRS)
	s_endpgm
	.section	.rodata,"a",@progbits
	.p2align	6, 0x0
	.amdhsa_kernel _ZN9rocsparseL19gebsrmvn_2xn_kernelILj128ELj15ELj16E21rocsparse_complex_numIfEEEvi20rocsparse_direction_NS_24const_host_device_scalarIT2_EEPKiS8_PKS5_SA_S6_PS5_21rocsparse_index_base_b
		.amdhsa_group_segment_fixed_size 0
		.amdhsa_private_segment_fixed_size 0
		.amdhsa_kernarg_size 72
		.amdhsa_user_sgpr_count 2
		.amdhsa_user_sgpr_dispatch_ptr 0
		.amdhsa_user_sgpr_queue_ptr 0
		.amdhsa_user_sgpr_kernarg_segment_ptr 1
		.amdhsa_user_sgpr_dispatch_id 0
		.amdhsa_user_sgpr_kernarg_preload_length 0
		.amdhsa_user_sgpr_kernarg_preload_offset 0
		.amdhsa_user_sgpr_private_segment_size 0
		.amdhsa_wavefront_size32 1
		.amdhsa_uses_dynamic_stack 0
		.amdhsa_enable_private_segment 0
		.amdhsa_system_sgpr_workgroup_id_x 1
		.amdhsa_system_sgpr_workgroup_id_y 0
		.amdhsa_system_sgpr_workgroup_id_z 0
		.amdhsa_system_sgpr_workgroup_info 0
		.amdhsa_system_vgpr_workitem_id 0
		.amdhsa_next_free_vgpr 100
		.amdhsa_next_free_sgpr 14
		.amdhsa_named_barrier_count 0
		.amdhsa_reserve_vcc 1
		.amdhsa_float_round_mode_32 0
		.amdhsa_float_round_mode_16_64 0
		.amdhsa_float_denorm_mode_32 3
		.amdhsa_float_denorm_mode_16_64 3
		.amdhsa_fp16_overflow 0
		.amdhsa_memory_ordered 1
		.amdhsa_forward_progress 1
		.amdhsa_inst_pref_size 34
		.amdhsa_round_robin_scheduling 0
		.amdhsa_exception_fp_ieee_invalid_op 0
		.amdhsa_exception_fp_denorm_src 0
		.amdhsa_exception_fp_ieee_div_zero 0
		.amdhsa_exception_fp_ieee_overflow 0
		.amdhsa_exception_fp_ieee_underflow 0
		.amdhsa_exception_fp_ieee_inexact 0
		.amdhsa_exception_int_div_zero 0
	.end_amdhsa_kernel
	.section	.text._ZN9rocsparseL19gebsrmvn_2xn_kernelILj128ELj15ELj16E21rocsparse_complex_numIfEEEvi20rocsparse_direction_NS_24const_host_device_scalarIT2_EEPKiS8_PKS5_SA_S6_PS5_21rocsparse_index_base_b,"axG",@progbits,_ZN9rocsparseL19gebsrmvn_2xn_kernelILj128ELj15ELj16E21rocsparse_complex_numIfEEEvi20rocsparse_direction_NS_24const_host_device_scalarIT2_EEPKiS8_PKS5_SA_S6_PS5_21rocsparse_index_base_b,comdat
.Lfunc_end219:
	.size	_ZN9rocsparseL19gebsrmvn_2xn_kernelILj128ELj15ELj16E21rocsparse_complex_numIfEEEvi20rocsparse_direction_NS_24const_host_device_scalarIT2_EEPKiS8_PKS5_SA_S6_PS5_21rocsparse_index_base_b, .Lfunc_end219-_ZN9rocsparseL19gebsrmvn_2xn_kernelILj128ELj15ELj16E21rocsparse_complex_numIfEEEvi20rocsparse_direction_NS_24const_host_device_scalarIT2_EEPKiS8_PKS5_SA_S6_PS5_21rocsparse_index_base_b
                                        ; -- End function
	.set _ZN9rocsparseL19gebsrmvn_2xn_kernelILj128ELj15ELj16E21rocsparse_complex_numIfEEEvi20rocsparse_direction_NS_24const_host_device_scalarIT2_EEPKiS8_PKS5_SA_S6_PS5_21rocsparse_index_base_b.num_vgpr, 100
	.set _ZN9rocsparseL19gebsrmvn_2xn_kernelILj128ELj15ELj16E21rocsparse_complex_numIfEEEvi20rocsparse_direction_NS_24const_host_device_scalarIT2_EEPKiS8_PKS5_SA_S6_PS5_21rocsparse_index_base_b.num_agpr, 0
	.set _ZN9rocsparseL19gebsrmvn_2xn_kernelILj128ELj15ELj16E21rocsparse_complex_numIfEEEvi20rocsparse_direction_NS_24const_host_device_scalarIT2_EEPKiS8_PKS5_SA_S6_PS5_21rocsparse_index_base_b.numbered_sgpr, 14
	.set _ZN9rocsparseL19gebsrmvn_2xn_kernelILj128ELj15ELj16E21rocsparse_complex_numIfEEEvi20rocsparse_direction_NS_24const_host_device_scalarIT2_EEPKiS8_PKS5_SA_S6_PS5_21rocsparse_index_base_b.num_named_barrier, 0
	.set _ZN9rocsparseL19gebsrmvn_2xn_kernelILj128ELj15ELj16E21rocsparse_complex_numIfEEEvi20rocsparse_direction_NS_24const_host_device_scalarIT2_EEPKiS8_PKS5_SA_S6_PS5_21rocsparse_index_base_b.private_seg_size, 0
	.set _ZN9rocsparseL19gebsrmvn_2xn_kernelILj128ELj15ELj16E21rocsparse_complex_numIfEEEvi20rocsparse_direction_NS_24const_host_device_scalarIT2_EEPKiS8_PKS5_SA_S6_PS5_21rocsparse_index_base_b.uses_vcc, 1
	.set _ZN9rocsparseL19gebsrmvn_2xn_kernelILj128ELj15ELj16E21rocsparse_complex_numIfEEEvi20rocsparse_direction_NS_24const_host_device_scalarIT2_EEPKiS8_PKS5_SA_S6_PS5_21rocsparse_index_base_b.uses_flat_scratch, 1
	.set _ZN9rocsparseL19gebsrmvn_2xn_kernelILj128ELj15ELj16E21rocsparse_complex_numIfEEEvi20rocsparse_direction_NS_24const_host_device_scalarIT2_EEPKiS8_PKS5_SA_S6_PS5_21rocsparse_index_base_b.has_dyn_sized_stack, 0
	.set _ZN9rocsparseL19gebsrmvn_2xn_kernelILj128ELj15ELj16E21rocsparse_complex_numIfEEEvi20rocsparse_direction_NS_24const_host_device_scalarIT2_EEPKiS8_PKS5_SA_S6_PS5_21rocsparse_index_base_b.has_recursion, 0
	.set _ZN9rocsparseL19gebsrmvn_2xn_kernelILj128ELj15ELj16E21rocsparse_complex_numIfEEEvi20rocsparse_direction_NS_24const_host_device_scalarIT2_EEPKiS8_PKS5_SA_S6_PS5_21rocsparse_index_base_b.has_indirect_call, 0
	.section	.AMDGPU.csdata,"",@progbits
; Kernel info:
; codeLenInByte = 4316
; TotalNumSgprs: 16
; NumVgprs: 100
; ScratchSize: 0
; MemoryBound: 0
; FloatMode: 240
; IeeeMode: 1
; LDSByteSize: 0 bytes/workgroup (compile time only)
; SGPRBlocks: 0
; VGPRBlocks: 6
; NumSGPRsForWavesPerEU: 16
; NumVGPRsForWavesPerEU: 100
; NamedBarCnt: 0
; Occupancy: 9
; WaveLimiterHint : 1
; COMPUTE_PGM_RSRC2:SCRATCH_EN: 0
; COMPUTE_PGM_RSRC2:USER_SGPR: 2
; COMPUTE_PGM_RSRC2:TRAP_HANDLER: 0
; COMPUTE_PGM_RSRC2:TGID_X_EN: 1
; COMPUTE_PGM_RSRC2:TGID_Y_EN: 0
; COMPUTE_PGM_RSRC2:TGID_Z_EN: 0
; COMPUTE_PGM_RSRC2:TIDIG_COMP_CNT: 0
	.section	.text._ZN9rocsparseL19gebsrmvn_2xn_kernelILj128ELj15ELj32E21rocsparse_complex_numIfEEEvi20rocsparse_direction_NS_24const_host_device_scalarIT2_EEPKiS8_PKS5_SA_S6_PS5_21rocsparse_index_base_b,"axG",@progbits,_ZN9rocsparseL19gebsrmvn_2xn_kernelILj128ELj15ELj32E21rocsparse_complex_numIfEEEvi20rocsparse_direction_NS_24const_host_device_scalarIT2_EEPKiS8_PKS5_SA_S6_PS5_21rocsparse_index_base_b,comdat
	.globl	_ZN9rocsparseL19gebsrmvn_2xn_kernelILj128ELj15ELj32E21rocsparse_complex_numIfEEEvi20rocsparse_direction_NS_24const_host_device_scalarIT2_EEPKiS8_PKS5_SA_S6_PS5_21rocsparse_index_base_b ; -- Begin function _ZN9rocsparseL19gebsrmvn_2xn_kernelILj128ELj15ELj32E21rocsparse_complex_numIfEEEvi20rocsparse_direction_NS_24const_host_device_scalarIT2_EEPKiS8_PKS5_SA_S6_PS5_21rocsparse_index_base_b
	.p2align	8
	.type	_ZN9rocsparseL19gebsrmvn_2xn_kernelILj128ELj15ELj32E21rocsparse_complex_numIfEEEvi20rocsparse_direction_NS_24const_host_device_scalarIT2_EEPKiS8_PKS5_SA_S6_PS5_21rocsparse_index_base_b,@function
_ZN9rocsparseL19gebsrmvn_2xn_kernelILj128ELj15ELj32E21rocsparse_complex_numIfEEEvi20rocsparse_direction_NS_24const_host_device_scalarIT2_EEPKiS8_PKS5_SA_S6_PS5_21rocsparse_index_base_b: ; @_ZN9rocsparseL19gebsrmvn_2xn_kernelILj128ELj15ELj32E21rocsparse_complex_numIfEEEvi20rocsparse_direction_NS_24const_host_device_scalarIT2_EEPKiS8_PKS5_SA_S6_PS5_21rocsparse_index_base_b
; %bb.0:
	s_clause 0x2
	s_load_b64 s[12:13], s[0:1], 0x40
	s_load_b64 s[2:3], s[0:1], 0x8
	;; [unrolled: 1-line block ×3, first 2 shown]
	v_mov_b32_e32 v1, 0
	s_add_nc_u64 s[6:7], s[0:1], 8
	s_add_nc_u64 s[8:9], s[0:1], 48
	s_wait_kmcnt 0x0
	s_bitcmp1_b32 s13, 0
	s_cselect_b32 s3, s7, s3
	s_cselect_b32 s2, s6, s2
	;; [unrolled: 1-line block ×4, first 2 shown]
	s_clause 0x1
	flat_load_b64 v[2:3], v1, s[2:3]
	flat_load_b64 v[4:5], v1, s[4:5]
	s_wait_loadcnt_dscnt 0x101
	v_cmp_eq_f32_e32 vcc_lo, 0, v2
	v_cmp_eq_f32_e64 s2, 0, v3
	s_wait_loadcnt_dscnt 0x0
	v_cmp_eq_f32_e64 s3, 1.0, v4
	v_cmp_eq_f32_e64 s4, 0, v5
	s_and_b32 s2, vcc_lo, s2
	s_and_b32 s3, s3, s4
	s_delay_alu instid0(SALU_CYCLE_1) | instskip(NEXT) | instid1(SALU_CYCLE_1)
	s_and_b32 s2, s2, s3
	s_xor_b32 s2, s2, -1
	s_delay_alu instid0(SALU_CYCLE_1)
	s_and_saveexec_b32 s3, s2
	s_cbranch_execz .LBB220_19
; %bb.1:
	s_load_b64 s[2:3], s[0:1], 0x0
	s_bfe_u32 s4, ttmp6, 0x4000c
	s_and_b32 s5, ttmp6, 15
	s_add_co_i32 s4, s4, 1
	s_getreg_b32 s6, hwreg(HW_REG_IB_STS2, 6, 4)
	s_mul_i32 s4, ttmp9, s4
	v_lshrrev_b32_e32 v1, 5, v0
	s_add_co_i32 s5, s5, s4
	s_cmp_eq_u32 s6, 0
	s_cselect_b32 s4, ttmp9, s5
	s_delay_alu instid0(VALU_DEP_1) | instid1(SALU_CYCLE_1)
	v_lshl_or_b32 v6, s4, 2, v1
	s_wait_kmcnt 0x0
	s_delay_alu instid0(VALU_DEP_1)
	v_cmp_gt_i32_e32 vcc_lo, s2, v6
	s_and_b32 exec_lo, exec_lo, vcc_lo
	s_cbranch_execz .LBB220_19
; %bb.2:
	s_load_b256 s[4:11], s[0:1], 0x10
	v_ashrrev_i32_e32 v7, 31, v6
	s_cmp_lg_u32 s3, 0
	s_wait_kmcnt 0x0
	s_delay_alu instid0(VALU_DEP_1)
	v_lshl_add_u64 v[8:9], v[6:7], 2, s[4:5]
	v_and_b32_e32 v7, 31, v0
	global_load_b64 v[8:9], v[8:9], off
	s_wait_loadcnt 0x0
	v_subrev_nc_u32_e32 v0, s12, v8
	v_subrev_nc_u32_e32 v12, s12, v9
	s_delay_alu instid0(VALU_DEP_2) | instskip(NEXT) | instid1(VALU_DEP_1)
	v_add_nc_u32_e32 v13, v0, v7
	v_cmp_lt_i32_e64 s2, v13, v12
	s_cbranch_scc0 .LBB220_8
; %bb.3:
	v_mov_b32_e32 v1, 0
	s_delay_alu instid0(VALU_DEP_1)
	v_dual_mov_b32 v0, v1 :: v_dual_mov_b32 v9, v1
	v_mov_b32_e32 v8, v1
	s_and_saveexec_b32 s3, s2
	s_cbranch_execz .LBB220_7
; %bb.4:
	v_mul_lo_u32 v10, v13, 30
	v_dual_mov_b32 v11, 0 :: v_dual_mov_b32 v14, v13
	s_mov_b32 s4, 0
	s_delay_alu instid0(VALU_DEP_1)
	v_dual_mov_b32 v8, v11 :: v_dual_mov_b32 v9, v11
	v_dual_mov_b32 v0, v11 :: v_dual_mov_b32 v1, v11
.LBB220_5:                              ; =>This Inner Loop Header: Depth=1
	global_load_b32 v15, v14, s[6:7] scale_offset
	v_dual_mov_b32 v17, v11 :: v_dual_add_nc_u32 v16, 2, v10
	v_lshl_add_u64 v[24:25], v[10:11], 3, s[8:9]
	v_dual_mov_b32 v27, v11 :: v_dual_add_nc_u32 v26, 4, v10
	v_dual_mov_b32 v29, v11 :: v_dual_add_nc_u32 v28, 6, v10
	s_delay_alu instid0(VALU_DEP_4)
	v_lshl_add_u64 v[30:31], v[16:17], 3, s[8:9]
	s_clause 0x1
	global_load_b128 v[16:19], v[24:25], off
	global_load_b128 v[20:23], v[30:31], off
	s_wait_xcnt 0x0
	v_lshl_add_u64 v[30:31], v[26:27], 3, s[8:9]
	v_dual_mov_b32 v33, v11 :: v_dual_add_nc_u32 v32, 8, v10
	v_dual_mov_b32 v37, v11 :: v_dual_add_nc_u32 v36, 10, v10
	;; [unrolled: 1-line block ×7, first 2 shown]
	v_dual_add_nc_u32 v52, 18, v10 :: v_dual_add_nc_u32 v56, 22, v10
	v_add_nc_u32_e32 v82, 26, v10
	s_delay_alu instid0(VALU_DEP_4) | instskip(SKIP_1) | instid1(VALU_DEP_1)
	v_lshl_add_u64 v[96:97], v[60:61], 3, s[8:9]
	v_add_nc_u32_e32 v14, 32, v14
	v_cmp_ge_i32_e32 vcc_lo, v14, v12
	s_or_b32 s4, vcc_lo, s4
	s_wait_loadcnt 0x2
	v_subrev_nc_u32_e32 v15, s12, v15
	s_delay_alu instid0(VALU_DEP_1)
	v_mul_lo_u32 v15, v15, 15
	v_dual_mov_b32 v45, v11 :: v_dual_add_nc_u32 v44, 14, v10
	v_dual_mov_b32 v53, v11 :: v_dual_mov_b32 v57, v11
	v_dual_mov_b32 v83, v11 :: v_dual_add_nc_u32 v10, 0x3c0, v10
	global_load_b64 v[68:69], v15, s[10:11] scale_offset
	v_dual_add_nc_u32 v24, 1, v15 :: v_dual_add_nc_u32 v34, 2, v15
	v_dual_add_nc_u32 v38, 3, v15 :: v_dual_add_nc_u32 v42, 4, v15
	v_add_nc_u32_e32 v46, 5, v15
	global_load_b64 v[70:71], v24, s[10:11] scale_offset
	global_load_b128 v[24:27], v[30:31], off
	global_load_b64 v[72:73], v34, s[10:11] scale_offset
	s_wait_xcnt 0x0
	v_lshl_add_u64 v[34:35], v[28:29], 3, s[8:9]
	global_load_b128 v[28:31], v[34:35], off
	global_load_b64 v[74:75], v38, s[10:11] scale_offset
	s_wait_xcnt 0x0
	v_lshl_add_u64 v[38:39], v[32:33], 3, s[8:9]
	global_load_b128 v[32:35], v[38:39], off
	global_load_b64 v[76:77], v42, s[10:11] scale_offset
	s_wait_xcnt 0x0
	v_lshl_add_u64 v[42:43], v[36:37], 3, s[8:9]
	global_load_b128 v[36:39], v[42:43], off
	global_load_b64 v[78:79], v46, s[10:11] scale_offset
	s_wait_xcnt 0x0
	v_lshl_add_u64 v[46:47], v[40:41], 3, s[8:9]
	v_add_nc_u32_e32 v50, 6, v15
	global_load_b128 v[40:43], v[46:47], off
	global_load_b64 v[80:81], v50, s[10:11] scale_offset
	s_wait_xcnt 0x0
	v_lshl_add_u64 v[50:51], v[44:45], 3, s[8:9]
	v_add_nc_u32_e32 v58, 7, v15
	global_load_b128 v[44:47], v[50:51], off
	global_load_b64 v[84:85], v58, s[10:11] scale_offset
	s_wait_xcnt 0x0
	v_lshl_add_u64 v[58:59], v[48:49], 3, s[8:9]
	v_add_nc_u32_e32 v62, 8, v15
	global_load_b128 v[48:51], v[58:59], off
	global_load_b64 v[88:89], v62, s[10:11] scale_offset
	s_wait_xcnt 0x1
	v_lshl_add_u64 v[58:59], v[52:53], 3, s[8:9]
	v_add_nc_u32_e32 v64, 9, v15
	s_wait_xcnt 0x0
	v_lshl_add_u64 v[62:63], v[54:55], 3, s[8:9]
	global_load_b128 v[52:55], v[58:59], off
	global_load_b64 v[90:91], v64, s[10:11] scale_offset
	s_wait_xcnt 0x0
	v_add_nc_u32_e32 v64, 10, v15
	v_lshl_add_u64 v[92:93], v[56:57], 3, s[8:9]
	global_load_b128 v[56:59], v[62:63], off
	global_load_b64 v[94:95], v64, s[10:11] scale_offset
	s_clause 0x1
	global_load_b128 v[60:63], v[92:93], off
	global_load_b128 v[64:67], v[96:97], off
	s_wait_xcnt 0x0
	v_dual_add_nc_u32 v96, 11, v15 :: v_dual_add_nc_u32 v98, 12, v15
	s_wait_loadcnt 0x17
	v_xor_b32_e32 v92, 0x80000000, v19
	v_mov_b32_e32 v93, v18
	global_load_b64 v[96:97], v96, s[10:11] scale_offset
	s_wait_loadcnt 0x16
	v_pk_fma_f32 v[0:1], v[16:17], v[68:69], v[0:1] op_sel_hi:[1,0,1]
	v_pk_fma_f32 v[8:9], v[18:19], v[68:69], v[8:9] op_sel_hi:[1,0,1]
	s_delay_alu instid0(VALU_DEP_2)
	v_pk_fma_f32 v[0:1], v[16:17], v[68:69], v[0:1] op_sel:[1,1,0] op_sel_hi:[0,1,1] neg_lo:[1,0,0]
	v_lshl_add_u64 v[16:17], v[82:83], 3, s[8:9]
	v_lshl_add_u64 v[82:83], v[86:87], 3, s[8:9]
	v_add_nc_u32_e32 v86, 13, v15
	global_load_b64 v[98:99], v98, s[10:11] scale_offset
	v_pk_fma_f32 v[8:9], v[92:93], v[68:69], v[8:9] op_sel:[0,1,0]
	global_load_b128 v[16:19], v[16:17], off
	s_wait_loadcnt 0x17
	v_pk_fma_f32 v[0:1], v[20:21], v[70:71], v[0:1] op_sel_hi:[1,0,1]
	global_load_b64 v[86:87], v86, s[10:11] scale_offset
	v_dual_mov_b32 v69, v22 :: v_dual_add_nc_u32 v15, 14, v15
	v_xor_b32_e32 v68, 0x80000000, v23
	v_pk_fma_f32 v[8:9], v[22:23], v[70:71], v[8:9] op_sel_hi:[1,0,1]
	v_pk_fma_f32 v[0:1], v[20:21], v[70:71], v[0:1] op_sel:[1,1,0] op_sel_hi:[0,1,1] neg_lo:[1,0,0]
	global_load_b128 v[20:23], v[82:83], off
	global_load_b64 v[92:93], v15, s[10:11] scale_offset
	v_pk_fma_f32 v[8:9], v[68:69], v[70:71], v[8:9] op_sel:[0,1,0]
	s_wait_loadcnt 0x18
	v_pk_fma_f32 v[0:1], v[24:25], v[72:73], v[0:1] op_sel_hi:[1,0,1]
	v_xor_b32_e32 v68, 0x80000000, v27
	v_mov_b32_e32 v69, v26
	v_pk_fma_f32 v[8:9], v[26:27], v[72:73], v[8:9] op_sel_hi:[1,0,1]
	s_delay_alu instid0(VALU_DEP_4)
	v_pk_fma_f32 v[0:1], v[24:25], v[72:73], v[0:1] op_sel:[1,1,0] op_sel_hi:[0,1,1] neg_lo:[1,0,0]
	s_wait_loadcnt 0x17
	v_mov_b32_e32 v25, v30
	v_xor_b32_e32 v24, 0x80000000, v31
	v_pk_fma_f32 v[8:9], v[68:69], v[72:73], v[8:9] op_sel:[0,1,0]
	s_wait_loadcnt 0x16
	v_pk_fma_f32 v[0:1], v[28:29], v[74:75], v[0:1] op_sel_hi:[1,0,1]
	s_delay_alu instid0(VALU_DEP_2) | instskip(NEXT) | instid1(VALU_DEP_2)
	v_pk_fma_f32 v[8:9], v[30:31], v[74:75], v[8:9] op_sel_hi:[1,0,1]
	v_pk_fma_f32 v[0:1], v[28:29], v[74:75], v[0:1] op_sel:[1,1,0] op_sel_hi:[0,1,1] neg_lo:[1,0,0]
	s_delay_alu instid0(VALU_DEP_2) | instskip(SKIP_1) | instid1(VALU_DEP_2)
	v_pk_fma_f32 v[8:9], v[24:25], v[74:75], v[8:9] op_sel:[0,1,0]
	s_wait_loadcnt 0x14
	v_pk_fma_f32 v[0:1], v[32:33], v[76:77], v[0:1] op_sel_hi:[1,0,1]
	v_xor_b32_e32 v24, 0x80000000, v35
	v_mov_b32_e32 v25, v34
	v_pk_fma_f32 v[8:9], v[34:35], v[76:77], v[8:9] op_sel_hi:[1,0,1]
	s_delay_alu instid0(VALU_DEP_4) | instskip(NEXT) | instid1(VALU_DEP_2)
	v_pk_fma_f32 v[0:1], v[32:33], v[76:77], v[0:1] op_sel:[1,1,0] op_sel_hi:[0,1,1] neg_lo:[1,0,0]
	v_pk_fma_f32 v[8:9], v[24:25], v[76:77], v[8:9] op_sel:[0,1,0]
	s_wait_loadcnt 0x12
	s_delay_alu instid0(VALU_DEP_2) | instskip(SKIP_3) | instid1(VALU_DEP_4)
	v_pk_fma_f32 v[0:1], v[36:37], v[78:79], v[0:1] op_sel_hi:[1,0,1]
	v_xor_b32_e32 v24, 0x80000000, v39
	v_mov_b32_e32 v25, v38
	v_pk_fma_f32 v[8:9], v[38:39], v[78:79], v[8:9] op_sel_hi:[1,0,1]
	v_pk_fma_f32 v[0:1], v[36:37], v[78:79], v[0:1] op_sel:[1,1,0] op_sel_hi:[0,1,1] neg_lo:[1,0,0]
	s_wait_loadcnt 0x10
	s_delay_alu instid0(VALU_DEP_1) | instskip(NEXT) | instid1(VALU_DEP_1)
	v_pk_fma_f32 v[0:1], v[40:41], v[80:81], v[0:1] op_sel_hi:[1,0,1]
	v_pk_fma_f32 v[0:1], v[40:41], v[80:81], v[0:1] op_sel:[1,1,0] op_sel_hi:[0,1,1] neg_lo:[1,0,0]
	s_wait_loadcnt 0xe
	s_delay_alu instid0(VALU_DEP_1) | instskip(NEXT) | instid1(VALU_DEP_1)
	;; [unrolled: 4-line block ×8, first 2 shown]
	v_pk_fma_f32 v[0:1], v[16:17], v[86:87], v[0:1] op_sel_hi:[1,0,1]
	v_pk_fma_f32 v[0:1], v[16:17], v[86:87], v[0:1] op_sel:[1,1,0] op_sel_hi:[0,1,1] neg_lo:[1,0,0]
	s_wait_loadcnt 0x1
	v_mov_b32_e32 v17, v22
	v_pk_fma_f32 v[8:9], v[24:25], v[78:79], v[8:9] op_sel:[0,1,0]
	v_xor_b32_e32 v24, 0x80000000, v43
	v_mov_b32_e32 v25, v42
	v_xor_b32_e32 v16, 0x80000000, v23
	s_wait_loadcnt 0x0
	v_pk_fma_f32 v[0:1], v[20:21], v[92:93], v[0:1] op_sel_hi:[1,0,1]
	v_pk_fma_f32 v[8:9], v[42:43], v[80:81], v[8:9] op_sel_hi:[1,0,1]
	s_delay_alu instid0(VALU_DEP_2) | instskip(NEXT) | instid1(VALU_DEP_2)
	v_pk_fma_f32 v[0:1], v[20:21], v[92:93], v[0:1] op_sel:[1,1,0] op_sel_hi:[0,1,1] neg_lo:[1,0,0]
	v_pk_fma_f32 v[8:9], v[24:25], v[80:81], v[8:9] op_sel:[0,1,0]
	v_xor_b32_e32 v24, 0x80000000, v47
	v_mov_b32_e32 v25, v46
	s_delay_alu instid0(VALU_DEP_3) | instskip(NEXT) | instid1(VALU_DEP_1)
	v_pk_fma_f32 v[8:9], v[46:47], v[84:85], v[8:9] op_sel_hi:[1,0,1]
	v_pk_fma_f32 v[8:9], v[24:25], v[84:85], v[8:9] op_sel:[0,1,0]
	v_xor_b32_e32 v24, 0x80000000, v51
	v_mov_b32_e32 v25, v50
	s_delay_alu instid0(VALU_DEP_3) | instskip(NEXT) | instid1(VALU_DEP_1)
	v_pk_fma_f32 v[8:9], v[50:51], v[88:89], v[8:9] op_sel_hi:[1,0,1]
	;; [unrolled: 5-line block ×7, first 2 shown]
	v_pk_fma_f32 v[8:9], v[24:25], v[86:87], v[8:9] op_sel:[0,1,0]
	s_delay_alu instid0(VALU_DEP_1) | instskip(NEXT) | instid1(VALU_DEP_1)
	v_pk_fma_f32 v[8:9], v[22:23], v[92:93], v[8:9] op_sel_hi:[1,0,1]
	v_pk_fma_f32 v[8:9], v[16:17], v[92:93], v[8:9] op_sel:[0,1,0]
	s_and_not1_b32 exec_lo, exec_lo, s4
	s_cbranch_execnz .LBB220_5
; %bb.6:
	s_or_b32 exec_lo, exec_lo, s4
.LBB220_7:
	s_delay_alu instid0(SALU_CYCLE_1)
	s_or_b32 exec_lo, exec_lo, s3
	s_cbranch_execz .LBB220_9
	s_branch .LBB220_14
.LBB220_8:
                                        ; implicit-def: $vgpr1
                                        ; implicit-def: $vgpr9
.LBB220_9:
	v_mov_b32_e32 v1, 0
	s_delay_alu instid0(VALU_DEP_1)
	v_dual_mov_b32 v0, v1 :: v_dual_mov_b32 v9, v1
	v_mov_b32_e32 v8, v1
	s_and_saveexec_b32 s3, s2
	s_cbranch_execz .LBB220_13
; %bb.10:
	v_mad_u32 v14, v13, 30, 29
	v_mov_b32_e32 v11, 0
	s_mov_b32 s2, 0
	s_delay_alu instid0(VALU_DEP_1)
	v_dual_mov_b32 v8, v11 :: v_dual_mov_b32 v9, v11
	v_dual_mov_b32 v0, v11 :: v_dual_mov_b32 v1, v11
.LBB220_11:                             ; =>This Inner Loop Header: Depth=1
	global_load_b32 v15, v13, s[6:7] scale_offset
	v_subrev_nc_u32_e32 v10, 29, v14
	v_dual_add_nc_u32 v34, -14, v14 :: v_dual_add_nc_u32 v35, -13, v14
	v_subrev_nc_u32_e32 v36, 27, v14
	v_dual_add_nc_u32 v37, -12, v14 :: v_dual_add_nc_u32 v39, -11, v14
	s_delay_alu instid0(VALU_DEP_4)
	v_lshl_add_u64 v[20:21], v[10:11], 3, s[8:9]
	v_subrev_nc_u32_e32 v38, 26, v14
	s_clause 0x6
	global_load_b64 v[22:23], v34, s[8:9] scale_offset
	global_load_b64 v[24:25], v35, s[8:9] scale_offset
	;; [unrolled: 1-line block ×6, first 2 shown]
	global_load_b128 v[16:19], v[20:21], off
	v_subrev_nc_u32_e32 v46, 25, v14
	v_dual_add_nc_u32 v47, -10, v14 :: v_dual_add_nc_u32 v51, -9, v14
	v_subrev_nc_u32_e32 v50, 24, v14
	v_subrev_nc_u32_e32 v64, 23, v14
	v_dual_add_nc_u32 v65, -8, v14 :: v_dual_add_nc_u32 v67, -7, v14
	v_subrev_nc_u32_e32 v66, 22, v14
	;; [unrolled: 3-line block ×4, first 2 shown]
	v_dual_add_nc_u32 v78, -2, v14 :: v_dual_add_nc_u32 v80, -16, v14
	v_dual_add_nc_u32 v81, -1, v14 :: v_dual_add_nc_u32 v82, -15, v14
	s_wait_xcnt 0x7
	v_add_nc_u32_e32 v13, 32, v13
	s_delay_alu instid0(VALU_DEP_1) | instskip(SKIP_3) | instid1(VALU_DEP_1)
	v_cmp_ge_i32_e32 vcc_lo, v13, v12
	s_or_b32 s2, vcc_lo, s2
	s_wait_loadcnt 0x7
	v_subrev_nc_u32_e32 v10, s12, v15
	v_mul_lo_u32 v10, v10, 15
	global_load_b64 v[20:21], v10, s[10:11] scale_offset
	v_dual_add_nc_u32 v15, 1, v10 :: v_dual_add_nc_u32 v40, 2, v10
	v_dual_add_nc_u32 v41, 3, v10 :: v_dual_add_nc_u32 v48, 4, v10
	s_clause 0x2
	global_load_b64 v[34:35], v15, s[10:11] scale_offset
	global_load_b64 v[36:37], v40, s[10:11] scale_offset
	;; [unrolled: 1-line block ×3, first 2 shown]
	s_clause 0x1
	global_load_b64 v[40:41], v46, s[8:9] scale_offset
	global_load_b64 v[42:43], v47, s[8:9] scale_offset
	;; [unrolled: 1-line block ×3, first 2 shown]
	s_clause 0x1
	global_load_b64 v[46:47], v50, s[8:9] scale_offset
	global_load_b64 v[48:49], v51, s[8:9] scale_offset
	v_dual_add_nc_u32 v70, 5, v10 :: v_dual_add_nc_u32 v79, 6, v10
	s_clause 0x2
	global_load_b64 v[50:51], v64, s[8:9] scale_offset
	global_load_b64 v[52:53], v65, s[8:9] scale_offset
	global_load_b64 v[54:55], v66, s[8:9] scale_offset
	global_load_b64 v[56:57], v70, s[10:11] scale_offset
	s_clause 0x5
	global_load_b64 v[58:59], v67, s[8:9] scale_offset
	global_load_b64 v[60:61], v68, s[8:9] scale_offset
	;; [unrolled: 1-line block ×7, first 2 shown]
	s_wait_xcnt 0x2
	v_dual_add_nc_u32 v72, 7, v10 :: v_dual_add_nc_u32 v73, 8, v10
	v_subrev_nc_u32_e32 v15, 17, v14
	s_wait_xcnt 0x0
	v_dual_add_nc_u32 v79, 10, v10 :: v_dual_add_nc_u32 v83, 12, v10
	s_wait_loadcnt 0x13
	v_pk_fma_f32 v[8:9], v[22:23], v[20:21], v[8:9] op_sel_hi:[1,0,1]
	v_pk_fma_f32 v[0:1], v[16:17], v[20:21], v[0:1] op_sel_hi:[1,0,1]
	s_delay_alu instid0(VALU_DEP_2)
	v_pk_fma_f32 v[8:9], v[22:23], v[20:21], v[8:9] op_sel:[1,1,0] op_sel_hi:[0,1,1] neg_lo:[1,0,0]
	global_load_b64 v[22:23], v72, s[10:11] scale_offset
	v_pk_fma_f32 v[0:1], v[16:17], v[20:21], v[0:1] op_sel:[1,1,0] op_sel_hi:[0,1,1] neg_lo:[1,0,0]
	global_load_b64 v[20:21], v73, s[10:11] scale_offset
	v_xor_b32_e32 v16, 0x80000000, v19
	v_mov_b32_e32 v17, v18
	s_wait_loadcnt 0x14
	v_pk_fma_f32 v[8:9], v[24:25], v[34:35], v[8:9] op_sel_hi:[1,0,1]
	v_pk_fma_f32 v[0:1], v[18:19], v[34:35], v[0:1] op_sel_hi:[1,0,1]
	s_clause 0x1
	global_load_b64 v[18:19], v75, s[8:9] scale_offset
	global_load_b64 v[72:73], v76, s[8:9] scale_offset
	s_wait_xcnt 0x0
	v_add_nc_u32_e32 v76, 9, v10
	global_load_b64 v[74:75], v77, s[8:9] scale_offset
	v_pk_fma_f32 v[8:9], v[24:25], v[34:35], v[8:9] op_sel:[1,1,0] op_sel_hi:[0,1,1] neg_lo:[1,0,0]
	v_pk_fma_f32 v[0:1], v[16:17], v[34:35], v[0:1] op_sel:[0,1,0]
	global_load_b64 v[16:17], v76, s[10:11] scale_offset
	s_clause 0x1
	global_load_b64 v[24:25], v15, s[8:9] scale_offset
	global_load_b64 v[34:35], v78, s[8:9] scale_offset
	;; [unrolled: 1-line block ×3, first 2 shown]
	s_wait_xcnt 0x2
	v_add_nc_u32_e32 v15, 11, v10
	s_wait_loadcnt 0x1a
	v_pk_fma_f32 v[0:1], v[26:27], v[36:37], v[0:1] op_sel_hi:[1,0,1]
	v_pk_fma_f32 v[8:9], v[28:29], v[36:37], v[8:9] op_sel_hi:[1,0,1]
	s_delay_alu instid0(VALU_DEP_2)
	v_pk_fma_f32 v[0:1], v[26:27], v[36:37], v[0:1] op_sel:[1,1,0] op_sel_hi:[0,1,1] neg_lo:[1,0,0]
	global_load_b64 v[26:27], v15, s[10:11] scale_offset
	v_pk_fma_f32 v[8:9], v[28:29], v[36:37], v[8:9] op_sel:[1,1,0] op_sel_hi:[0,1,1] neg_lo:[1,0,0]
	s_wait_xcnt 0x0
	v_add_nc_u32_e32 v15, 13, v10
	s_clause 0x1
	global_load_b64 v[28:29], v80, s[8:9] scale_offset
	global_load_b64 v[36:37], v81, s[8:9] scale_offset
	;; [unrolled: 1-line block ×3, first 2 shown]
	s_wait_loadcnt 0x1d
	v_pk_fma_f32 v[0:1], v[30:31], v[38:39], v[0:1] op_sel_hi:[1,0,1]
	v_add_nc_u32_e32 v10, 14, v10
	v_pk_fma_f32 v[8:9], v[32:33], v[38:39], v[8:9] op_sel_hi:[1,0,1]
	s_delay_alu instid0(VALU_DEP_3)
	v_pk_fma_f32 v[0:1], v[30:31], v[38:39], v[0:1] op_sel:[1,1,0] op_sel_hi:[0,1,1] neg_lo:[1,0,0]
	global_load_b64 v[30:31], v15, s[10:11] scale_offset
	v_pk_fma_f32 v[8:9], v[32:33], v[38:39], v[8:9] op_sel:[1,1,0] op_sel_hi:[0,1,1] neg_lo:[1,0,0]
	s_clause 0x1
	global_load_b64 v[32:33], v14, s[8:9] scale_offset
	global_load_b64 v[38:39], v82, s[8:9] scale_offset
	;; [unrolled: 1-line block ×3, first 2 shown]
	s_wait_xcnt 0x2
	v_add_nc_u32_e32 v14, 0x3c0, v14
	s_wait_loadcnt 0x1e
	v_pk_fma_f32 v[0:1], v[40:41], v[44:45], v[0:1] op_sel_hi:[1,0,1]
	v_pk_fma_f32 v[8:9], v[42:43], v[44:45], v[8:9] op_sel_hi:[1,0,1]
	s_delay_alu instid0(VALU_DEP_2) | instskip(NEXT) | instid1(VALU_DEP_2)
	v_pk_fma_f32 v[0:1], v[40:41], v[44:45], v[0:1] op_sel:[1,1,0] op_sel_hi:[0,1,1] neg_lo:[1,0,0]
	v_pk_fma_f32 v[8:9], v[42:43], v[44:45], v[8:9] op_sel:[1,1,0] op_sel_hi:[0,1,1] neg_lo:[1,0,0]
	s_wait_loadcnt 0x18
	s_delay_alu instid0(VALU_DEP_2) | instskip(NEXT) | instid1(VALU_DEP_2)
	v_pk_fma_f32 v[0:1], v[46:47], v[56:57], v[0:1] op_sel_hi:[1,0,1]
	v_pk_fma_f32 v[8:9], v[48:49], v[56:57], v[8:9] op_sel_hi:[1,0,1]
	s_delay_alu instid0(VALU_DEP_2) | instskip(NEXT) | instid1(VALU_DEP_2)
	v_pk_fma_f32 v[0:1], v[46:47], v[56:57], v[0:1] op_sel:[1,1,0] op_sel_hi:[0,1,1] neg_lo:[1,0,0]
	v_pk_fma_f32 v[8:9], v[48:49], v[56:57], v[8:9] op_sel:[1,1,0] op_sel_hi:[0,1,1] neg_lo:[1,0,0]
	s_wait_loadcnt 0x11
	s_delay_alu instid0(VALU_DEP_2) | instskip(NEXT) | instid1(VALU_DEP_2)
	;; [unrolled: 7-line block ×10, first 2 shown]
	v_pk_fma_f32 v[0:1], v[38:39], v[80:81], v[0:1] op_sel_hi:[1,0,1]
	v_pk_fma_f32 v[8:9], v[32:33], v[80:81], v[8:9] op_sel_hi:[1,0,1]
	s_delay_alu instid0(VALU_DEP_2) | instskip(NEXT) | instid1(VALU_DEP_2)
	v_pk_fma_f32 v[0:1], v[38:39], v[80:81], v[0:1] op_sel:[1,1,0] op_sel_hi:[0,1,1] neg_lo:[1,0,0]
	v_pk_fma_f32 v[8:9], v[32:33], v[80:81], v[8:9] op_sel:[1,1,0] op_sel_hi:[0,1,1] neg_lo:[1,0,0]
	s_and_not1_b32 exec_lo, exec_lo, s2
	s_cbranch_execnz .LBB220_11
; %bb.12:
	s_or_b32 exec_lo, exec_lo, s2
.LBB220_13:
	s_delay_alu instid0(SALU_CYCLE_1)
	s_or_b32 exec_lo, exec_lo, s3
.LBB220_14:
	v_mbcnt_lo_u32_b32 v10, -1, 0
	s_delay_alu instid0(VALU_DEP_1) | instskip(SKIP_1) | instid1(VALU_DEP_1)
	v_xor_b32_e32 v15, 8, v10
	v_xor_b32_e32 v11, 16, v10
	v_cmp_gt_i32_e32 vcc_lo, 32, v11
	v_cndmask_b32_e32 v11, v10, v11, vcc_lo
	s_delay_alu instid0(VALU_DEP_1)
	v_lshlrev_b32_e32 v11, 2, v11
	ds_bpermute_b32 v13, v11, v1
	s_wait_dscnt 0x0
	v_add_f32_e32 v1, v1, v13
	ds_bpermute_b32 v12, v11, v0
	ds_bpermute_b32 v14, v11, v8
	;; [unrolled: 1-line block ×3, first 2 shown]
	s_wait_dscnt 0x2
	v_add_f32_e32 v0, v0, v12
	s_wait_dscnt 0x0
	v_dual_add_f32 v8, v8, v14 :: v_dual_add_f32 v9, v9, v11
	v_cmp_gt_i32_e32 vcc_lo, 32, v15
	v_cndmask_b32_e32 v15, v10, v15, vcc_lo
	s_delay_alu instid0(VALU_DEP_1)
	v_lshlrev_b32_e32 v15, 2, v15
	ds_bpermute_b32 v11, v15, v0
	ds_bpermute_b32 v12, v15, v1
	;; [unrolled: 1-line block ×4, first 2 shown]
	s_wait_dscnt 0x3
	v_dual_add_f32 v0, v0, v11 :: v_dual_bitop2_b32 v15, 4, v10 bitop3:0x14
	s_delay_alu instid0(VALU_DEP_1)
	v_cmp_gt_i32_e32 vcc_lo, 32, v15
	s_wait_dscnt 0x2
	v_add_f32_e32 v1, v1, v12
	s_wait_dscnt 0x0
	v_dual_add_f32 v9, v9, v14 :: v_dual_add_f32 v8, v8, v13
	v_cndmask_b32_e32 v15, v10, v15, vcc_lo
	s_delay_alu instid0(VALU_DEP_1)
	v_lshlrev_b32_e32 v15, 2, v15
	ds_bpermute_b32 v11, v15, v0
	ds_bpermute_b32 v12, v15, v1
	;; [unrolled: 1-line block ×4, first 2 shown]
	s_wait_dscnt 0x3
	v_dual_add_f32 v0, v0, v11 :: v_dual_bitop2_b32 v15, 2, v10 bitop3:0x14
	s_delay_alu instid0(VALU_DEP_1) | instskip(SKIP_4) | instid1(VALU_DEP_2)
	v_cmp_gt_i32_e32 vcc_lo, 32, v15
	s_wait_dscnt 0x2
	v_dual_add_f32 v1, v1, v12 :: v_dual_cndmask_b32 v15, v10, v15, vcc_lo
	s_wait_dscnt 0x0
	v_dual_add_f32 v11, v8, v13 :: v_dual_add_f32 v9, v9, v14
	v_lshlrev_b32_e32 v15, 2, v15
	ds_bpermute_b32 v8, v15, v0
	ds_bpermute_b32 v12, v15, v1
	;; [unrolled: 1-line block ×4, first 2 shown]
	s_wait_dscnt 0x3
	v_dual_add_f32 v0, v0, v8 :: v_dual_bitop2_b32 v15, 1, v10 bitop3:0x14
	s_delay_alu instid0(VALU_DEP_1)
	v_cmp_gt_i32_e32 vcc_lo, 32, v15
	s_wait_dscnt 0x1
	v_dual_add_f32 v8, v1, v12 :: v_dual_add_f32 v1, v11, v13
	s_wait_dscnt 0x0
	v_dual_add_f32 v9, v9, v14 :: v_dual_cndmask_b32 v10, v10, v15
	v_cmp_eq_u32_e32 vcc_lo, 31, v7
	s_delay_alu instid0(VALU_DEP_2)
	v_lshlrev_b32_e32 v15, 2, v10
	ds_bpermute_b32 v12, v15, v0
	ds_bpermute_b32 v13, v15, v8
	;; [unrolled: 1-line block ×4, first 2 shown]
	s_and_b32 exec_lo, exec_lo, vcc_lo
	s_cbranch_execz .LBB220_19
; %bb.15:
	s_load_b64 s[2:3], s[0:1], 0x38
	v_cmp_eq_f32_e32 vcc_lo, 0, v4
	s_wait_xcnt 0x0
	v_cmp_eq_f32_e64 s0, 0, v5
	s_wait_dscnt 0x3
	v_add_f32_e32 v0, v0, v12
	s_wait_dscnt 0x1
	v_dual_add_f32 v12, v8, v13 :: v_dual_add_f32 v8, v1, v10
	s_wait_dscnt 0x0
	v_add_f32_e32 v10, v9, v11
	s_and_b32 s0, vcc_lo, s0
	s_delay_alu instid0(SALU_CYCLE_1) | instskip(NEXT) | instid1(SALU_CYCLE_1)
	s_and_saveexec_b32 s1, s0
	s_xor_b32 s0, exec_lo, s1
	s_cbranch_execz .LBB220_17
; %bb.16:
	v_xor_b32_e32 v4, 0x80000000, v3
	v_dual_mov_b32 v5, v2 :: v_dual_lshlrev_b32 v6, 1, v6
	s_delay_alu instid0(VALU_DEP_1) | instskip(NEXT) | instid1(VALU_DEP_2)
	v_ashrrev_i32_e32 v7, 31, v6
	v_pk_mul_f32 v[12:13], v[12:13], v[4:5] op_sel_hi:[0,1]
	v_pk_mul_f32 v[4:5], v[10:11], v[4:5] op_sel_hi:[0,1]
                                        ; implicit-def: $vgpr10
	s_wait_kmcnt 0x0
	s_delay_alu instid0(VALU_DEP_3) | instskip(NEXT) | instid1(VALU_DEP_3)
	v_lshl_add_u64 v[6:7], v[6:7], 3, s[2:3]
	v_pk_fma_f32 v[0:1], v[2:3], v[0:1], v[12:13] op_sel_hi:[1,0,1]
	s_delay_alu instid0(VALU_DEP_3)
	v_pk_fma_f32 v[2:3], v[2:3], v[8:9], v[4:5] op_sel_hi:[1,0,1]
                                        ; implicit-def: $vgpr4_vgpr5
                                        ; implicit-def: $vgpr12
                                        ; implicit-def: $vgpr8
	global_store_b128 v[6:7], v[0:3], off
                                        ; implicit-def: $vgpr6
                                        ; implicit-def: $vgpr2_vgpr3
                                        ; implicit-def: $vgpr0
.LBB220_17:
	s_wait_xcnt 0x0
	s_and_not1_saveexec_b32 s0, s0
	s_cbranch_execz .LBB220_19
; %bb.18:
	v_dual_mov_b32 v19, v2 :: v_dual_lshlrev_b32 v6, 1, v6
	v_xor_b32_e32 v18, 0x80000000, v3
	s_delay_alu instid0(VALU_DEP_2) | instskip(NEXT) | instid1(VALU_DEP_2)
	v_ashrrev_i32_e32 v7, 31, v6
	v_pk_mul_f32 v[12:13], v[12:13], v[18:19] op_sel_hi:[0,1]
	v_pk_mul_f32 v[10:11], v[10:11], v[18:19] op_sel_hi:[0,1]
	s_delay_alu instid0(VALU_DEP_2) | instskip(NEXT) | instid1(VALU_DEP_2)
	v_pk_fma_f32 v[0:1], v[2:3], v[0:1], v[12:13] op_sel_hi:[1,0,1]
	v_pk_fma_f32 v[2:3], v[2:3], v[8:9], v[10:11] op_sel_hi:[1,0,1]
	v_mov_b32_e32 v9, v4
	s_wait_kmcnt 0x0
	v_lshl_add_u64 v[6:7], v[6:7], 3, s[2:3]
	v_xor_b32_e32 v8, 0x80000000, v5
	global_load_b128 v[14:17], v[6:7], off
	s_wait_loadcnt 0x0
	v_pk_fma_f32 v[0:1], v[4:5], v[14:15], v[0:1] op_sel_hi:[1,0,1]
	v_pk_fma_f32 v[2:3], v[4:5], v[16:17], v[2:3] op_sel_hi:[1,0,1]
	v_mov_b32_e32 v4, v17
	s_delay_alu instid0(VALU_DEP_3) | instskip(NEXT) | instid1(VALU_DEP_2)
	v_pk_fma_f32 v[0:1], v[8:9], v[14:15], v[0:1] op_sel:[0,1,0]
	v_pk_fma_f32 v[2:3], v[8:9], v[4:5], v[2:3] op_sel_hi:[1,0,1]
	global_store_b128 v[6:7], v[0:3], off
.LBB220_19:
	s_sendmsg sendmsg(MSG_DEALLOC_VGPRS)
	s_endpgm
	.section	.rodata,"a",@progbits
	.p2align	6, 0x0
	.amdhsa_kernel _ZN9rocsparseL19gebsrmvn_2xn_kernelILj128ELj15ELj32E21rocsparse_complex_numIfEEEvi20rocsparse_direction_NS_24const_host_device_scalarIT2_EEPKiS8_PKS5_SA_S6_PS5_21rocsparse_index_base_b
		.amdhsa_group_segment_fixed_size 0
		.amdhsa_private_segment_fixed_size 0
		.amdhsa_kernarg_size 72
		.amdhsa_user_sgpr_count 2
		.amdhsa_user_sgpr_dispatch_ptr 0
		.amdhsa_user_sgpr_queue_ptr 0
		.amdhsa_user_sgpr_kernarg_segment_ptr 1
		.amdhsa_user_sgpr_dispatch_id 0
		.amdhsa_user_sgpr_kernarg_preload_length 0
		.amdhsa_user_sgpr_kernarg_preload_offset 0
		.amdhsa_user_sgpr_private_segment_size 0
		.amdhsa_wavefront_size32 1
		.amdhsa_uses_dynamic_stack 0
		.amdhsa_enable_private_segment 0
		.amdhsa_system_sgpr_workgroup_id_x 1
		.amdhsa_system_sgpr_workgroup_id_y 0
		.amdhsa_system_sgpr_workgroup_id_z 0
		.amdhsa_system_sgpr_workgroup_info 0
		.amdhsa_system_vgpr_workitem_id 0
		.amdhsa_next_free_vgpr 100
		.amdhsa_next_free_sgpr 14
		.amdhsa_named_barrier_count 0
		.amdhsa_reserve_vcc 1
		.amdhsa_float_round_mode_32 0
		.amdhsa_float_round_mode_16_64 0
		.amdhsa_float_denorm_mode_32 3
		.amdhsa_float_denorm_mode_16_64 3
		.amdhsa_fp16_overflow 0
		.amdhsa_memory_ordered 1
		.amdhsa_forward_progress 1
		.amdhsa_inst_pref_size 35
		.amdhsa_round_robin_scheduling 0
		.amdhsa_exception_fp_ieee_invalid_op 0
		.amdhsa_exception_fp_denorm_src 0
		.amdhsa_exception_fp_ieee_div_zero 0
		.amdhsa_exception_fp_ieee_overflow 0
		.amdhsa_exception_fp_ieee_underflow 0
		.amdhsa_exception_fp_ieee_inexact 0
		.amdhsa_exception_int_div_zero 0
	.end_amdhsa_kernel
	.section	.text._ZN9rocsparseL19gebsrmvn_2xn_kernelILj128ELj15ELj32E21rocsparse_complex_numIfEEEvi20rocsparse_direction_NS_24const_host_device_scalarIT2_EEPKiS8_PKS5_SA_S6_PS5_21rocsparse_index_base_b,"axG",@progbits,_ZN9rocsparseL19gebsrmvn_2xn_kernelILj128ELj15ELj32E21rocsparse_complex_numIfEEEvi20rocsparse_direction_NS_24const_host_device_scalarIT2_EEPKiS8_PKS5_SA_S6_PS5_21rocsparse_index_base_b,comdat
.Lfunc_end220:
	.size	_ZN9rocsparseL19gebsrmvn_2xn_kernelILj128ELj15ELj32E21rocsparse_complex_numIfEEEvi20rocsparse_direction_NS_24const_host_device_scalarIT2_EEPKiS8_PKS5_SA_S6_PS5_21rocsparse_index_base_b, .Lfunc_end220-_ZN9rocsparseL19gebsrmvn_2xn_kernelILj128ELj15ELj32E21rocsparse_complex_numIfEEEvi20rocsparse_direction_NS_24const_host_device_scalarIT2_EEPKiS8_PKS5_SA_S6_PS5_21rocsparse_index_base_b
                                        ; -- End function
	.set _ZN9rocsparseL19gebsrmvn_2xn_kernelILj128ELj15ELj32E21rocsparse_complex_numIfEEEvi20rocsparse_direction_NS_24const_host_device_scalarIT2_EEPKiS8_PKS5_SA_S6_PS5_21rocsparse_index_base_b.num_vgpr, 100
	.set _ZN9rocsparseL19gebsrmvn_2xn_kernelILj128ELj15ELj32E21rocsparse_complex_numIfEEEvi20rocsparse_direction_NS_24const_host_device_scalarIT2_EEPKiS8_PKS5_SA_S6_PS5_21rocsparse_index_base_b.num_agpr, 0
	.set _ZN9rocsparseL19gebsrmvn_2xn_kernelILj128ELj15ELj32E21rocsparse_complex_numIfEEEvi20rocsparse_direction_NS_24const_host_device_scalarIT2_EEPKiS8_PKS5_SA_S6_PS5_21rocsparse_index_base_b.numbered_sgpr, 14
	.set _ZN9rocsparseL19gebsrmvn_2xn_kernelILj128ELj15ELj32E21rocsparse_complex_numIfEEEvi20rocsparse_direction_NS_24const_host_device_scalarIT2_EEPKiS8_PKS5_SA_S6_PS5_21rocsparse_index_base_b.num_named_barrier, 0
	.set _ZN9rocsparseL19gebsrmvn_2xn_kernelILj128ELj15ELj32E21rocsparse_complex_numIfEEEvi20rocsparse_direction_NS_24const_host_device_scalarIT2_EEPKiS8_PKS5_SA_S6_PS5_21rocsparse_index_base_b.private_seg_size, 0
	.set _ZN9rocsparseL19gebsrmvn_2xn_kernelILj128ELj15ELj32E21rocsparse_complex_numIfEEEvi20rocsparse_direction_NS_24const_host_device_scalarIT2_EEPKiS8_PKS5_SA_S6_PS5_21rocsparse_index_base_b.uses_vcc, 1
	.set _ZN9rocsparseL19gebsrmvn_2xn_kernelILj128ELj15ELj32E21rocsparse_complex_numIfEEEvi20rocsparse_direction_NS_24const_host_device_scalarIT2_EEPKiS8_PKS5_SA_S6_PS5_21rocsparse_index_base_b.uses_flat_scratch, 1
	.set _ZN9rocsparseL19gebsrmvn_2xn_kernelILj128ELj15ELj32E21rocsparse_complex_numIfEEEvi20rocsparse_direction_NS_24const_host_device_scalarIT2_EEPKiS8_PKS5_SA_S6_PS5_21rocsparse_index_base_b.has_dyn_sized_stack, 0
	.set _ZN9rocsparseL19gebsrmvn_2xn_kernelILj128ELj15ELj32E21rocsparse_complex_numIfEEEvi20rocsparse_direction_NS_24const_host_device_scalarIT2_EEPKiS8_PKS5_SA_S6_PS5_21rocsparse_index_base_b.has_recursion, 0
	.set _ZN9rocsparseL19gebsrmvn_2xn_kernelILj128ELj15ELj32E21rocsparse_complex_numIfEEEvi20rocsparse_direction_NS_24const_host_device_scalarIT2_EEPKiS8_PKS5_SA_S6_PS5_21rocsparse_index_base_b.has_indirect_call, 0
	.section	.AMDGPU.csdata,"",@progbits
; Kernel info:
; codeLenInByte = 4396
; TotalNumSgprs: 16
; NumVgprs: 100
; ScratchSize: 0
; MemoryBound: 0
; FloatMode: 240
; IeeeMode: 1
; LDSByteSize: 0 bytes/workgroup (compile time only)
; SGPRBlocks: 0
; VGPRBlocks: 6
; NumSGPRsForWavesPerEU: 16
; NumVGPRsForWavesPerEU: 100
; NamedBarCnt: 0
; Occupancy: 9
; WaveLimiterHint : 1
; COMPUTE_PGM_RSRC2:SCRATCH_EN: 0
; COMPUTE_PGM_RSRC2:USER_SGPR: 2
; COMPUTE_PGM_RSRC2:TRAP_HANDLER: 0
; COMPUTE_PGM_RSRC2:TGID_X_EN: 1
; COMPUTE_PGM_RSRC2:TGID_Y_EN: 0
; COMPUTE_PGM_RSRC2:TGID_Z_EN: 0
; COMPUTE_PGM_RSRC2:TIDIG_COMP_CNT: 0
	.section	.text._ZN9rocsparseL19gebsrmvn_2xn_kernelILj128ELj15ELj64E21rocsparse_complex_numIfEEEvi20rocsparse_direction_NS_24const_host_device_scalarIT2_EEPKiS8_PKS5_SA_S6_PS5_21rocsparse_index_base_b,"axG",@progbits,_ZN9rocsparseL19gebsrmvn_2xn_kernelILj128ELj15ELj64E21rocsparse_complex_numIfEEEvi20rocsparse_direction_NS_24const_host_device_scalarIT2_EEPKiS8_PKS5_SA_S6_PS5_21rocsparse_index_base_b,comdat
	.globl	_ZN9rocsparseL19gebsrmvn_2xn_kernelILj128ELj15ELj64E21rocsparse_complex_numIfEEEvi20rocsparse_direction_NS_24const_host_device_scalarIT2_EEPKiS8_PKS5_SA_S6_PS5_21rocsparse_index_base_b ; -- Begin function _ZN9rocsparseL19gebsrmvn_2xn_kernelILj128ELj15ELj64E21rocsparse_complex_numIfEEEvi20rocsparse_direction_NS_24const_host_device_scalarIT2_EEPKiS8_PKS5_SA_S6_PS5_21rocsparse_index_base_b
	.p2align	8
	.type	_ZN9rocsparseL19gebsrmvn_2xn_kernelILj128ELj15ELj64E21rocsparse_complex_numIfEEEvi20rocsparse_direction_NS_24const_host_device_scalarIT2_EEPKiS8_PKS5_SA_S6_PS5_21rocsparse_index_base_b,@function
_ZN9rocsparseL19gebsrmvn_2xn_kernelILj128ELj15ELj64E21rocsparse_complex_numIfEEEvi20rocsparse_direction_NS_24const_host_device_scalarIT2_EEPKiS8_PKS5_SA_S6_PS5_21rocsparse_index_base_b: ; @_ZN9rocsparseL19gebsrmvn_2xn_kernelILj128ELj15ELj64E21rocsparse_complex_numIfEEEvi20rocsparse_direction_NS_24const_host_device_scalarIT2_EEPKiS8_PKS5_SA_S6_PS5_21rocsparse_index_base_b
; %bb.0:
	s_clause 0x2
	s_load_b64 s[12:13], s[0:1], 0x40
	s_load_b64 s[2:3], s[0:1], 0x8
	;; [unrolled: 1-line block ×3, first 2 shown]
	v_mov_b32_e32 v1, 0
	s_add_nc_u64 s[6:7], s[0:1], 8
	s_add_nc_u64 s[8:9], s[0:1], 48
	s_wait_kmcnt 0x0
	s_bitcmp1_b32 s13, 0
	s_cselect_b32 s3, s7, s3
	s_cselect_b32 s2, s6, s2
	;; [unrolled: 1-line block ×4, first 2 shown]
	s_clause 0x1
	flat_load_b64 v[2:3], v1, s[2:3]
	flat_load_b64 v[4:5], v1, s[4:5]
	s_wait_loadcnt_dscnt 0x101
	v_cmp_eq_f32_e32 vcc_lo, 0, v2
	v_cmp_eq_f32_e64 s2, 0, v3
	s_wait_loadcnt_dscnt 0x0
	v_cmp_eq_f32_e64 s3, 1.0, v4
	v_cmp_eq_f32_e64 s4, 0, v5
	s_and_b32 s2, vcc_lo, s2
	s_and_b32 s3, s3, s4
	s_delay_alu instid0(SALU_CYCLE_1) | instskip(NEXT) | instid1(SALU_CYCLE_1)
	s_and_b32 s2, s2, s3
	s_xor_b32 s2, s2, -1
	s_delay_alu instid0(SALU_CYCLE_1)
	s_and_saveexec_b32 s3, s2
	s_cbranch_execz .LBB221_19
; %bb.1:
	s_load_b64 s[2:3], s[0:1], 0x0
	s_bfe_u32 s4, ttmp6, 0x4000c
	s_and_b32 s5, ttmp6, 15
	s_add_co_i32 s4, s4, 1
	s_getreg_b32 s6, hwreg(HW_REG_IB_STS2, 6, 4)
	s_mul_i32 s4, ttmp9, s4
	v_lshrrev_b32_e32 v1, 6, v0
	s_add_co_i32 s5, s5, s4
	s_cmp_eq_u32 s6, 0
	s_cselect_b32 s4, ttmp9, s5
	s_delay_alu instid0(VALU_DEP_1) | instid1(SALU_CYCLE_1)
	v_lshl_or_b32 v6, s4, 1, v1
	s_wait_kmcnt 0x0
	s_delay_alu instid0(VALU_DEP_1)
	v_cmp_gt_i32_e32 vcc_lo, s2, v6
	s_and_b32 exec_lo, exec_lo, vcc_lo
	s_cbranch_execz .LBB221_19
; %bb.2:
	s_load_b256 s[4:11], s[0:1], 0x10
	v_ashrrev_i32_e32 v7, 31, v6
	s_cmp_lg_u32 s3, 0
	s_wait_kmcnt 0x0
	s_delay_alu instid0(VALU_DEP_1)
	v_lshl_add_u64 v[8:9], v[6:7], 2, s[4:5]
	v_and_b32_e32 v7, 63, v0
	global_load_b64 v[8:9], v[8:9], off
	s_wait_loadcnt 0x0
	v_subrev_nc_u32_e32 v0, s12, v8
	v_subrev_nc_u32_e32 v12, s12, v9
	s_delay_alu instid0(VALU_DEP_2) | instskip(NEXT) | instid1(VALU_DEP_1)
	v_add_nc_u32_e32 v13, v0, v7
	v_cmp_lt_i32_e64 s2, v13, v12
	s_cbranch_scc0 .LBB221_8
; %bb.3:
	v_mov_b32_e32 v1, 0
	s_delay_alu instid0(VALU_DEP_1)
	v_dual_mov_b32 v0, v1 :: v_dual_mov_b32 v9, v1
	v_mov_b32_e32 v8, v1
	s_and_saveexec_b32 s3, s2
	s_cbranch_execz .LBB221_7
; %bb.4:
	v_mul_lo_u32 v10, v13, 30
	v_dual_mov_b32 v11, 0 :: v_dual_mov_b32 v14, v13
	s_mov_b32 s4, 0
	s_delay_alu instid0(VALU_DEP_1)
	v_dual_mov_b32 v8, v11 :: v_dual_mov_b32 v9, v11
	v_dual_mov_b32 v0, v11 :: v_dual_mov_b32 v1, v11
.LBB221_5:                              ; =>This Inner Loop Header: Depth=1
	global_load_b32 v15, v14, s[6:7] scale_offset
	v_dual_mov_b32 v17, v11 :: v_dual_add_nc_u32 v16, 2, v10
	v_lshl_add_u64 v[24:25], v[10:11], 3, s[8:9]
	v_dual_mov_b32 v27, v11 :: v_dual_add_nc_u32 v26, 4, v10
	v_dual_mov_b32 v29, v11 :: v_dual_add_nc_u32 v28, 6, v10
	s_delay_alu instid0(VALU_DEP_4)
	v_lshl_add_u64 v[30:31], v[16:17], 3, s[8:9]
	s_clause 0x1
	global_load_b128 v[16:19], v[24:25], off
	global_load_b128 v[20:23], v[30:31], off
	s_wait_xcnt 0x0
	v_lshl_add_u64 v[30:31], v[26:27], 3, s[8:9]
	v_dual_mov_b32 v33, v11 :: v_dual_add_nc_u32 v32, 8, v10
	v_dual_mov_b32 v37, v11 :: v_dual_add_nc_u32 v36, 10, v10
	v_dual_mov_b32 v41, v11 :: v_dual_add_nc_u32 v40, 12, v10
	v_dual_mov_b32 v49, v11 :: v_dual_add_nc_u32 v48, 16, v10
	v_dual_mov_b32 v55, v11 :: v_dual_add_nc_u32 v54, 20, v10
	v_dual_mov_b32 v61, v11 :: v_dual_add_nc_u32 v60, 24, v10
	v_dual_mov_b32 v87, v11 :: v_dual_add_nc_u32 v86, 28, v10
	v_dual_add_nc_u32 v52, 18, v10 :: v_dual_add_nc_u32 v56, 22, v10
	v_add_nc_u32_e32 v82, 26, v10
	s_delay_alu instid0(VALU_DEP_4) | instskip(SKIP_1) | instid1(VALU_DEP_1)
	v_lshl_add_u64 v[96:97], v[60:61], 3, s[8:9]
	v_add_nc_u32_e32 v14, 64, v14
	v_cmp_ge_i32_e32 vcc_lo, v14, v12
	s_or_b32 s4, vcc_lo, s4
	s_wait_loadcnt 0x2
	v_subrev_nc_u32_e32 v15, s12, v15
	s_delay_alu instid0(VALU_DEP_1)
	v_mul_lo_u32 v15, v15, 15
	v_dual_mov_b32 v45, v11 :: v_dual_add_nc_u32 v44, 14, v10
	v_dual_mov_b32 v53, v11 :: v_dual_mov_b32 v57, v11
	v_dual_mov_b32 v83, v11 :: v_dual_add_nc_u32 v10, 0x780, v10
	global_load_b64 v[68:69], v15, s[10:11] scale_offset
	v_dual_add_nc_u32 v24, 1, v15 :: v_dual_add_nc_u32 v34, 2, v15
	v_dual_add_nc_u32 v38, 3, v15 :: v_dual_add_nc_u32 v42, 4, v15
	v_add_nc_u32_e32 v46, 5, v15
	global_load_b64 v[70:71], v24, s[10:11] scale_offset
	global_load_b128 v[24:27], v[30:31], off
	global_load_b64 v[72:73], v34, s[10:11] scale_offset
	s_wait_xcnt 0x0
	v_lshl_add_u64 v[34:35], v[28:29], 3, s[8:9]
	global_load_b128 v[28:31], v[34:35], off
	global_load_b64 v[74:75], v38, s[10:11] scale_offset
	s_wait_xcnt 0x0
	v_lshl_add_u64 v[38:39], v[32:33], 3, s[8:9]
	global_load_b128 v[32:35], v[38:39], off
	global_load_b64 v[76:77], v42, s[10:11] scale_offset
	s_wait_xcnt 0x0
	v_lshl_add_u64 v[42:43], v[36:37], 3, s[8:9]
	global_load_b128 v[36:39], v[42:43], off
	global_load_b64 v[78:79], v46, s[10:11] scale_offset
	s_wait_xcnt 0x0
	v_lshl_add_u64 v[46:47], v[40:41], 3, s[8:9]
	v_add_nc_u32_e32 v50, 6, v15
	global_load_b128 v[40:43], v[46:47], off
	global_load_b64 v[80:81], v50, s[10:11] scale_offset
	s_wait_xcnt 0x0
	v_lshl_add_u64 v[50:51], v[44:45], 3, s[8:9]
	v_add_nc_u32_e32 v58, 7, v15
	global_load_b128 v[44:47], v[50:51], off
	global_load_b64 v[84:85], v58, s[10:11] scale_offset
	s_wait_xcnt 0x0
	v_lshl_add_u64 v[58:59], v[48:49], 3, s[8:9]
	v_add_nc_u32_e32 v62, 8, v15
	global_load_b128 v[48:51], v[58:59], off
	global_load_b64 v[88:89], v62, s[10:11] scale_offset
	s_wait_xcnt 0x1
	v_lshl_add_u64 v[58:59], v[52:53], 3, s[8:9]
	v_add_nc_u32_e32 v64, 9, v15
	s_wait_xcnt 0x0
	v_lshl_add_u64 v[62:63], v[54:55], 3, s[8:9]
	global_load_b128 v[52:55], v[58:59], off
	global_load_b64 v[90:91], v64, s[10:11] scale_offset
	s_wait_xcnt 0x0
	v_add_nc_u32_e32 v64, 10, v15
	v_lshl_add_u64 v[92:93], v[56:57], 3, s[8:9]
	global_load_b128 v[56:59], v[62:63], off
	global_load_b64 v[94:95], v64, s[10:11] scale_offset
	s_clause 0x1
	global_load_b128 v[60:63], v[92:93], off
	global_load_b128 v[64:67], v[96:97], off
	s_wait_xcnt 0x0
	v_dual_add_nc_u32 v96, 11, v15 :: v_dual_add_nc_u32 v98, 12, v15
	s_wait_loadcnt 0x17
	v_xor_b32_e32 v92, 0x80000000, v19
	v_mov_b32_e32 v93, v18
	global_load_b64 v[96:97], v96, s[10:11] scale_offset
	s_wait_loadcnt 0x16
	v_pk_fma_f32 v[0:1], v[16:17], v[68:69], v[0:1] op_sel_hi:[1,0,1]
	v_pk_fma_f32 v[8:9], v[18:19], v[68:69], v[8:9] op_sel_hi:[1,0,1]
	s_delay_alu instid0(VALU_DEP_2)
	v_pk_fma_f32 v[0:1], v[16:17], v[68:69], v[0:1] op_sel:[1,1,0] op_sel_hi:[0,1,1] neg_lo:[1,0,0]
	v_lshl_add_u64 v[16:17], v[82:83], 3, s[8:9]
	v_lshl_add_u64 v[82:83], v[86:87], 3, s[8:9]
	v_add_nc_u32_e32 v86, 13, v15
	global_load_b64 v[98:99], v98, s[10:11] scale_offset
	v_pk_fma_f32 v[8:9], v[92:93], v[68:69], v[8:9] op_sel:[0,1,0]
	global_load_b128 v[16:19], v[16:17], off
	s_wait_loadcnt 0x17
	v_pk_fma_f32 v[0:1], v[20:21], v[70:71], v[0:1] op_sel_hi:[1,0,1]
	global_load_b64 v[86:87], v86, s[10:11] scale_offset
	v_dual_mov_b32 v69, v22 :: v_dual_add_nc_u32 v15, 14, v15
	v_xor_b32_e32 v68, 0x80000000, v23
	v_pk_fma_f32 v[8:9], v[22:23], v[70:71], v[8:9] op_sel_hi:[1,0,1]
	v_pk_fma_f32 v[0:1], v[20:21], v[70:71], v[0:1] op_sel:[1,1,0] op_sel_hi:[0,1,1] neg_lo:[1,0,0]
	global_load_b128 v[20:23], v[82:83], off
	global_load_b64 v[92:93], v15, s[10:11] scale_offset
	v_pk_fma_f32 v[8:9], v[68:69], v[70:71], v[8:9] op_sel:[0,1,0]
	s_wait_loadcnt 0x18
	v_pk_fma_f32 v[0:1], v[24:25], v[72:73], v[0:1] op_sel_hi:[1,0,1]
	v_xor_b32_e32 v68, 0x80000000, v27
	v_mov_b32_e32 v69, v26
	v_pk_fma_f32 v[8:9], v[26:27], v[72:73], v[8:9] op_sel_hi:[1,0,1]
	s_delay_alu instid0(VALU_DEP_4)
	v_pk_fma_f32 v[0:1], v[24:25], v[72:73], v[0:1] op_sel:[1,1,0] op_sel_hi:[0,1,1] neg_lo:[1,0,0]
	s_wait_loadcnt 0x17
	v_mov_b32_e32 v25, v30
	v_xor_b32_e32 v24, 0x80000000, v31
	v_pk_fma_f32 v[8:9], v[68:69], v[72:73], v[8:9] op_sel:[0,1,0]
	s_wait_loadcnt 0x16
	v_pk_fma_f32 v[0:1], v[28:29], v[74:75], v[0:1] op_sel_hi:[1,0,1]
	s_delay_alu instid0(VALU_DEP_2) | instskip(NEXT) | instid1(VALU_DEP_2)
	v_pk_fma_f32 v[8:9], v[30:31], v[74:75], v[8:9] op_sel_hi:[1,0,1]
	v_pk_fma_f32 v[0:1], v[28:29], v[74:75], v[0:1] op_sel:[1,1,0] op_sel_hi:[0,1,1] neg_lo:[1,0,0]
	s_delay_alu instid0(VALU_DEP_2) | instskip(SKIP_1) | instid1(VALU_DEP_2)
	v_pk_fma_f32 v[8:9], v[24:25], v[74:75], v[8:9] op_sel:[0,1,0]
	s_wait_loadcnt 0x14
	v_pk_fma_f32 v[0:1], v[32:33], v[76:77], v[0:1] op_sel_hi:[1,0,1]
	v_xor_b32_e32 v24, 0x80000000, v35
	v_mov_b32_e32 v25, v34
	v_pk_fma_f32 v[8:9], v[34:35], v[76:77], v[8:9] op_sel_hi:[1,0,1]
	s_delay_alu instid0(VALU_DEP_4) | instskip(NEXT) | instid1(VALU_DEP_2)
	v_pk_fma_f32 v[0:1], v[32:33], v[76:77], v[0:1] op_sel:[1,1,0] op_sel_hi:[0,1,1] neg_lo:[1,0,0]
	v_pk_fma_f32 v[8:9], v[24:25], v[76:77], v[8:9] op_sel:[0,1,0]
	s_wait_loadcnt 0x12
	s_delay_alu instid0(VALU_DEP_2) | instskip(SKIP_3) | instid1(VALU_DEP_4)
	v_pk_fma_f32 v[0:1], v[36:37], v[78:79], v[0:1] op_sel_hi:[1,0,1]
	v_xor_b32_e32 v24, 0x80000000, v39
	v_mov_b32_e32 v25, v38
	v_pk_fma_f32 v[8:9], v[38:39], v[78:79], v[8:9] op_sel_hi:[1,0,1]
	v_pk_fma_f32 v[0:1], v[36:37], v[78:79], v[0:1] op_sel:[1,1,0] op_sel_hi:[0,1,1] neg_lo:[1,0,0]
	s_wait_loadcnt 0x10
	s_delay_alu instid0(VALU_DEP_1) | instskip(NEXT) | instid1(VALU_DEP_1)
	v_pk_fma_f32 v[0:1], v[40:41], v[80:81], v[0:1] op_sel_hi:[1,0,1]
	v_pk_fma_f32 v[0:1], v[40:41], v[80:81], v[0:1] op_sel:[1,1,0] op_sel_hi:[0,1,1] neg_lo:[1,0,0]
	s_wait_loadcnt 0xe
	s_delay_alu instid0(VALU_DEP_1) | instskip(NEXT) | instid1(VALU_DEP_1)
	;; [unrolled: 4-line block ×8, first 2 shown]
	v_pk_fma_f32 v[0:1], v[16:17], v[86:87], v[0:1] op_sel_hi:[1,0,1]
	v_pk_fma_f32 v[0:1], v[16:17], v[86:87], v[0:1] op_sel:[1,1,0] op_sel_hi:[0,1,1] neg_lo:[1,0,0]
	s_wait_loadcnt 0x1
	v_mov_b32_e32 v17, v22
	v_pk_fma_f32 v[8:9], v[24:25], v[78:79], v[8:9] op_sel:[0,1,0]
	v_xor_b32_e32 v24, 0x80000000, v43
	v_mov_b32_e32 v25, v42
	v_xor_b32_e32 v16, 0x80000000, v23
	s_wait_loadcnt 0x0
	v_pk_fma_f32 v[0:1], v[20:21], v[92:93], v[0:1] op_sel_hi:[1,0,1]
	v_pk_fma_f32 v[8:9], v[42:43], v[80:81], v[8:9] op_sel_hi:[1,0,1]
	s_delay_alu instid0(VALU_DEP_2) | instskip(NEXT) | instid1(VALU_DEP_2)
	v_pk_fma_f32 v[0:1], v[20:21], v[92:93], v[0:1] op_sel:[1,1,0] op_sel_hi:[0,1,1] neg_lo:[1,0,0]
	v_pk_fma_f32 v[8:9], v[24:25], v[80:81], v[8:9] op_sel:[0,1,0]
	v_xor_b32_e32 v24, 0x80000000, v47
	v_mov_b32_e32 v25, v46
	s_delay_alu instid0(VALU_DEP_3) | instskip(NEXT) | instid1(VALU_DEP_1)
	v_pk_fma_f32 v[8:9], v[46:47], v[84:85], v[8:9] op_sel_hi:[1,0,1]
	v_pk_fma_f32 v[8:9], v[24:25], v[84:85], v[8:9] op_sel:[0,1,0]
	v_xor_b32_e32 v24, 0x80000000, v51
	v_mov_b32_e32 v25, v50
	s_delay_alu instid0(VALU_DEP_3) | instskip(NEXT) | instid1(VALU_DEP_1)
	v_pk_fma_f32 v[8:9], v[50:51], v[88:89], v[8:9] op_sel_hi:[1,0,1]
	;; [unrolled: 5-line block ×7, first 2 shown]
	v_pk_fma_f32 v[8:9], v[24:25], v[86:87], v[8:9] op_sel:[0,1,0]
	s_delay_alu instid0(VALU_DEP_1) | instskip(NEXT) | instid1(VALU_DEP_1)
	v_pk_fma_f32 v[8:9], v[22:23], v[92:93], v[8:9] op_sel_hi:[1,0,1]
	v_pk_fma_f32 v[8:9], v[16:17], v[92:93], v[8:9] op_sel:[0,1,0]
	s_and_not1_b32 exec_lo, exec_lo, s4
	s_cbranch_execnz .LBB221_5
; %bb.6:
	s_or_b32 exec_lo, exec_lo, s4
.LBB221_7:
	s_delay_alu instid0(SALU_CYCLE_1)
	s_or_b32 exec_lo, exec_lo, s3
	s_cbranch_execz .LBB221_9
	s_branch .LBB221_14
.LBB221_8:
                                        ; implicit-def: $vgpr1
                                        ; implicit-def: $vgpr9
.LBB221_9:
	v_mov_b32_e32 v1, 0
	s_delay_alu instid0(VALU_DEP_1)
	v_dual_mov_b32 v0, v1 :: v_dual_mov_b32 v9, v1
	v_mov_b32_e32 v8, v1
	s_and_saveexec_b32 s3, s2
	s_cbranch_execz .LBB221_13
; %bb.10:
	v_mad_u32 v14, v13, 30, 29
	v_mov_b32_e32 v11, 0
	s_mov_b32 s2, 0
	s_delay_alu instid0(VALU_DEP_1)
	v_dual_mov_b32 v8, v11 :: v_dual_mov_b32 v9, v11
	v_dual_mov_b32 v0, v11 :: v_dual_mov_b32 v1, v11
.LBB221_11:                             ; =>This Inner Loop Header: Depth=1
	global_load_b32 v15, v13, s[6:7] scale_offset
	v_subrev_nc_u32_e32 v10, 29, v14
	v_dual_add_nc_u32 v34, -14, v14 :: v_dual_add_nc_u32 v35, -13, v14
	v_subrev_nc_u32_e32 v36, 27, v14
	v_dual_add_nc_u32 v37, -12, v14 :: v_dual_add_nc_u32 v39, -11, v14
	s_delay_alu instid0(VALU_DEP_4)
	v_lshl_add_u64 v[20:21], v[10:11], 3, s[8:9]
	v_subrev_nc_u32_e32 v38, 26, v14
	s_clause 0x6
	global_load_b64 v[22:23], v34, s[8:9] scale_offset
	global_load_b64 v[24:25], v35, s[8:9] scale_offset
	;; [unrolled: 1-line block ×6, first 2 shown]
	global_load_b128 v[16:19], v[20:21], off
	v_subrev_nc_u32_e32 v46, 25, v14
	v_dual_add_nc_u32 v47, -10, v14 :: v_dual_add_nc_u32 v51, -9, v14
	v_subrev_nc_u32_e32 v50, 24, v14
	v_subrev_nc_u32_e32 v64, 23, v14
	v_dual_add_nc_u32 v65, -8, v14 :: v_dual_add_nc_u32 v67, -7, v14
	v_subrev_nc_u32_e32 v66, 22, v14
	;; [unrolled: 3-line block ×4, first 2 shown]
	v_dual_add_nc_u32 v78, -2, v14 :: v_dual_add_nc_u32 v80, -16, v14
	v_dual_add_nc_u32 v81, -1, v14 :: v_dual_add_nc_u32 v82, -15, v14
	s_wait_xcnt 0x7
	v_add_nc_u32_e32 v13, 64, v13
	s_delay_alu instid0(VALU_DEP_1) | instskip(SKIP_3) | instid1(VALU_DEP_1)
	v_cmp_ge_i32_e32 vcc_lo, v13, v12
	s_or_b32 s2, vcc_lo, s2
	s_wait_loadcnt 0x7
	v_subrev_nc_u32_e32 v10, s12, v15
	v_mul_lo_u32 v10, v10, 15
	global_load_b64 v[20:21], v10, s[10:11] scale_offset
	v_dual_add_nc_u32 v15, 1, v10 :: v_dual_add_nc_u32 v40, 2, v10
	v_dual_add_nc_u32 v41, 3, v10 :: v_dual_add_nc_u32 v48, 4, v10
	s_clause 0x2
	global_load_b64 v[34:35], v15, s[10:11] scale_offset
	global_load_b64 v[36:37], v40, s[10:11] scale_offset
	;; [unrolled: 1-line block ×3, first 2 shown]
	s_clause 0x1
	global_load_b64 v[40:41], v46, s[8:9] scale_offset
	global_load_b64 v[42:43], v47, s[8:9] scale_offset
	;; [unrolled: 1-line block ×3, first 2 shown]
	s_clause 0x1
	global_load_b64 v[46:47], v50, s[8:9] scale_offset
	global_load_b64 v[48:49], v51, s[8:9] scale_offset
	v_dual_add_nc_u32 v70, 5, v10 :: v_dual_add_nc_u32 v79, 6, v10
	s_clause 0x2
	global_load_b64 v[50:51], v64, s[8:9] scale_offset
	global_load_b64 v[52:53], v65, s[8:9] scale_offset
	;; [unrolled: 1-line block ×4, first 2 shown]
	s_clause 0x5
	global_load_b64 v[58:59], v67, s[8:9] scale_offset
	global_load_b64 v[60:61], v68, s[8:9] scale_offset
	;; [unrolled: 1-line block ×7, first 2 shown]
	s_wait_xcnt 0x2
	v_dual_add_nc_u32 v72, 7, v10 :: v_dual_add_nc_u32 v73, 8, v10
	v_subrev_nc_u32_e32 v15, 17, v14
	s_wait_xcnt 0x0
	v_dual_add_nc_u32 v79, 10, v10 :: v_dual_add_nc_u32 v83, 12, v10
	s_wait_loadcnt 0x13
	v_pk_fma_f32 v[8:9], v[22:23], v[20:21], v[8:9] op_sel_hi:[1,0,1]
	v_pk_fma_f32 v[0:1], v[16:17], v[20:21], v[0:1] op_sel_hi:[1,0,1]
	s_delay_alu instid0(VALU_DEP_2)
	v_pk_fma_f32 v[8:9], v[22:23], v[20:21], v[8:9] op_sel:[1,1,0] op_sel_hi:[0,1,1] neg_lo:[1,0,0]
	global_load_b64 v[22:23], v72, s[10:11] scale_offset
	v_pk_fma_f32 v[0:1], v[16:17], v[20:21], v[0:1] op_sel:[1,1,0] op_sel_hi:[0,1,1] neg_lo:[1,0,0]
	global_load_b64 v[20:21], v73, s[10:11] scale_offset
	v_xor_b32_e32 v16, 0x80000000, v19
	v_mov_b32_e32 v17, v18
	s_wait_loadcnt 0x14
	v_pk_fma_f32 v[8:9], v[24:25], v[34:35], v[8:9] op_sel_hi:[1,0,1]
	v_pk_fma_f32 v[0:1], v[18:19], v[34:35], v[0:1] op_sel_hi:[1,0,1]
	s_clause 0x1
	global_load_b64 v[18:19], v75, s[8:9] scale_offset
	global_load_b64 v[72:73], v76, s[8:9] scale_offset
	s_wait_xcnt 0x0
	v_add_nc_u32_e32 v76, 9, v10
	global_load_b64 v[74:75], v77, s[8:9] scale_offset
	v_pk_fma_f32 v[8:9], v[24:25], v[34:35], v[8:9] op_sel:[1,1,0] op_sel_hi:[0,1,1] neg_lo:[1,0,0]
	v_pk_fma_f32 v[0:1], v[16:17], v[34:35], v[0:1] op_sel:[0,1,0]
	global_load_b64 v[16:17], v76, s[10:11] scale_offset
	s_clause 0x1
	global_load_b64 v[24:25], v15, s[8:9] scale_offset
	global_load_b64 v[34:35], v78, s[8:9] scale_offset
	global_load_b64 v[76:77], v79, s[10:11] scale_offset
	s_wait_xcnt 0x2
	v_add_nc_u32_e32 v15, 11, v10
	s_wait_loadcnt 0x1a
	v_pk_fma_f32 v[0:1], v[26:27], v[36:37], v[0:1] op_sel_hi:[1,0,1]
	v_pk_fma_f32 v[8:9], v[28:29], v[36:37], v[8:9] op_sel_hi:[1,0,1]
	s_delay_alu instid0(VALU_DEP_2)
	v_pk_fma_f32 v[0:1], v[26:27], v[36:37], v[0:1] op_sel:[1,1,0] op_sel_hi:[0,1,1] neg_lo:[1,0,0]
	global_load_b64 v[26:27], v15, s[10:11] scale_offset
	v_pk_fma_f32 v[8:9], v[28:29], v[36:37], v[8:9] op_sel:[1,1,0] op_sel_hi:[0,1,1] neg_lo:[1,0,0]
	s_wait_xcnt 0x0
	v_add_nc_u32_e32 v15, 13, v10
	s_clause 0x1
	global_load_b64 v[28:29], v80, s[8:9] scale_offset
	global_load_b64 v[36:37], v81, s[8:9] scale_offset
	;; [unrolled: 1-line block ×3, first 2 shown]
	s_wait_loadcnt 0x1d
	v_pk_fma_f32 v[0:1], v[30:31], v[38:39], v[0:1] op_sel_hi:[1,0,1]
	v_add_nc_u32_e32 v10, 14, v10
	v_pk_fma_f32 v[8:9], v[32:33], v[38:39], v[8:9] op_sel_hi:[1,0,1]
	s_delay_alu instid0(VALU_DEP_3)
	v_pk_fma_f32 v[0:1], v[30:31], v[38:39], v[0:1] op_sel:[1,1,0] op_sel_hi:[0,1,1] neg_lo:[1,0,0]
	global_load_b64 v[30:31], v15, s[10:11] scale_offset
	v_pk_fma_f32 v[8:9], v[32:33], v[38:39], v[8:9] op_sel:[1,1,0] op_sel_hi:[0,1,1] neg_lo:[1,0,0]
	s_clause 0x1
	global_load_b64 v[32:33], v14, s[8:9] scale_offset
	global_load_b64 v[38:39], v82, s[8:9] scale_offset
	global_load_b64 v[80:81], v10, s[10:11] scale_offset
	s_wait_xcnt 0x2
	v_add_nc_u32_e32 v14, 0x780, v14
	s_wait_loadcnt 0x1e
	v_pk_fma_f32 v[0:1], v[40:41], v[44:45], v[0:1] op_sel_hi:[1,0,1]
	v_pk_fma_f32 v[8:9], v[42:43], v[44:45], v[8:9] op_sel_hi:[1,0,1]
	s_delay_alu instid0(VALU_DEP_2) | instskip(NEXT) | instid1(VALU_DEP_2)
	v_pk_fma_f32 v[0:1], v[40:41], v[44:45], v[0:1] op_sel:[1,1,0] op_sel_hi:[0,1,1] neg_lo:[1,0,0]
	v_pk_fma_f32 v[8:9], v[42:43], v[44:45], v[8:9] op_sel:[1,1,0] op_sel_hi:[0,1,1] neg_lo:[1,0,0]
	s_wait_loadcnt 0x18
	s_delay_alu instid0(VALU_DEP_2) | instskip(NEXT) | instid1(VALU_DEP_2)
	v_pk_fma_f32 v[0:1], v[46:47], v[56:57], v[0:1] op_sel_hi:[1,0,1]
	v_pk_fma_f32 v[8:9], v[48:49], v[56:57], v[8:9] op_sel_hi:[1,0,1]
	s_delay_alu instid0(VALU_DEP_2) | instskip(NEXT) | instid1(VALU_DEP_2)
	v_pk_fma_f32 v[0:1], v[46:47], v[56:57], v[0:1] op_sel:[1,1,0] op_sel_hi:[0,1,1] neg_lo:[1,0,0]
	v_pk_fma_f32 v[8:9], v[48:49], v[56:57], v[8:9] op_sel:[1,1,0] op_sel_hi:[0,1,1] neg_lo:[1,0,0]
	s_wait_loadcnt 0x11
	s_delay_alu instid0(VALU_DEP_2) | instskip(NEXT) | instid1(VALU_DEP_2)
	;; [unrolled: 7-line block ×10, first 2 shown]
	v_pk_fma_f32 v[0:1], v[38:39], v[80:81], v[0:1] op_sel_hi:[1,0,1]
	v_pk_fma_f32 v[8:9], v[32:33], v[80:81], v[8:9] op_sel_hi:[1,0,1]
	s_delay_alu instid0(VALU_DEP_2) | instskip(NEXT) | instid1(VALU_DEP_2)
	v_pk_fma_f32 v[0:1], v[38:39], v[80:81], v[0:1] op_sel:[1,1,0] op_sel_hi:[0,1,1] neg_lo:[1,0,0]
	v_pk_fma_f32 v[8:9], v[32:33], v[80:81], v[8:9] op_sel:[1,1,0] op_sel_hi:[0,1,1] neg_lo:[1,0,0]
	s_and_not1_b32 exec_lo, exec_lo, s2
	s_cbranch_execnz .LBB221_11
; %bb.12:
	s_or_b32 exec_lo, exec_lo, s2
.LBB221_13:
	s_delay_alu instid0(SALU_CYCLE_1)
	s_or_b32 exec_lo, exec_lo, s3
.LBB221_14:
	v_mbcnt_lo_u32_b32 v10, -1, 0
	s_delay_alu instid0(VALU_DEP_1) | instskip(SKIP_1) | instid1(VALU_DEP_1)
	v_xor_b32_e32 v15, 16, v10
	v_or_b32_e32 v11, 32, v10
	v_cmp_gt_i32_e32 vcc_lo, 32, v11
	v_cndmask_b32_e32 v11, v10, v11, vcc_lo
	s_delay_alu instid0(VALU_DEP_1)
	v_lshlrev_b32_e32 v11, 2, v11
	ds_bpermute_b32 v13, v11, v1
	s_wait_dscnt 0x0
	v_add_f32_e32 v1, v1, v13
	ds_bpermute_b32 v12, v11, v0
	ds_bpermute_b32 v14, v11, v8
	;; [unrolled: 1-line block ×3, first 2 shown]
	s_wait_dscnt 0x2
	v_add_f32_e32 v0, v0, v12
	s_wait_dscnt 0x0
	v_dual_add_f32 v8, v8, v14 :: v_dual_add_f32 v9, v9, v11
	v_cmp_gt_i32_e32 vcc_lo, 32, v15
	v_cndmask_b32_e32 v15, v10, v15, vcc_lo
	s_delay_alu instid0(VALU_DEP_1)
	v_lshlrev_b32_e32 v15, 2, v15
	ds_bpermute_b32 v11, v15, v0
	ds_bpermute_b32 v12, v15, v1
	;; [unrolled: 1-line block ×4, first 2 shown]
	s_wait_dscnt 0x3
	v_dual_add_f32 v0, v0, v11 :: v_dual_bitop2_b32 v15, 8, v10 bitop3:0x14
	s_delay_alu instid0(VALU_DEP_1)
	v_cmp_gt_i32_e32 vcc_lo, 32, v15
	s_wait_dscnt 0x2
	v_add_f32_e32 v1, v1, v12
	s_wait_dscnt 0x0
	v_dual_add_f32 v9, v9, v14 :: v_dual_add_f32 v8, v8, v13
	v_cndmask_b32_e32 v15, v10, v15, vcc_lo
	s_delay_alu instid0(VALU_DEP_1)
	v_lshlrev_b32_e32 v15, 2, v15
	ds_bpermute_b32 v11, v15, v0
	ds_bpermute_b32 v12, v15, v1
	;; [unrolled: 1-line block ×4, first 2 shown]
	s_wait_dscnt 0x3
	v_dual_add_f32 v0, v0, v11 :: v_dual_bitop2_b32 v15, 4, v10 bitop3:0x14
	s_delay_alu instid0(VALU_DEP_1) | instskip(SKIP_4) | instid1(VALU_DEP_2)
	v_cmp_gt_i32_e32 vcc_lo, 32, v15
	s_wait_dscnt 0x2
	v_dual_add_f32 v1, v1, v12 :: v_dual_cndmask_b32 v15, v10, v15, vcc_lo
	s_wait_dscnt 0x0
	v_dual_add_f32 v8, v8, v13 :: v_dual_add_f32 v9, v9, v14
	v_lshlrev_b32_e32 v15, 2, v15
	ds_bpermute_b32 v11, v15, v0
	ds_bpermute_b32 v12, v15, v1
	;; [unrolled: 1-line block ×4, first 2 shown]
	s_wait_dscnt 0x3
	v_dual_add_f32 v0, v0, v11 :: v_dual_bitop2_b32 v15, 2, v10 bitop3:0x14
	s_delay_alu instid0(VALU_DEP_1) | instskip(SKIP_4) | instid1(VALU_DEP_1)
	v_cmp_gt_i32_e32 vcc_lo, 32, v15
	s_wait_dscnt 0x1
	v_dual_add_f32 v1, v1, v12 :: v_dual_add_f32 v11, v8, v13
	s_wait_dscnt 0x0
	v_dual_add_f32 v9, v9, v14 :: v_dual_cndmask_b32 v15, v10, v15, vcc_lo
	v_lshlrev_b32_e32 v15, 2, v15
	ds_bpermute_b32 v8, v15, v0
	ds_bpermute_b32 v12, v15, v1
	;; [unrolled: 1-line block ×4, first 2 shown]
	s_wait_dscnt 0x3
	v_dual_add_f32 v0, v0, v8 :: v_dual_bitop2_b32 v15, 1, v10 bitop3:0x14
	s_delay_alu instid0(VALU_DEP_1)
	v_cmp_gt_i32_e32 vcc_lo, 32, v15
	s_wait_dscnt 0x2
	v_dual_add_f32 v8, v1, v12 :: v_dual_cndmask_b32 v10, v10, v15, vcc_lo
	s_wait_dscnt 0x0
	v_dual_add_f32 v1, v11, v13 :: v_dual_add_f32 v9, v9, v14
	v_cmp_eq_u32_e32 vcc_lo, 63, v7
	s_delay_alu instid0(VALU_DEP_3)
	v_lshlrev_b32_e32 v15, 2, v10
	ds_bpermute_b32 v12, v15, v0
	ds_bpermute_b32 v13, v15, v8
	;; [unrolled: 1-line block ×4, first 2 shown]
	s_and_b32 exec_lo, exec_lo, vcc_lo
	s_cbranch_execz .LBB221_19
; %bb.15:
	s_load_b64 s[2:3], s[0:1], 0x38
	v_cmp_eq_f32_e32 vcc_lo, 0, v4
	s_wait_xcnt 0x0
	v_cmp_eq_f32_e64 s0, 0, v5
	s_wait_dscnt 0x3
	v_add_f32_e32 v0, v0, v12
	s_wait_dscnt 0x1
	v_dual_add_f32 v12, v8, v13 :: v_dual_add_f32 v8, v1, v10
	s_wait_dscnt 0x0
	v_add_f32_e32 v10, v9, v11
	s_and_b32 s0, vcc_lo, s0
	s_delay_alu instid0(SALU_CYCLE_1) | instskip(NEXT) | instid1(SALU_CYCLE_1)
	s_and_saveexec_b32 s1, s0
	s_xor_b32 s0, exec_lo, s1
	s_cbranch_execz .LBB221_17
; %bb.16:
	v_xor_b32_e32 v4, 0x80000000, v3
	v_dual_mov_b32 v5, v2 :: v_dual_lshlrev_b32 v6, 1, v6
	s_delay_alu instid0(VALU_DEP_1) | instskip(NEXT) | instid1(VALU_DEP_2)
	v_ashrrev_i32_e32 v7, 31, v6
	v_pk_mul_f32 v[12:13], v[12:13], v[4:5] op_sel_hi:[0,1]
	v_pk_mul_f32 v[4:5], v[10:11], v[4:5] op_sel_hi:[0,1]
                                        ; implicit-def: $vgpr10
	s_wait_kmcnt 0x0
	s_delay_alu instid0(VALU_DEP_3) | instskip(NEXT) | instid1(VALU_DEP_3)
	v_lshl_add_u64 v[6:7], v[6:7], 3, s[2:3]
	v_pk_fma_f32 v[0:1], v[2:3], v[0:1], v[12:13] op_sel_hi:[1,0,1]
	s_delay_alu instid0(VALU_DEP_3)
	v_pk_fma_f32 v[2:3], v[2:3], v[8:9], v[4:5] op_sel_hi:[1,0,1]
                                        ; implicit-def: $vgpr4_vgpr5
                                        ; implicit-def: $vgpr12
                                        ; implicit-def: $vgpr8
	global_store_b128 v[6:7], v[0:3], off
                                        ; implicit-def: $vgpr6
                                        ; implicit-def: $vgpr2_vgpr3
                                        ; implicit-def: $vgpr0
.LBB221_17:
	s_wait_xcnt 0x0
	s_and_not1_saveexec_b32 s0, s0
	s_cbranch_execz .LBB221_19
; %bb.18:
	v_dual_mov_b32 v19, v2 :: v_dual_lshlrev_b32 v6, 1, v6
	v_xor_b32_e32 v18, 0x80000000, v3
	s_delay_alu instid0(VALU_DEP_2) | instskip(NEXT) | instid1(VALU_DEP_2)
	v_ashrrev_i32_e32 v7, 31, v6
	v_pk_mul_f32 v[12:13], v[12:13], v[18:19] op_sel_hi:[0,1]
	v_pk_mul_f32 v[10:11], v[10:11], v[18:19] op_sel_hi:[0,1]
	s_delay_alu instid0(VALU_DEP_2) | instskip(NEXT) | instid1(VALU_DEP_2)
	v_pk_fma_f32 v[0:1], v[2:3], v[0:1], v[12:13] op_sel_hi:[1,0,1]
	v_pk_fma_f32 v[2:3], v[2:3], v[8:9], v[10:11] op_sel_hi:[1,0,1]
	v_mov_b32_e32 v9, v4
	s_wait_kmcnt 0x0
	v_lshl_add_u64 v[6:7], v[6:7], 3, s[2:3]
	v_xor_b32_e32 v8, 0x80000000, v5
	global_load_b128 v[14:17], v[6:7], off
	s_wait_loadcnt 0x0
	v_pk_fma_f32 v[0:1], v[4:5], v[14:15], v[0:1] op_sel_hi:[1,0,1]
	v_pk_fma_f32 v[2:3], v[4:5], v[16:17], v[2:3] op_sel_hi:[1,0,1]
	v_mov_b32_e32 v4, v17
	s_delay_alu instid0(VALU_DEP_3) | instskip(NEXT) | instid1(VALU_DEP_2)
	v_pk_fma_f32 v[0:1], v[8:9], v[14:15], v[0:1] op_sel:[0,1,0]
	v_pk_fma_f32 v[2:3], v[8:9], v[4:5], v[2:3] op_sel_hi:[1,0,1]
	global_store_b128 v[6:7], v[0:3], off
.LBB221_19:
	s_sendmsg sendmsg(MSG_DEALLOC_VGPRS)
	s_endpgm
	.section	.rodata,"a",@progbits
	.p2align	6, 0x0
	.amdhsa_kernel _ZN9rocsparseL19gebsrmvn_2xn_kernelILj128ELj15ELj64E21rocsparse_complex_numIfEEEvi20rocsparse_direction_NS_24const_host_device_scalarIT2_EEPKiS8_PKS5_SA_S6_PS5_21rocsparse_index_base_b
		.amdhsa_group_segment_fixed_size 0
		.amdhsa_private_segment_fixed_size 0
		.amdhsa_kernarg_size 72
		.amdhsa_user_sgpr_count 2
		.amdhsa_user_sgpr_dispatch_ptr 0
		.amdhsa_user_sgpr_queue_ptr 0
		.amdhsa_user_sgpr_kernarg_segment_ptr 1
		.amdhsa_user_sgpr_dispatch_id 0
		.amdhsa_user_sgpr_kernarg_preload_length 0
		.amdhsa_user_sgpr_kernarg_preload_offset 0
		.amdhsa_user_sgpr_private_segment_size 0
		.amdhsa_wavefront_size32 1
		.amdhsa_uses_dynamic_stack 0
		.amdhsa_enable_private_segment 0
		.amdhsa_system_sgpr_workgroup_id_x 1
		.amdhsa_system_sgpr_workgroup_id_y 0
		.amdhsa_system_sgpr_workgroup_id_z 0
		.amdhsa_system_sgpr_workgroup_info 0
		.amdhsa_system_vgpr_workitem_id 0
		.amdhsa_next_free_vgpr 100
		.amdhsa_next_free_sgpr 14
		.amdhsa_named_barrier_count 0
		.amdhsa_reserve_vcc 1
		.amdhsa_float_round_mode_32 0
		.amdhsa_float_round_mode_16_64 0
		.amdhsa_float_denorm_mode_32 3
		.amdhsa_float_denorm_mode_16_64 3
		.amdhsa_fp16_overflow 0
		.amdhsa_memory_ordered 1
		.amdhsa_forward_progress 1
		.amdhsa_inst_pref_size 36
		.amdhsa_round_robin_scheduling 0
		.amdhsa_exception_fp_ieee_invalid_op 0
		.amdhsa_exception_fp_denorm_src 0
		.amdhsa_exception_fp_ieee_div_zero 0
		.amdhsa_exception_fp_ieee_overflow 0
		.amdhsa_exception_fp_ieee_underflow 0
		.amdhsa_exception_fp_ieee_inexact 0
		.amdhsa_exception_int_div_zero 0
	.end_amdhsa_kernel
	.section	.text._ZN9rocsparseL19gebsrmvn_2xn_kernelILj128ELj15ELj64E21rocsparse_complex_numIfEEEvi20rocsparse_direction_NS_24const_host_device_scalarIT2_EEPKiS8_PKS5_SA_S6_PS5_21rocsparse_index_base_b,"axG",@progbits,_ZN9rocsparseL19gebsrmvn_2xn_kernelILj128ELj15ELj64E21rocsparse_complex_numIfEEEvi20rocsparse_direction_NS_24const_host_device_scalarIT2_EEPKiS8_PKS5_SA_S6_PS5_21rocsparse_index_base_b,comdat
.Lfunc_end221:
	.size	_ZN9rocsparseL19gebsrmvn_2xn_kernelILj128ELj15ELj64E21rocsparse_complex_numIfEEEvi20rocsparse_direction_NS_24const_host_device_scalarIT2_EEPKiS8_PKS5_SA_S6_PS5_21rocsparse_index_base_b, .Lfunc_end221-_ZN9rocsparseL19gebsrmvn_2xn_kernelILj128ELj15ELj64E21rocsparse_complex_numIfEEEvi20rocsparse_direction_NS_24const_host_device_scalarIT2_EEPKiS8_PKS5_SA_S6_PS5_21rocsparse_index_base_b
                                        ; -- End function
	.set _ZN9rocsparseL19gebsrmvn_2xn_kernelILj128ELj15ELj64E21rocsparse_complex_numIfEEEvi20rocsparse_direction_NS_24const_host_device_scalarIT2_EEPKiS8_PKS5_SA_S6_PS5_21rocsparse_index_base_b.num_vgpr, 100
	.set _ZN9rocsparseL19gebsrmvn_2xn_kernelILj128ELj15ELj64E21rocsparse_complex_numIfEEEvi20rocsparse_direction_NS_24const_host_device_scalarIT2_EEPKiS8_PKS5_SA_S6_PS5_21rocsparse_index_base_b.num_agpr, 0
	.set _ZN9rocsparseL19gebsrmvn_2xn_kernelILj128ELj15ELj64E21rocsparse_complex_numIfEEEvi20rocsparse_direction_NS_24const_host_device_scalarIT2_EEPKiS8_PKS5_SA_S6_PS5_21rocsparse_index_base_b.numbered_sgpr, 14
	.set _ZN9rocsparseL19gebsrmvn_2xn_kernelILj128ELj15ELj64E21rocsparse_complex_numIfEEEvi20rocsparse_direction_NS_24const_host_device_scalarIT2_EEPKiS8_PKS5_SA_S6_PS5_21rocsparse_index_base_b.num_named_barrier, 0
	.set _ZN9rocsparseL19gebsrmvn_2xn_kernelILj128ELj15ELj64E21rocsparse_complex_numIfEEEvi20rocsparse_direction_NS_24const_host_device_scalarIT2_EEPKiS8_PKS5_SA_S6_PS5_21rocsparse_index_base_b.private_seg_size, 0
	.set _ZN9rocsparseL19gebsrmvn_2xn_kernelILj128ELj15ELj64E21rocsparse_complex_numIfEEEvi20rocsparse_direction_NS_24const_host_device_scalarIT2_EEPKiS8_PKS5_SA_S6_PS5_21rocsparse_index_base_b.uses_vcc, 1
	.set _ZN9rocsparseL19gebsrmvn_2xn_kernelILj128ELj15ELj64E21rocsparse_complex_numIfEEEvi20rocsparse_direction_NS_24const_host_device_scalarIT2_EEPKiS8_PKS5_SA_S6_PS5_21rocsparse_index_base_b.uses_flat_scratch, 1
	.set _ZN9rocsparseL19gebsrmvn_2xn_kernelILj128ELj15ELj64E21rocsparse_complex_numIfEEEvi20rocsparse_direction_NS_24const_host_device_scalarIT2_EEPKiS8_PKS5_SA_S6_PS5_21rocsparse_index_base_b.has_dyn_sized_stack, 0
	.set _ZN9rocsparseL19gebsrmvn_2xn_kernelILj128ELj15ELj64E21rocsparse_complex_numIfEEEvi20rocsparse_direction_NS_24const_host_device_scalarIT2_EEPKiS8_PKS5_SA_S6_PS5_21rocsparse_index_base_b.has_recursion, 0
	.set _ZN9rocsparseL19gebsrmvn_2xn_kernelILj128ELj15ELj64E21rocsparse_complex_numIfEEEvi20rocsparse_direction_NS_24const_host_device_scalarIT2_EEPKiS8_PKS5_SA_S6_PS5_21rocsparse_index_base_b.has_indirect_call, 0
	.section	.AMDGPU.csdata,"",@progbits
; Kernel info:
; codeLenInByte = 4492
; TotalNumSgprs: 16
; NumVgprs: 100
; ScratchSize: 0
; MemoryBound: 0
; FloatMode: 240
; IeeeMode: 1
; LDSByteSize: 0 bytes/workgroup (compile time only)
; SGPRBlocks: 0
; VGPRBlocks: 6
; NumSGPRsForWavesPerEU: 16
; NumVGPRsForWavesPerEU: 100
; NamedBarCnt: 0
; Occupancy: 9
; WaveLimiterHint : 1
; COMPUTE_PGM_RSRC2:SCRATCH_EN: 0
; COMPUTE_PGM_RSRC2:USER_SGPR: 2
; COMPUTE_PGM_RSRC2:TRAP_HANDLER: 0
; COMPUTE_PGM_RSRC2:TGID_X_EN: 1
; COMPUTE_PGM_RSRC2:TGID_Y_EN: 0
; COMPUTE_PGM_RSRC2:TGID_Z_EN: 0
; COMPUTE_PGM_RSRC2:TIDIG_COMP_CNT: 0
	.section	.text._ZN9rocsparseL19gebsrmvn_2xn_kernelILj128ELj16ELj4E21rocsparse_complex_numIfEEEvi20rocsparse_direction_NS_24const_host_device_scalarIT2_EEPKiS8_PKS5_SA_S6_PS5_21rocsparse_index_base_b,"axG",@progbits,_ZN9rocsparseL19gebsrmvn_2xn_kernelILj128ELj16ELj4E21rocsparse_complex_numIfEEEvi20rocsparse_direction_NS_24const_host_device_scalarIT2_EEPKiS8_PKS5_SA_S6_PS5_21rocsparse_index_base_b,comdat
	.globl	_ZN9rocsparseL19gebsrmvn_2xn_kernelILj128ELj16ELj4E21rocsparse_complex_numIfEEEvi20rocsparse_direction_NS_24const_host_device_scalarIT2_EEPKiS8_PKS5_SA_S6_PS5_21rocsparse_index_base_b ; -- Begin function _ZN9rocsparseL19gebsrmvn_2xn_kernelILj128ELj16ELj4E21rocsparse_complex_numIfEEEvi20rocsparse_direction_NS_24const_host_device_scalarIT2_EEPKiS8_PKS5_SA_S6_PS5_21rocsparse_index_base_b
	.p2align	8
	.type	_ZN9rocsparseL19gebsrmvn_2xn_kernelILj128ELj16ELj4E21rocsparse_complex_numIfEEEvi20rocsparse_direction_NS_24const_host_device_scalarIT2_EEPKiS8_PKS5_SA_S6_PS5_21rocsparse_index_base_b,@function
_ZN9rocsparseL19gebsrmvn_2xn_kernelILj128ELj16ELj4E21rocsparse_complex_numIfEEEvi20rocsparse_direction_NS_24const_host_device_scalarIT2_EEPKiS8_PKS5_SA_S6_PS5_21rocsparse_index_base_b: ; @_ZN9rocsparseL19gebsrmvn_2xn_kernelILj128ELj16ELj4E21rocsparse_complex_numIfEEEvi20rocsparse_direction_NS_24const_host_device_scalarIT2_EEPKiS8_PKS5_SA_S6_PS5_21rocsparse_index_base_b
; %bb.0:
	s_clause 0x2
	s_load_b64 s[12:13], s[0:1], 0x40
	s_load_b64 s[2:3], s[0:1], 0x8
	;; [unrolled: 1-line block ×3, first 2 shown]
	v_mov_b32_e32 v1, 0
	s_add_nc_u64 s[6:7], s[0:1], 8
	s_add_nc_u64 s[8:9], s[0:1], 48
	s_wait_kmcnt 0x0
	s_bitcmp1_b32 s13, 0
	s_cselect_b32 s3, s7, s3
	s_cselect_b32 s2, s6, s2
	;; [unrolled: 1-line block ×4, first 2 shown]
	s_clause 0x1
	flat_load_b64 v[2:3], v1, s[2:3]
	flat_load_b64 v[4:5], v1, s[4:5]
	s_wait_loadcnt_dscnt 0x101
	v_cmp_eq_f32_e32 vcc_lo, 0, v2
	v_cmp_eq_f32_e64 s2, 0, v3
	s_wait_loadcnt_dscnt 0x0
	v_cmp_eq_f32_e64 s3, 1.0, v4
	v_cmp_eq_f32_e64 s4, 0, v5
	s_and_b32 s2, vcc_lo, s2
	s_and_b32 s3, s3, s4
	s_delay_alu instid0(SALU_CYCLE_1) | instskip(NEXT) | instid1(SALU_CYCLE_1)
	s_and_b32 s2, s2, s3
	s_xor_b32 s2, s2, -1
	s_delay_alu instid0(SALU_CYCLE_1)
	s_and_saveexec_b32 s3, s2
	s_cbranch_execz .LBB222_19
; %bb.1:
	s_load_b64 s[2:3], s[0:1], 0x0
	s_bfe_u32 s4, ttmp6, 0x4000c
	s_and_b32 s5, ttmp6, 15
	s_add_co_i32 s4, s4, 1
	s_getreg_b32 s6, hwreg(HW_REG_IB_STS2, 6, 4)
	s_mul_i32 s4, ttmp9, s4
	v_lshrrev_b32_e32 v1, 2, v0
	s_add_co_i32 s5, s5, s4
	s_cmp_eq_u32 s6, 0
	s_cselect_b32 s4, ttmp9, s5
	s_delay_alu instid0(VALU_DEP_1) | instid1(SALU_CYCLE_1)
	v_lshl_or_b32 v6, s4, 5, v1
	s_wait_kmcnt 0x0
	s_delay_alu instid0(VALU_DEP_1)
	v_cmp_gt_i32_e32 vcc_lo, s2, v6
	s_and_b32 exec_lo, exec_lo, vcc_lo
	s_cbranch_execz .LBB222_19
; %bb.2:
	s_load_b256 s[4:11], s[0:1], 0x10
	v_ashrrev_i32_e32 v7, 31, v6
	s_cmp_lg_u32 s3, 0
	s_wait_kmcnt 0x0
	s_delay_alu instid0(VALU_DEP_1)
	v_lshl_add_u64 v[8:9], v[6:7], 2, s[4:5]
	v_and_b32_e32 v7, 3, v0
	global_load_b64 v[8:9], v[8:9], off
	s_wait_loadcnt 0x0
	v_subrev_nc_u32_e32 v0, s12, v8
	v_subrev_nc_u32_e32 v12, s12, v9
	s_delay_alu instid0(VALU_DEP_2) | instskip(NEXT) | instid1(VALU_DEP_1)
	v_add_nc_u32_e32 v13, v0, v7
	v_cmp_lt_i32_e64 s2, v13, v12
	s_cbranch_scc0 .LBB222_8
; %bb.3:
	v_mov_b32_e32 v9, 0
	s_delay_alu instid0(VALU_DEP_1)
	v_dual_mov_b32 v8, v9 :: v_dual_mov_b32 v1, v9
	v_mov_b32_e32 v0, v9
	s_and_saveexec_b32 s3, s2
	s_cbranch_execz .LBB222_7
; %bb.4:
	v_dual_mov_b32 v11, 0 :: v_dual_lshlrev_b32 v10, 5, v13
	v_mov_b32_e32 v14, v13
	s_mov_b32 s4, 0
	s_delay_alu instid0(VALU_DEP_2)
	v_dual_mov_b32 v0, v11 :: v_dual_mov_b32 v1, v11
	v_dual_mov_b32 v8, v11 :: v_dual_mov_b32 v9, v11
.LBB222_5:                              ; =>This Inner Loop Header: Depth=1
	global_load_b32 v15, v14, s[6:7] scale_offset
	v_lshl_add_u64 v[96:97], v[10:11], 3, s[8:9]
	s_clause 0x3
	global_load_b128 v[16:19], v[96:97], off offset:48
	global_load_b128 v[20:23], v[96:97], off offset:32
	;; [unrolled: 1-line block ×3, first 2 shown]
	global_load_b128 v[28:31], v[96:97], off
	s_wait_xcnt 0x4
	v_add_nc_u32_e32 v14, 4, v14
	v_add_nc_u32_e32 v10, 0x80, v10
	s_delay_alu instid0(VALU_DEP_2)
	v_cmp_ge_i32_e32 vcc_lo, v14, v12
	s_or_b32 s4, vcc_lo, s4
	s_wait_loadcnt 0x4
	v_subrev_nc_u32_e32 v15, s12, v15
	s_wait_loadcnt 0x2
	v_dual_mov_b32 v33, v11 :: v_dual_mov_b32 v101, v22
	s_delay_alu instid0(VALU_DEP_2) | instskip(SKIP_3) | instid1(VALU_DEP_3)
	v_lshlrev_b32_e32 v32, 4, v15
	s_wait_loadcnt 0x0
	v_xor_b32_e32 v92, 0x80000000, v31
	v_xor_b32_e32 v100, 0x80000000, v23
	v_lshl_add_u64 v[98:99], v[32:33], 3, s[10:11]
	s_clause 0x1
	global_load_b128 v[32:35], v[98:99], off
	global_load_b128 v[36:39], v[98:99], off offset:16
	s_clause 0x1
	global_load_b128 v[40:43], v[96:97], off offset:64
	global_load_b128 v[44:47], v[96:97], off offset:80
	;; [unrolled: 1-line block ×5, first 2 shown]
	s_clause 0x2
	global_load_b128 v[60:63], v[96:97], off offset:112
	global_load_b128 v[64:67], v[96:97], off offset:128
	;; [unrolled: 1-line block ×4, first 2 shown]
	s_clause 0x1
	global_load_b128 v[76:79], v[96:97], off offset:160
	global_load_b128 v[80:83], v[96:97], off offset:176
	;; [unrolled: 1-line block ×4, first 2 shown]
	v_mov_b32_e32 v93, v30
	s_wait_loadcnt 0xe
	v_pk_fma_f32 v[8:9], v[28:29], v[32:33], v[8:9] op_sel_hi:[1,0,1]
	v_pk_fma_f32 v[0:1], v[30:31], v[32:33], v[0:1] op_sel_hi:[1,0,1]
	s_delay_alu instid0(VALU_DEP_2)
	v_pk_fma_f32 v[8:9], v[28:29], v[32:33], v[8:9] op_sel:[1,1,0] op_sel_hi:[0,1,1] neg_lo:[1,0,0]
	global_load_b128 v[28:31], v[98:99], off offset:96
	v_pk_fma_f32 v[0:1], v[92:93], v[32:33], v[0:1] op_sel:[0,1,0]
	global_load_b128 v[92:95], v[96:97], off offset:208
	v_mov_b32_e32 v32, v35
	v_pk_fma_f32 v[8:9], v[24:25], v[34:35], v[8:9] op_sel_hi:[1,0,1]
	v_pk_fma_f32 v[0:1], v[26:27], v[34:35], v[0:1] op_sel_hi:[1,0,1]
	v_xor_b32_e32 v34, 0x80000000, v27
	v_mov_b32_e32 v35, v26
	s_delay_alu instid0(VALU_DEP_4)
	v_pk_fma_f32 v[8:9], v[24:25], v[32:33], v[8:9] op_sel:[1,0,0] op_sel_hi:[0,0,1] neg_lo:[1,0,0]
	global_load_b128 v[24:27], v[96:97], off offset:224
	v_pk_fma_f32 v[0:1], v[34:35], v[32:33], v[0:1] op_sel_hi:[1,0,1]
	global_load_b128 v[32:35], v[98:99], off offset:112
	s_wait_loadcnt 0x11
	v_pk_fma_f32 v[8:9], v[20:21], v[36:37], v[8:9] op_sel_hi:[1,0,1]
	v_pk_fma_f32 v[0:1], v[22:23], v[36:37], v[0:1] op_sel_hi:[1,0,1]
	s_delay_alu instid0(VALU_DEP_2)
	v_pk_fma_f32 v[8:9], v[20:21], v[36:37], v[8:9] op_sel:[1,1,0] op_sel_hi:[0,1,1] neg_lo:[1,0,0]
	global_load_b128 v[20:23], v[96:97], off offset:240
	s_wait_xcnt 0x0
	v_mov_b32_e32 v96, v39
	v_pk_fma_f32 v[0:1], v[100:101], v[36:37], v[0:1] op_sel:[0,1,0]
	v_xor_b32_e32 v36, 0x80000000, v19
	v_mov_b32_e32 v37, v18
	v_pk_fma_f32 v[8:9], v[16:17], v[38:39], v[8:9] op_sel_hi:[1,0,1]
	s_delay_alu instid0(VALU_DEP_4) | instskip(SKIP_2) | instid1(VALU_DEP_3)
	v_pk_fma_f32 v[0:1], v[18:19], v[38:39], v[0:1] op_sel_hi:[1,0,1]
	s_wait_loadcnt 0xf
	v_mov_b32_e32 v18, v51
	v_pk_fma_f32 v[8:9], v[16:17], v[96:97], v[8:9] op_sel:[1,0,0] op_sel_hi:[0,0,1] neg_lo:[1,0,0]
	v_xor_b32_e32 v16, 0x80000000, v43
	v_pk_fma_f32 v[0:1], v[36:37], v[96:97], v[0:1] op_sel_hi:[1,0,1]
	v_mov_b32_e32 v17, v42
	s_delay_alu instid0(VALU_DEP_4) | instskip(NEXT) | instid1(VALU_DEP_3)
	v_pk_fma_f32 v[8:9], v[40:41], v[48:49], v[8:9] op_sel_hi:[1,0,1]
	v_pk_fma_f32 v[0:1], v[42:43], v[48:49], v[0:1] op_sel_hi:[1,0,1]
	s_delay_alu instid0(VALU_DEP_2) | instskip(NEXT) | instid1(VALU_DEP_2)
	v_pk_fma_f32 v[8:9], v[40:41], v[48:49], v[8:9] op_sel:[1,1,0] op_sel_hi:[0,1,1] neg_lo:[1,0,0]
	v_pk_fma_f32 v[0:1], v[16:17], v[48:49], v[0:1] op_sel:[0,1,0]
	v_xor_b32_e32 v16, 0x80000000, v47
	v_mov_b32_e32 v17, v46
	s_delay_alu instid0(VALU_DEP_4) | instskip(NEXT) | instid1(VALU_DEP_4)
	v_pk_fma_f32 v[8:9], v[44:45], v[50:51], v[8:9] op_sel_hi:[1,0,1]
	v_pk_fma_f32 v[0:1], v[46:47], v[50:51], v[0:1] op_sel_hi:[1,0,1]
	s_delay_alu instid0(VALU_DEP_2) | instskip(NEXT) | instid1(VALU_DEP_2)
	v_pk_fma_f32 v[8:9], v[44:45], v[18:19], v[8:9] op_sel:[1,0,0] op_sel_hi:[0,0,1] neg_lo:[1,0,0]
	v_pk_fma_f32 v[0:1], v[16:17], v[18:19], v[0:1] op_sel_hi:[1,0,1]
	s_wait_loadcnt 0xe
	v_xor_b32_e32 v16, 0x80000000, v55
	v_mov_b32_e32 v17, v54
	s_wait_loadcnt 0xd
	v_pk_fma_f32 v[8:9], v[52:53], v[56:57], v[8:9] op_sel_hi:[1,0,1]
	v_mov_b32_e32 v18, v59
	v_pk_fma_f32 v[0:1], v[54:55], v[56:57], v[0:1] op_sel_hi:[1,0,1]
	s_delay_alu instid0(VALU_DEP_3) | instskip(NEXT) | instid1(VALU_DEP_2)
	v_pk_fma_f32 v[8:9], v[52:53], v[56:57], v[8:9] op_sel:[1,1,0] op_sel_hi:[0,1,1] neg_lo:[1,0,0]
	v_pk_fma_f32 v[0:1], v[16:17], v[56:57], v[0:1] op_sel:[0,1,0]
	s_wait_loadcnt 0xc
	v_xor_b32_e32 v16, 0x80000000, v63
	v_mov_b32_e32 v17, v62
	v_pk_fma_f32 v[8:9], v[60:61], v[58:59], v[8:9] op_sel_hi:[1,0,1]
	v_pk_fma_f32 v[0:1], v[62:63], v[58:59], v[0:1] op_sel_hi:[1,0,1]
	s_delay_alu instid0(VALU_DEP_2) | instskip(NEXT) | instid1(VALU_DEP_2)
	v_pk_fma_f32 v[8:9], v[60:61], v[18:19], v[8:9] op_sel:[1,0,0] op_sel_hi:[0,0,1] neg_lo:[1,0,0]
	v_pk_fma_f32 v[0:1], v[16:17], v[18:19], v[0:1] op_sel_hi:[1,0,1]
	s_wait_loadcnt 0xb
	v_xor_b32_e32 v16, 0x80000000, v67
	v_mov_b32_e32 v17, v66
	s_wait_loadcnt 0x9
	v_pk_fma_f32 v[8:9], v[64:65], v[72:73], v[8:9] op_sel_hi:[1,0,1]
	v_mov_b32_e32 v18, v75
	v_pk_fma_f32 v[0:1], v[66:67], v[72:73], v[0:1] op_sel_hi:[1,0,1]
	s_delay_alu instid0(VALU_DEP_3) | instskip(NEXT) | instid1(VALU_DEP_2)
	v_pk_fma_f32 v[8:9], v[64:65], v[72:73], v[8:9] op_sel:[1,1,0] op_sel_hi:[0,1,1] neg_lo:[1,0,0]
	v_pk_fma_f32 v[0:1], v[16:17], v[72:73], v[0:1] op_sel:[0,1,0]
	v_xor_b32_e32 v16, 0x80000000, v71
	v_mov_b32_e32 v17, v70
	s_delay_alu instid0(VALU_DEP_4) | instskip(NEXT) | instid1(VALU_DEP_4)
	v_pk_fma_f32 v[8:9], v[68:69], v[74:75], v[8:9] op_sel_hi:[1,0,1]
	v_pk_fma_f32 v[0:1], v[70:71], v[74:75], v[0:1] op_sel_hi:[1,0,1]
	s_delay_alu instid0(VALU_DEP_2) | instskip(NEXT) | instid1(VALU_DEP_2)
	v_pk_fma_f32 v[8:9], v[68:69], v[18:19], v[8:9] op_sel:[1,0,0] op_sel_hi:[0,0,1] neg_lo:[1,0,0]
	v_pk_fma_f32 v[0:1], v[16:17], v[18:19], v[0:1] op_sel_hi:[1,0,1]
	s_wait_loadcnt 0x8
	v_xor_b32_e32 v16, 0x80000000, v79
	v_mov_b32_e32 v17, v78
	s_wait_loadcnt 0x6
	v_pk_fma_f32 v[8:9], v[76:77], v[84:85], v[8:9] op_sel_hi:[1,0,1]
	v_mov_b32_e32 v18, v87
	v_pk_fma_f32 v[0:1], v[78:79], v[84:85], v[0:1] op_sel_hi:[1,0,1]
	s_delay_alu instid0(VALU_DEP_3) | instskip(NEXT) | instid1(VALU_DEP_2)
	v_pk_fma_f32 v[8:9], v[76:77], v[84:85], v[8:9] op_sel:[1,1,0] op_sel_hi:[0,1,1] neg_lo:[1,0,0]
	v_pk_fma_f32 v[0:1], v[16:17], v[84:85], v[0:1] op_sel:[0,1,0]
	v_xor_b32_e32 v16, 0x80000000, v83
	v_mov_b32_e32 v17, v82
	s_delay_alu instid0(VALU_DEP_4) | instskip(NEXT) | instid1(VALU_DEP_4)
	v_pk_fma_f32 v[8:9], v[80:81], v[86:87], v[8:9] op_sel_hi:[1,0,1]
	v_pk_fma_f32 v[0:1], v[82:83], v[86:87], v[0:1] op_sel_hi:[1,0,1]
	s_delay_alu instid0(VALU_DEP_2) | instskip(NEXT) | instid1(VALU_DEP_2)
	v_pk_fma_f32 v[8:9], v[80:81], v[18:19], v[8:9] op_sel:[1,0,0] op_sel_hi:[0,0,1] neg_lo:[1,0,0]
	v_pk_fma_f32 v[0:1], v[16:17], v[18:19], v[0:1] op_sel_hi:[1,0,1]
	s_wait_loadcnt 0x5
	v_xor_b32_e32 v16, 0x80000000, v91
	v_mov_b32_e32 v17, v90
	s_wait_loadcnt 0x4
	v_pk_fma_f32 v[8:9], v[88:89], v[28:29], v[8:9] op_sel_hi:[1,0,1]
	v_pk_fma_f32 v[0:1], v[90:91], v[28:29], v[0:1] op_sel_hi:[1,0,1]
	v_mov_b32_e32 v18, v31
	s_delay_alu instid0(VALU_DEP_3) | instskip(NEXT) | instid1(VALU_DEP_3)
	v_pk_fma_f32 v[8:9], v[88:89], v[28:29], v[8:9] op_sel:[1,1,0] op_sel_hi:[0,1,1] neg_lo:[1,0,0]
	v_pk_fma_f32 v[0:1], v[16:17], v[28:29], v[0:1] op_sel:[0,1,0]
	s_wait_loadcnt 0x3
	v_xor_b32_e32 v16, 0x80000000, v95
	v_mov_b32_e32 v17, v94
	v_pk_fma_f32 v[8:9], v[92:93], v[30:31], v[8:9] op_sel_hi:[1,0,1]
	v_pk_fma_f32 v[0:1], v[94:95], v[30:31], v[0:1] op_sel_hi:[1,0,1]
	s_delay_alu instid0(VALU_DEP_2) | instskip(NEXT) | instid1(VALU_DEP_2)
	v_pk_fma_f32 v[8:9], v[92:93], v[18:19], v[8:9] op_sel:[1,0,0] op_sel_hi:[0,0,1] neg_lo:[1,0,0]
	v_pk_fma_f32 v[0:1], v[16:17], v[18:19], v[0:1] op_sel_hi:[1,0,1]
	s_wait_loadcnt 0x2
	v_xor_b32_e32 v16, 0x80000000, v27
	s_wait_loadcnt 0x1
	v_dual_mov_b32 v17, v26 :: v_dual_mov_b32 v18, v35
	v_pk_fma_f32 v[8:9], v[24:25], v[32:33], v[8:9] op_sel_hi:[1,0,1]
	v_pk_fma_f32 v[0:1], v[26:27], v[32:33], v[0:1] op_sel_hi:[1,0,1]
	s_delay_alu instid0(VALU_DEP_2) | instskip(NEXT) | instid1(VALU_DEP_2)
	v_pk_fma_f32 v[8:9], v[24:25], v[32:33], v[8:9] op_sel:[1,1,0] op_sel_hi:[0,1,1] neg_lo:[1,0,0]
	v_pk_fma_f32 v[0:1], v[16:17], v[32:33], v[0:1] op_sel:[0,1,0]
	s_wait_loadcnt 0x0
	v_xor_b32_e32 v16, 0x80000000, v23
	v_mov_b32_e32 v17, v22
	v_pk_fma_f32 v[8:9], v[20:21], v[34:35], v[8:9] op_sel_hi:[1,0,1]
	v_pk_fma_f32 v[0:1], v[22:23], v[34:35], v[0:1] op_sel_hi:[1,0,1]
	s_delay_alu instid0(VALU_DEP_2) | instskip(NEXT) | instid1(VALU_DEP_2)
	v_pk_fma_f32 v[8:9], v[20:21], v[18:19], v[8:9] op_sel:[1,0,0] op_sel_hi:[0,0,1] neg_lo:[1,0,0]
	v_pk_fma_f32 v[0:1], v[16:17], v[18:19], v[0:1] op_sel_hi:[1,0,1]
	s_and_not1_b32 exec_lo, exec_lo, s4
	s_cbranch_execnz .LBB222_5
; %bb.6:
	s_or_b32 exec_lo, exec_lo, s4
.LBB222_7:
	s_delay_alu instid0(SALU_CYCLE_1)
	s_or_b32 exec_lo, exec_lo, s3
	s_cbranch_execz .LBB222_9
	s_branch .LBB222_14
.LBB222_8:
                                        ; implicit-def: $vgpr9
                                        ; implicit-def: $vgpr1
.LBB222_9:
	v_mov_b32_e32 v9, 0
	s_delay_alu instid0(VALU_DEP_1)
	v_dual_mov_b32 v8, v9 :: v_dual_mov_b32 v1, v9
	v_mov_b32_e32 v0, v9
	s_and_saveexec_b32 s3, s2
	s_cbranch_execz .LBB222_13
; %bb.10:
	v_dual_mov_b32 v11, 0 :: v_dual_lshlrev_b32 v10, 5, v13
	s_mov_b32 s2, 0
	s_delay_alu instid0(VALU_DEP_1)
	v_dual_mov_b32 v0, v11 :: v_dual_mov_b32 v1, v11
	v_dual_mov_b32 v8, v11 :: v_dual_mov_b32 v9, v11
.LBB222_11:                             ; =>This Inner Loop Header: Depth=1
	global_load_b32 v66, v13, s[6:7] scale_offset
	v_lshl_add_u64 v[74:75], v[10:11], 3, s[8:9]
	v_add_nc_u32_e32 v10, 0x80, v10
	s_clause 0xc
	global_load_b128 v[14:17], v[74:75], off
	global_load_b128 v[18:21], v[74:75], off offset:128
	global_load_b128 v[22:25], v[74:75], off offset:144
	global_load_b128 v[26:29], v[74:75], off offset:16
	global_load_b128 v[30:33], v[74:75], off offset:48
	global_load_b128 v[34:37], v[74:75], off offset:32
	global_load_b128 v[38:41], v[74:75], off offset:176
	global_load_b128 v[42:45], v[74:75], off offset:160
	global_load_b128 v[46:49], v[74:75], off offset:80
	global_load_b128 v[50:53], v[74:75], off offset:64
	global_load_b128 v[54:57], v[74:75], off offset:208
	global_load_b128 v[58:61], v[74:75], off offset:192
	global_load_b128 v[62:65], v[74:75], off offset:112
	s_wait_xcnt 0xd
	v_add_nc_u32_e32 v13, 4, v13
	s_delay_alu instid0(VALU_DEP_1)
	v_cmp_ge_i32_e32 vcc_lo, v13, v12
	s_or_b32 s2, vcc_lo, s2
	s_wait_loadcnt 0xc
	v_xor_b32_e32 v76, 0x80000000, v17
	s_wait_loadcnt 0xb
	v_dual_mov_b32 v77, v16 :: v_dual_mov_b32 v79, v20
	v_xor_b32_e32 v78, 0x80000000, v21
	s_wait_loadcnt 0x9
	v_xor_b32_e32 v82, 0x80000000, v29
	v_dual_mov_b32 v83, v28 :: v_dual_mov_b32 v85, v24
	v_subrev_nc_u32_e32 v66, s12, v66
	v_mov_b32_e32 v67, v11
	v_xor_b32_e32 v84, 0x80000000, v25
	s_delay_alu instid0(VALU_DEP_3) | instskip(NEXT) | instid1(VALU_DEP_1)
	v_lshlrev_b32_e32 v66, 4, v66
	v_lshl_add_u64 v[80:81], v[66:67], 3, s[10:11]
	s_clause 0x1
	global_load_b128 v[66:69], v[80:81], off
	global_load_b128 v[70:73], v[80:81], off offset:16
	s_wait_loadcnt 0x1
	v_pk_fma_f32 v[8:9], v[14:15], v[66:67], v[8:9] op_sel_hi:[1,0,1]
	v_pk_fma_f32 v[0:1], v[18:19], v[66:67], v[0:1] op_sel_hi:[1,0,1]
	s_delay_alu instid0(VALU_DEP_2) | instskip(NEXT) | instid1(VALU_DEP_2)
	v_pk_fma_f32 v[8:9], v[14:15], v[66:67], v[8:9] op_sel:[1,1,0] op_sel_hi:[0,1,1] neg_lo:[1,0,0]
	v_pk_fma_f32 v[0:1], v[18:19], v[66:67], v[0:1] op_sel:[1,1,0] op_sel_hi:[0,1,1] neg_lo:[1,0,0]
	v_mov_b32_e32 v66, v69
	s_delay_alu instid0(VALU_DEP_3)
	v_pk_fma_f32 v[8:9], v[16:17], v[68:69], v[8:9] op_sel_hi:[1,0,1]
	global_load_b128 v[14:17], v[80:81], off offset:32
	v_pk_fma_f32 v[0:1], v[20:21], v[68:69], v[0:1] op_sel_hi:[1,0,1]
	global_load_b128 v[18:21], v[80:81], off offset:48
	v_pk_fma_f32 v[8:9], v[76:77], v[66:67], v[8:9] op_sel_hi:[1,0,1]
	s_wait_loadcnt 0x2
	v_mov_b32_e32 v76, v73
	v_pk_fma_f32 v[0:1], v[78:79], v[66:67], v[0:1] op_sel_hi:[1,0,1]
	global_load_b128 v[66:69], v[80:81], off offset:80
	v_xor_b32_e32 v78, 0x80000000, v37
	v_pk_fma_f32 v[8:9], v[26:27], v[70:71], v[8:9] op_sel_hi:[1,0,1]
	v_mov_b32_e32 v79, v36
	v_pk_fma_f32 v[0:1], v[22:23], v[70:71], v[0:1] op_sel_hi:[1,0,1]
	s_delay_alu instid0(VALU_DEP_3) | instskip(NEXT) | instid1(VALU_DEP_2)
	v_pk_fma_f32 v[8:9], v[26:27], v[70:71], v[8:9] op_sel:[1,1,0] op_sel_hi:[0,1,1] neg_lo:[1,0,0]
	v_pk_fma_f32 v[0:1], v[22:23], v[70:71], v[0:1] op_sel:[1,1,0] op_sel_hi:[0,1,1] neg_lo:[1,0,0]
	s_delay_alu instid0(VALU_DEP_2)
	v_pk_fma_f32 v[8:9], v[28:29], v[72:73], v[8:9] op_sel_hi:[1,0,1]
	global_load_b128 v[26:29], v[80:81], off offset:64
	v_pk_fma_f32 v[0:1], v[24:25], v[72:73], v[0:1] op_sel_hi:[1,0,1]
	s_clause 0x1
	global_load_b128 v[22:25], v[74:75], off offset:96
	global_load_b128 v[70:73], v[74:75], off offset:240
	v_pk_fma_f32 v[8:9], v[82:83], v[76:77], v[8:9] op_sel_hi:[1,0,1]
	v_xor_b32_e32 v82, 0x80000000, v45
	v_pk_fma_f32 v[0:1], v[84:85], v[76:77], v[0:1] op_sel_hi:[1,0,1]
	global_load_b128 v[74:77], v[74:75], off offset:224
	v_mov_b32_e32 v83, v44
	s_wait_loadcnt 0x6
	v_pk_fma_f32 v[8:9], v[34:35], v[14:15], v[8:9] op_sel_hi:[1,0,1]
	v_pk_fma_f32 v[0:1], v[42:43], v[14:15], v[0:1] op_sel_hi:[1,0,1]
	s_delay_alu instid0(VALU_DEP_2) | instskip(NEXT) | instid1(VALU_DEP_2)
	v_pk_fma_f32 v[8:9], v[34:35], v[14:15], v[8:9] op_sel:[1,1,0] op_sel_hi:[0,1,1] neg_lo:[1,0,0]
	v_pk_fma_f32 v[0:1], v[42:43], v[14:15], v[0:1] op_sel:[1,1,0] op_sel_hi:[0,1,1] neg_lo:[1,0,0]
	v_mov_b32_e32 v14, v17
	s_delay_alu instid0(VALU_DEP_3) | instskip(NEXT) | instid1(VALU_DEP_3)
	v_pk_fma_f32 v[8:9], v[36:37], v[16:17], v[8:9] op_sel_hi:[1,0,1]
	v_pk_fma_f32 v[0:1], v[44:45], v[16:17], v[0:1] op_sel_hi:[1,0,1]
	s_clause 0x1
	global_load_b128 v[34:37], v[80:81], off offset:96
	global_load_b128 v[42:45], v[80:81], off offset:112
	v_xor_b32_e32 v16, 0x80000000, v41
	v_mov_b32_e32 v17, v40
	v_pk_fma_f32 v[8:9], v[78:79], v[14:15], v[8:9] op_sel_hi:[1,0,1]
	v_pk_fma_f32 v[0:1], v[82:83], v[14:15], v[0:1] op_sel_hi:[1,0,1]
	v_xor_b32_e32 v14, 0x80000000, v33
	v_mov_b32_e32 v15, v32
	s_wait_loadcnt 0x7
	v_pk_fma_f32 v[8:9], v[30:31], v[18:19], v[8:9] op_sel_hi:[1,0,1]
	v_pk_fma_f32 v[0:1], v[38:39], v[18:19], v[0:1] op_sel_hi:[1,0,1]
	s_delay_alu instid0(VALU_DEP_2) | instskip(NEXT) | instid1(VALU_DEP_2)
	v_pk_fma_f32 v[8:9], v[30:31], v[18:19], v[8:9] op_sel:[1,1,0] op_sel_hi:[0,1,1] neg_lo:[1,0,0]
	v_pk_fma_f32 v[0:1], v[38:39], v[18:19], v[0:1] op_sel:[1,1,0] op_sel_hi:[0,1,1] neg_lo:[1,0,0]
	v_mov_b32_e32 v18, v21
	s_delay_alu instid0(VALU_DEP_3) | instskip(NEXT) | instid1(VALU_DEP_3)
	v_pk_fma_f32 v[8:9], v[32:33], v[20:21], v[8:9] op_sel_hi:[1,0,1]
	v_pk_fma_f32 v[0:1], v[40:41], v[20:21], v[0:1] op_sel_hi:[1,0,1]
	s_delay_alu instid0(VALU_DEP_2) | instskip(NEXT) | instid1(VALU_DEP_2)
	v_pk_fma_f32 v[8:9], v[14:15], v[18:19], v[8:9] op_sel_hi:[1,0,1]
	v_pk_fma_f32 v[0:1], v[16:17], v[18:19], v[0:1] op_sel_hi:[1,0,1]
	v_xor_b32_e32 v14, 0x80000000, v53
	v_dual_mov_b32 v15, v52 :: v_dual_mov_b32 v17, v60
	s_wait_loadcnt 0x5
	v_pk_fma_f32 v[8:9], v[50:51], v[26:27], v[8:9] op_sel_hi:[1,0,1]
	v_pk_fma_f32 v[0:1], v[58:59], v[26:27], v[0:1] op_sel_hi:[1,0,1]
	v_xor_b32_e32 v16, 0x80000000, v61
	v_mov_b32_e32 v18, v29
	s_delay_alu instid0(VALU_DEP_4) | instskip(NEXT) | instid1(VALU_DEP_4)
	v_pk_fma_f32 v[8:9], v[50:51], v[26:27], v[8:9] op_sel:[1,1,0] op_sel_hi:[0,1,1] neg_lo:[1,0,0]
	v_pk_fma_f32 v[0:1], v[58:59], v[26:27], v[0:1] op_sel:[1,1,0] op_sel_hi:[0,1,1] neg_lo:[1,0,0]
	s_delay_alu instid0(VALU_DEP_2) | instskip(NEXT) | instid1(VALU_DEP_2)
	v_pk_fma_f32 v[8:9], v[52:53], v[28:29], v[8:9] op_sel_hi:[1,0,1]
	v_pk_fma_f32 v[0:1], v[60:61], v[28:29], v[0:1] op_sel_hi:[1,0,1]
	s_delay_alu instid0(VALU_DEP_2) | instskip(SKIP_1) | instid1(VALU_DEP_3)
	v_pk_fma_f32 v[8:9], v[14:15], v[18:19], v[8:9] op_sel_hi:[1,0,1]
	v_mov_b32_e32 v15, v48
	v_pk_fma_f32 v[0:1], v[16:17], v[18:19], v[0:1] op_sel_hi:[1,0,1]
	v_xor_b32_e32 v14, 0x80000000, v49
	v_xor_b32_e32 v16, 0x80000000, v57
	v_pk_fma_f32 v[8:9], v[46:47], v[66:67], v[8:9] op_sel_hi:[1,0,1]
	v_dual_mov_b32 v17, v56 :: v_dual_mov_b32 v18, v69
	v_pk_fma_f32 v[0:1], v[54:55], v[66:67], v[0:1] op_sel_hi:[1,0,1]
	s_delay_alu instid0(VALU_DEP_3) | instskip(NEXT) | instid1(VALU_DEP_2)
	v_pk_fma_f32 v[8:9], v[46:47], v[66:67], v[8:9] op_sel:[1,1,0] op_sel_hi:[0,1,1] neg_lo:[1,0,0]
	v_pk_fma_f32 v[0:1], v[54:55], v[66:67], v[0:1] op_sel:[1,1,0] op_sel_hi:[0,1,1] neg_lo:[1,0,0]
	s_delay_alu instid0(VALU_DEP_2) | instskip(NEXT) | instid1(VALU_DEP_2)
	v_pk_fma_f32 v[8:9], v[48:49], v[68:69], v[8:9] op_sel_hi:[1,0,1]
	v_pk_fma_f32 v[0:1], v[56:57], v[68:69], v[0:1] op_sel_hi:[1,0,1]
	s_delay_alu instid0(VALU_DEP_2)
	v_pk_fma_f32 v[8:9], v[14:15], v[18:19], v[8:9] op_sel_hi:[1,0,1]
	s_wait_loadcnt 0x4
	v_xor_b32_e32 v14, 0x80000000, v25
	v_mov_b32_e32 v15, v24
	v_pk_fma_f32 v[0:1], v[16:17], v[18:19], v[0:1] op_sel_hi:[1,0,1]
	s_wait_loadcnt 0x2
	v_xor_b32_e32 v16, 0x80000000, v77
	v_mov_b32_e32 v17, v76
	s_wait_loadcnt 0x1
	v_pk_fma_f32 v[8:9], v[22:23], v[34:35], v[8:9] op_sel_hi:[1,0,1]
	v_pk_fma_f32 v[0:1], v[74:75], v[34:35], v[0:1] op_sel_hi:[1,0,1]
	v_mov_b32_e32 v18, v37
	s_delay_alu instid0(VALU_DEP_3) | instskip(NEXT) | instid1(VALU_DEP_3)
	v_pk_fma_f32 v[8:9], v[22:23], v[34:35], v[8:9] op_sel:[1,1,0] op_sel_hi:[0,1,1] neg_lo:[1,0,0]
	v_pk_fma_f32 v[0:1], v[74:75], v[34:35], v[0:1] op_sel:[1,1,0] op_sel_hi:[0,1,1] neg_lo:[1,0,0]
	s_delay_alu instid0(VALU_DEP_2) | instskip(NEXT) | instid1(VALU_DEP_2)
	v_pk_fma_f32 v[8:9], v[24:25], v[36:37], v[8:9] op_sel_hi:[1,0,1]
	v_pk_fma_f32 v[0:1], v[76:77], v[36:37], v[0:1] op_sel_hi:[1,0,1]
	s_delay_alu instid0(VALU_DEP_2) | instskip(NEXT) | instid1(VALU_DEP_2)
	v_pk_fma_f32 v[8:9], v[14:15], v[18:19], v[8:9] op_sel_hi:[1,0,1]
	v_pk_fma_f32 v[0:1], v[16:17], v[18:19], v[0:1] op_sel_hi:[1,0,1]
	v_xor_b32_e32 v14, 0x80000000, v65
	v_dual_mov_b32 v15, v64 :: v_dual_mov_b32 v17, v72
	s_wait_loadcnt 0x0
	v_pk_fma_f32 v[8:9], v[62:63], v[42:43], v[8:9] op_sel_hi:[1,0,1]
	v_pk_fma_f32 v[0:1], v[70:71], v[42:43], v[0:1] op_sel_hi:[1,0,1]
	v_xor_b32_e32 v16, 0x80000000, v73
	v_mov_b32_e32 v18, v45
	s_delay_alu instid0(VALU_DEP_4) | instskip(NEXT) | instid1(VALU_DEP_4)
	v_pk_fma_f32 v[8:9], v[62:63], v[42:43], v[8:9] op_sel:[1,1,0] op_sel_hi:[0,1,1] neg_lo:[1,0,0]
	v_pk_fma_f32 v[0:1], v[70:71], v[42:43], v[0:1] op_sel:[1,1,0] op_sel_hi:[0,1,1] neg_lo:[1,0,0]
	s_delay_alu instid0(VALU_DEP_2) | instskip(NEXT) | instid1(VALU_DEP_2)
	v_pk_fma_f32 v[8:9], v[64:65], v[44:45], v[8:9] op_sel_hi:[1,0,1]
	v_pk_fma_f32 v[0:1], v[72:73], v[44:45], v[0:1] op_sel_hi:[1,0,1]
	s_delay_alu instid0(VALU_DEP_2) | instskip(NEXT) | instid1(VALU_DEP_2)
	v_pk_fma_f32 v[8:9], v[14:15], v[18:19], v[8:9] op_sel_hi:[1,0,1]
	v_pk_fma_f32 v[0:1], v[16:17], v[18:19], v[0:1] op_sel_hi:[1,0,1]
	s_and_not1_b32 exec_lo, exec_lo, s2
	s_cbranch_execnz .LBB222_11
; %bb.12:
	s_or_b32 exec_lo, exec_lo, s2
.LBB222_13:
	s_delay_alu instid0(SALU_CYCLE_1)
	s_or_b32 exec_lo, exec_lo, s3
.LBB222_14:
	v_mbcnt_lo_u32_b32 v10, -1, 0
	s_delay_alu instid0(VALU_DEP_1) | instskip(SKIP_1) | instid1(VALU_DEP_1)
	v_xor_b32_e32 v15, 1, v10
	v_xor_b32_e32 v11, 2, v10
	v_cmp_gt_i32_e32 vcc_lo, 32, v11
	v_cndmask_b32_e32 v11, v10, v11, vcc_lo
	s_delay_alu instid0(VALU_DEP_4) | instskip(SKIP_2) | instid1(VALU_DEP_2)
	v_cmp_gt_i32_e32 vcc_lo, 32, v15
	v_cndmask_b32_e32 v10, v10, v15, vcc_lo
	v_cmp_eq_u32_e32 vcc_lo, 3, v7
	v_dual_lshlrev_b32 v15, 2, v10 :: v_dual_lshlrev_b32 v11, 2, v11
	ds_bpermute_b32 v12, v11, v8
	s_wait_dscnt 0x0
	v_add_f32_e32 v10, v8, v12
	ds_bpermute_b32 v13, v11, v9
	ds_bpermute_b32 v14, v11, v0
	;; [unrolled: 1-line block ×3, first 2 shown]
	s_wait_dscnt 0x1
	v_dual_add_f32 v9, v9, v13 :: v_dual_add_f32 v8, v0, v14
	s_wait_dscnt 0x0
	v_add_f32_e32 v1, v1, v11
	ds_bpermute_b32 v0, v15, v10
	ds_bpermute_b32 v12, v15, v9
	;; [unrolled: 1-line block ×4, first 2 shown]
	s_and_b32 exec_lo, exec_lo, vcc_lo
	s_cbranch_execz .LBB222_19
; %bb.15:
	s_load_b64 s[2:3], s[0:1], 0x38
	v_cmp_eq_f32_e32 vcc_lo, 0, v4
	s_wait_xcnt 0x0
	v_cmp_eq_f32_e64 s0, 0, v5
	s_wait_dscnt 0x1
	v_dual_add_f32 v0, v10, v0 :: v_dual_add_f32 v8, v8, v11
	v_add_f32_e32 v12, v9, v12
	s_wait_dscnt 0x0
	v_add_f32_e32 v10, v1, v13
	s_and_b32 s0, vcc_lo, s0
	s_delay_alu instid0(SALU_CYCLE_1) | instskip(NEXT) | instid1(SALU_CYCLE_1)
	s_and_saveexec_b32 s1, s0
	s_xor_b32 s0, exec_lo, s1
	s_cbranch_execz .LBB222_17
; %bb.16:
	v_xor_b32_e32 v4, 0x80000000, v3
	v_dual_mov_b32 v5, v2 :: v_dual_lshlrev_b32 v6, 1, v6
	s_delay_alu instid0(VALU_DEP_1) | instskip(NEXT) | instid1(VALU_DEP_2)
	v_ashrrev_i32_e32 v7, 31, v6
	v_pk_mul_f32 v[12:13], v[12:13], v[4:5] op_sel_hi:[0,1]
	v_pk_mul_f32 v[4:5], v[10:11], v[4:5] op_sel_hi:[0,1]
                                        ; implicit-def: $vgpr10
	s_wait_kmcnt 0x0
	s_delay_alu instid0(VALU_DEP_3) | instskip(NEXT) | instid1(VALU_DEP_3)
	v_lshl_add_u64 v[6:7], v[6:7], 3, s[2:3]
	v_pk_fma_f32 v[0:1], v[2:3], v[0:1], v[12:13] op_sel_hi:[1,0,1]
	s_delay_alu instid0(VALU_DEP_3)
	v_pk_fma_f32 v[2:3], v[2:3], v[8:9], v[4:5] op_sel_hi:[1,0,1]
                                        ; implicit-def: $vgpr4_vgpr5
                                        ; implicit-def: $vgpr12
                                        ; implicit-def: $vgpr8
	global_store_b128 v[6:7], v[0:3], off
                                        ; implicit-def: $vgpr6
                                        ; implicit-def: $vgpr2_vgpr3
                                        ; implicit-def: $vgpr0
.LBB222_17:
	s_wait_xcnt 0x0
	s_and_not1_saveexec_b32 s0, s0
	s_cbranch_execz .LBB222_19
; %bb.18:
	v_dual_mov_b32 v19, v2 :: v_dual_lshlrev_b32 v6, 1, v6
	v_xor_b32_e32 v18, 0x80000000, v3
	s_delay_alu instid0(VALU_DEP_2) | instskip(NEXT) | instid1(VALU_DEP_2)
	v_ashrrev_i32_e32 v7, 31, v6
	v_pk_mul_f32 v[12:13], v[12:13], v[18:19] op_sel_hi:[0,1]
	v_pk_mul_f32 v[10:11], v[10:11], v[18:19] op_sel_hi:[0,1]
	s_delay_alu instid0(VALU_DEP_2) | instskip(NEXT) | instid1(VALU_DEP_2)
	v_pk_fma_f32 v[0:1], v[2:3], v[0:1], v[12:13] op_sel_hi:[1,0,1]
	v_pk_fma_f32 v[2:3], v[2:3], v[8:9], v[10:11] op_sel_hi:[1,0,1]
	v_mov_b32_e32 v9, v4
	s_wait_kmcnt 0x0
	v_lshl_add_u64 v[6:7], v[6:7], 3, s[2:3]
	v_xor_b32_e32 v8, 0x80000000, v5
	global_load_b128 v[14:17], v[6:7], off
	s_wait_loadcnt 0x0
	v_pk_fma_f32 v[0:1], v[4:5], v[14:15], v[0:1] op_sel_hi:[1,0,1]
	v_pk_fma_f32 v[2:3], v[4:5], v[16:17], v[2:3] op_sel_hi:[1,0,1]
	v_mov_b32_e32 v4, v17
	s_delay_alu instid0(VALU_DEP_3) | instskip(NEXT) | instid1(VALU_DEP_2)
	v_pk_fma_f32 v[0:1], v[8:9], v[14:15], v[0:1] op_sel:[0,1,0]
	v_pk_fma_f32 v[2:3], v[8:9], v[4:5], v[2:3] op_sel_hi:[1,0,1]
	global_store_b128 v[6:7], v[0:3], off
.LBB222_19:
	s_sendmsg sendmsg(MSG_DEALLOC_VGPRS)
	s_endpgm
	.section	.rodata,"a",@progbits
	.p2align	6, 0x0
	.amdhsa_kernel _ZN9rocsparseL19gebsrmvn_2xn_kernelILj128ELj16ELj4E21rocsparse_complex_numIfEEEvi20rocsparse_direction_NS_24const_host_device_scalarIT2_EEPKiS8_PKS5_SA_S6_PS5_21rocsparse_index_base_b
		.amdhsa_group_segment_fixed_size 0
		.amdhsa_private_segment_fixed_size 0
		.amdhsa_kernarg_size 72
		.amdhsa_user_sgpr_count 2
		.amdhsa_user_sgpr_dispatch_ptr 0
		.amdhsa_user_sgpr_queue_ptr 0
		.amdhsa_user_sgpr_kernarg_segment_ptr 1
		.amdhsa_user_sgpr_dispatch_id 0
		.amdhsa_user_sgpr_kernarg_preload_length 0
		.amdhsa_user_sgpr_kernarg_preload_offset 0
		.amdhsa_user_sgpr_private_segment_size 0
		.amdhsa_wavefront_size32 1
		.amdhsa_uses_dynamic_stack 0
		.amdhsa_enable_private_segment 0
		.amdhsa_system_sgpr_workgroup_id_x 1
		.amdhsa_system_sgpr_workgroup_id_y 0
		.amdhsa_system_sgpr_workgroup_id_z 0
		.amdhsa_system_sgpr_workgroup_info 0
		.amdhsa_system_vgpr_workitem_id 0
		.amdhsa_next_free_vgpr 102
		.amdhsa_next_free_sgpr 14
		.amdhsa_named_barrier_count 0
		.amdhsa_reserve_vcc 1
		.amdhsa_float_round_mode_32 0
		.amdhsa_float_round_mode_16_64 0
		.amdhsa_float_denorm_mode_32 3
		.amdhsa_float_denorm_mode_16_64 3
		.amdhsa_fp16_overflow 0
		.amdhsa_memory_ordered 1
		.amdhsa_forward_progress 1
		.amdhsa_inst_pref_size 28
		.amdhsa_round_robin_scheduling 0
		.amdhsa_exception_fp_ieee_invalid_op 0
		.amdhsa_exception_fp_denorm_src 0
		.amdhsa_exception_fp_ieee_div_zero 0
		.amdhsa_exception_fp_ieee_overflow 0
		.amdhsa_exception_fp_ieee_underflow 0
		.amdhsa_exception_fp_ieee_inexact 0
		.amdhsa_exception_int_div_zero 0
	.end_amdhsa_kernel
	.section	.text._ZN9rocsparseL19gebsrmvn_2xn_kernelILj128ELj16ELj4E21rocsparse_complex_numIfEEEvi20rocsparse_direction_NS_24const_host_device_scalarIT2_EEPKiS8_PKS5_SA_S6_PS5_21rocsparse_index_base_b,"axG",@progbits,_ZN9rocsparseL19gebsrmvn_2xn_kernelILj128ELj16ELj4E21rocsparse_complex_numIfEEEvi20rocsparse_direction_NS_24const_host_device_scalarIT2_EEPKiS8_PKS5_SA_S6_PS5_21rocsparse_index_base_b,comdat
.Lfunc_end222:
	.size	_ZN9rocsparseL19gebsrmvn_2xn_kernelILj128ELj16ELj4E21rocsparse_complex_numIfEEEvi20rocsparse_direction_NS_24const_host_device_scalarIT2_EEPKiS8_PKS5_SA_S6_PS5_21rocsparse_index_base_b, .Lfunc_end222-_ZN9rocsparseL19gebsrmvn_2xn_kernelILj128ELj16ELj4E21rocsparse_complex_numIfEEEvi20rocsparse_direction_NS_24const_host_device_scalarIT2_EEPKiS8_PKS5_SA_S6_PS5_21rocsparse_index_base_b
                                        ; -- End function
	.set _ZN9rocsparseL19gebsrmvn_2xn_kernelILj128ELj16ELj4E21rocsparse_complex_numIfEEEvi20rocsparse_direction_NS_24const_host_device_scalarIT2_EEPKiS8_PKS5_SA_S6_PS5_21rocsparse_index_base_b.num_vgpr, 102
	.set _ZN9rocsparseL19gebsrmvn_2xn_kernelILj128ELj16ELj4E21rocsparse_complex_numIfEEEvi20rocsparse_direction_NS_24const_host_device_scalarIT2_EEPKiS8_PKS5_SA_S6_PS5_21rocsparse_index_base_b.num_agpr, 0
	.set _ZN9rocsparseL19gebsrmvn_2xn_kernelILj128ELj16ELj4E21rocsparse_complex_numIfEEEvi20rocsparse_direction_NS_24const_host_device_scalarIT2_EEPKiS8_PKS5_SA_S6_PS5_21rocsparse_index_base_b.numbered_sgpr, 14
	.set _ZN9rocsparseL19gebsrmvn_2xn_kernelILj128ELj16ELj4E21rocsparse_complex_numIfEEEvi20rocsparse_direction_NS_24const_host_device_scalarIT2_EEPKiS8_PKS5_SA_S6_PS5_21rocsparse_index_base_b.num_named_barrier, 0
	.set _ZN9rocsparseL19gebsrmvn_2xn_kernelILj128ELj16ELj4E21rocsparse_complex_numIfEEEvi20rocsparse_direction_NS_24const_host_device_scalarIT2_EEPKiS8_PKS5_SA_S6_PS5_21rocsparse_index_base_b.private_seg_size, 0
	.set _ZN9rocsparseL19gebsrmvn_2xn_kernelILj128ELj16ELj4E21rocsparse_complex_numIfEEEvi20rocsparse_direction_NS_24const_host_device_scalarIT2_EEPKiS8_PKS5_SA_S6_PS5_21rocsparse_index_base_b.uses_vcc, 1
	.set _ZN9rocsparseL19gebsrmvn_2xn_kernelILj128ELj16ELj4E21rocsparse_complex_numIfEEEvi20rocsparse_direction_NS_24const_host_device_scalarIT2_EEPKiS8_PKS5_SA_S6_PS5_21rocsparse_index_base_b.uses_flat_scratch, 1
	.set _ZN9rocsparseL19gebsrmvn_2xn_kernelILj128ELj16ELj4E21rocsparse_complex_numIfEEEvi20rocsparse_direction_NS_24const_host_device_scalarIT2_EEPKiS8_PKS5_SA_S6_PS5_21rocsparse_index_base_b.has_dyn_sized_stack, 0
	.set _ZN9rocsparseL19gebsrmvn_2xn_kernelILj128ELj16ELj4E21rocsparse_complex_numIfEEEvi20rocsparse_direction_NS_24const_host_device_scalarIT2_EEPKiS8_PKS5_SA_S6_PS5_21rocsparse_index_base_b.has_recursion, 0
	.set _ZN9rocsparseL19gebsrmvn_2xn_kernelILj128ELj16ELj4E21rocsparse_complex_numIfEEEvi20rocsparse_direction_NS_24const_host_device_scalarIT2_EEPKiS8_PKS5_SA_S6_PS5_21rocsparse_index_base_b.has_indirect_call, 0
	.section	.AMDGPU.csdata,"",@progbits
; Kernel info:
; codeLenInByte = 3520
; TotalNumSgprs: 16
; NumVgprs: 102
; ScratchSize: 0
; MemoryBound: 0
; FloatMode: 240
; IeeeMode: 1
; LDSByteSize: 0 bytes/workgroup (compile time only)
; SGPRBlocks: 0
; VGPRBlocks: 6
; NumSGPRsForWavesPerEU: 16
; NumVGPRsForWavesPerEU: 102
; NamedBarCnt: 0
; Occupancy: 9
; WaveLimiterHint : 1
; COMPUTE_PGM_RSRC2:SCRATCH_EN: 0
; COMPUTE_PGM_RSRC2:USER_SGPR: 2
; COMPUTE_PGM_RSRC2:TRAP_HANDLER: 0
; COMPUTE_PGM_RSRC2:TGID_X_EN: 1
; COMPUTE_PGM_RSRC2:TGID_Y_EN: 0
; COMPUTE_PGM_RSRC2:TGID_Z_EN: 0
; COMPUTE_PGM_RSRC2:TIDIG_COMP_CNT: 0
	.section	.text._ZN9rocsparseL19gebsrmvn_2xn_kernelILj128ELj16ELj8E21rocsparse_complex_numIfEEEvi20rocsparse_direction_NS_24const_host_device_scalarIT2_EEPKiS8_PKS5_SA_S6_PS5_21rocsparse_index_base_b,"axG",@progbits,_ZN9rocsparseL19gebsrmvn_2xn_kernelILj128ELj16ELj8E21rocsparse_complex_numIfEEEvi20rocsparse_direction_NS_24const_host_device_scalarIT2_EEPKiS8_PKS5_SA_S6_PS5_21rocsparse_index_base_b,comdat
	.globl	_ZN9rocsparseL19gebsrmvn_2xn_kernelILj128ELj16ELj8E21rocsparse_complex_numIfEEEvi20rocsparse_direction_NS_24const_host_device_scalarIT2_EEPKiS8_PKS5_SA_S6_PS5_21rocsparse_index_base_b ; -- Begin function _ZN9rocsparseL19gebsrmvn_2xn_kernelILj128ELj16ELj8E21rocsparse_complex_numIfEEEvi20rocsparse_direction_NS_24const_host_device_scalarIT2_EEPKiS8_PKS5_SA_S6_PS5_21rocsparse_index_base_b
	.p2align	8
	.type	_ZN9rocsparseL19gebsrmvn_2xn_kernelILj128ELj16ELj8E21rocsparse_complex_numIfEEEvi20rocsparse_direction_NS_24const_host_device_scalarIT2_EEPKiS8_PKS5_SA_S6_PS5_21rocsparse_index_base_b,@function
_ZN9rocsparseL19gebsrmvn_2xn_kernelILj128ELj16ELj8E21rocsparse_complex_numIfEEEvi20rocsparse_direction_NS_24const_host_device_scalarIT2_EEPKiS8_PKS5_SA_S6_PS5_21rocsparse_index_base_b: ; @_ZN9rocsparseL19gebsrmvn_2xn_kernelILj128ELj16ELj8E21rocsparse_complex_numIfEEEvi20rocsparse_direction_NS_24const_host_device_scalarIT2_EEPKiS8_PKS5_SA_S6_PS5_21rocsparse_index_base_b
; %bb.0:
	s_clause 0x2
	s_load_b64 s[12:13], s[0:1], 0x40
	s_load_b64 s[2:3], s[0:1], 0x8
	;; [unrolled: 1-line block ×3, first 2 shown]
	v_mov_b32_e32 v1, 0
	s_add_nc_u64 s[6:7], s[0:1], 8
	s_add_nc_u64 s[8:9], s[0:1], 48
	s_wait_kmcnt 0x0
	s_bitcmp1_b32 s13, 0
	s_cselect_b32 s3, s7, s3
	s_cselect_b32 s2, s6, s2
	s_cselect_b32 s5, s9, s5
	s_cselect_b32 s4, s8, s4
	s_clause 0x1
	flat_load_b64 v[2:3], v1, s[2:3]
	flat_load_b64 v[4:5], v1, s[4:5]
	s_wait_loadcnt_dscnt 0x101
	v_cmp_eq_f32_e32 vcc_lo, 0, v2
	v_cmp_eq_f32_e64 s2, 0, v3
	s_wait_loadcnt_dscnt 0x0
	v_cmp_eq_f32_e64 s3, 1.0, v4
	v_cmp_eq_f32_e64 s4, 0, v5
	s_and_b32 s2, vcc_lo, s2
	s_and_b32 s3, s3, s4
	s_delay_alu instid0(SALU_CYCLE_1) | instskip(NEXT) | instid1(SALU_CYCLE_1)
	s_and_b32 s2, s2, s3
	s_xor_b32 s2, s2, -1
	s_delay_alu instid0(SALU_CYCLE_1)
	s_and_saveexec_b32 s3, s2
	s_cbranch_execz .LBB223_19
; %bb.1:
	s_load_b64 s[2:3], s[0:1], 0x0
	s_bfe_u32 s4, ttmp6, 0x4000c
	s_and_b32 s5, ttmp6, 15
	s_add_co_i32 s4, s4, 1
	s_getreg_b32 s6, hwreg(HW_REG_IB_STS2, 6, 4)
	s_mul_i32 s4, ttmp9, s4
	v_lshrrev_b32_e32 v1, 3, v0
	s_add_co_i32 s5, s5, s4
	s_cmp_eq_u32 s6, 0
	s_cselect_b32 s4, ttmp9, s5
	s_delay_alu instid0(VALU_DEP_1) | instid1(SALU_CYCLE_1)
	v_lshl_or_b32 v6, s4, 4, v1
	s_wait_kmcnt 0x0
	s_delay_alu instid0(VALU_DEP_1)
	v_cmp_gt_i32_e32 vcc_lo, s2, v6
	s_and_b32 exec_lo, exec_lo, vcc_lo
	s_cbranch_execz .LBB223_19
; %bb.2:
	s_load_b256 s[4:11], s[0:1], 0x10
	v_ashrrev_i32_e32 v7, 31, v6
	s_cmp_lg_u32 s3, 0
	s_wait_kmcnt 0x0
	s_delay_alu instid0(VALU_DEP_1)
	v_lshl_add_u64 v[8:9], v[6:7], 2, s[4:5]
	v_and_b32_e32 v7, 7, v0
	global_load_b64 v[8:9], v[8:9], off
	s_wait_loadcnt 0x0
	v_subrev_nc_u32_e32 v0, s12, v8
	v_subrev_nc_u32_e32 v12, s12, v9
	s_delay_alu instid0(VALU_DEP_2) | instskip(NEXT) | instid1(VALU_DEP_1)
	v_add_nc_u32_e32 v13, v0, v7
	v_cmp_lt_i32_e64 s2, v13, v12
	s_cbranch_scc0 .LBB223_8
; %bb.3:
	v_mov_b32_e32 v9, 0
	s_delay_alu instid0(VALU_DEP_1)
	v_dual_mov_b32 v8, v9 :: v_dual_mov_b32 v1, v9
	v_mov_b32_e32 v0, v9
	s_and_saveexec_b32 s3, s2
	s_cbranch_execz .LBB223_7
; %bb.4:
	v_dual_mov_b32 v11, 0 :: v_dual_lshlrev_b32 v10, 5, v13
	v_mov_b32_e32 v14, v13
	s_mov_b32 s4, 0
	s_delay_alu instid0(VALU_DEP_2)
	v_dual_mov_b32 v0, v11 :: v_dual_mov_b32 v1, v11
	v_dual_mov_b32 v8, v11 :: v_dual_mov_b32 v9, v11
.LBB223_5:                              ; =>This Inner Loop Header: Depth=1
	global_load_b32 v15, v14, s[6:7] scale_offset
	v_lshl_add_u64 v[96:97], v[10:11], 3, s[8:9]
	s_clause 0x3
	global_load_b128 v[16:19], v[96:97], off offset:48
	global_load_b128 v[20:23], v[96:97], off offset:32
	;; [unrolled: 1-line block ×3, first 2 shown]
	global_load_b128 v[28:31], v[96:97], off
	s_wait_xcnt 0x4
	v_add_nc_u32_e32 v14, 8, v14
	v_add_nc_u32_e32 v10, 0x100, v10
	s_delay_alu instid0(VALU_DEP_2)
	v_cmp_ge_i32_e32 vcc_lo, v14, v12
	s_or_b32 s4, vcc_lo, s4
	s_wait_loadcnt 0x4
	v_subrev_nc_u32_e32 v15, s12, v15
	s_wait_loadcnt 0x2
	v_dual_mov_b32 v33, v11 :: v_dual_mov_b32 v101, v22
	s_delay_alu instid0(VALU_DEP_2) | instskip(SKIP_3) | instid1(VALU_DEP_3)
	v_lshlrev_b32_e32 v32, 4, v15
	s_wait_loadcnt 0x0
	v_xor_b32_e32 v92, 0x80000000, v31
	v_xor_b32_e32 v100, 0x80000000, v23
	v_lshl_add_u64 v[98:99], v[32:33], 3, s[10:11]
	s_clause 0x1
	global_load_b128 v[32:35], v[98:99], off
	global_load_b128 v[36:39], v[98:99], off offset:16
	s_clause 0x1
	global_load_b128 v[40:43], v[96:97], off offset:64
	global_load_b128 v[44:47], v[96:97], off offset:80
	;; [unrolled: 1-line block ×5, first 2 shown]
	s_clause 0x2
	global_load_b128 v[60:63], v[96:97], off offset:112
	global_load_b128 v[64:67], v[96:97], off offset:128
	;; [unrolled: 1-line block ×4, first 2 shown]
	s_clause 0x1
	global_load_b128 v[76:79], v[96:97], off offset:160
	global_load_b128 v[80:83], v[96:97], off offset:176
	;; [unrolled: 1-line block ×4, first 2 shown]
	v_mov_b32_e32 v93, v30
	s_wait_loadcnt 0xe
	v_pk_fma_f32 v[8:9], v[28:29], v[32:33], v[8:9] op_sel_hi:[1,0,1]
	v_pk_fma_f32 v[0:1], v[30:31], v[32:33], v[0:1] op_sel_hi:[1,0,1]
	s_delay_alu instid0(VALU_DEP_2)
	v_pk_fma_f32 v[8:9], v[28:29], v[32:33], v[8:9] op_sel:[1,1,0] op_sel_hi:[0,1,1] neg_lo:[1,0,0]
	global_load_b128 v[28:31], v[98:99], off offset:96
	v_pk_fma_f32 v[0:1], v[92:93], v[32:33], v[0:1] op_sel:[0,1,0]
	global_load_b128 v[92:95], v[96:97], off offset:208
	v_mov_b32_e32 v32, v35
	v_pk_fma_f32 v[8:9], v[24:25], v[34:35], v[8:9] op_sel_hi:[1,0,1]
	v_pk_fma_f32 v[0:1], v[26:27], v[34:35], v[0:1] op_sel_hi:[1,0,1]
	v_xor_b32_e32 v34, 0x80000000, v27
	v_mov_b32_e32 v35, v26
	s_delay_alu instid0(VALU_DEP_4)
	v_pk_fma_f32 v[8:9], v[24:25], v[32:33], v[8:9] op_sel:[1,0,0] op_sel_hi:[0,0,1] neg_lo:[1,0,0]
	global_load_b128 v[24:27], v[96:97], off offset:224
	v_pk_fma_f32 v[0:1], v[34:35], v[32:33], v[0:1] op_sel_hi:[1,0,1]
	global_load_b128 v[32:35], v[98:99], off offset:112
	s_wait_loadcnt 0x11
	v_pk_fma_f32 v[8:9], v[20:21], v[36:37], v[8:9] op_sel_hi:[1,0,1]
	v_pk_fma_f32 v[0:1], v[22:23], v[36:37], v[0:1] op_sel_hi:[1,0,1]
	s_delay_alu instid0(VALU_DEP_2)
	v_pk_fma_f32 v[8:9], v[20:21], v[36:37], v[8:9] op_sel:[1,1,0] op_sel_hi:[0,1,1] neg_lo:[1,0,0]
	global_load_b128 v[20:23], v[96:97], off offset:240
	s_wait_xcnt 0x0
	v_mov_b32_e32 v96, v39
	v_pk_fma_f32 v[0:1], v[100:101], v[36:37], v[0:1] op_sel:[0,1,0]
	v_xor_b32_e32 v36, 0x80000000, v19
	v_mov_b32_e32 v37, v18
	v_pk_fma_f32 v[8:9], v[16:17], v[38:39], v[8:9] op_sel_hi:[1,0,1]
	s_delay_alu instid0(VALU_DEP_4) | instskip(SKIP_2) | instid1(VALU_DEP_3)
	v_pk_fma_f32 v[0:1], v[18:19], v[38:39], v[0:1] op_sel_hi:[1,0,1]
	s_wait_loadcnt 0xf
	v_mov_b32_e32 v18, v51
	v_pk_fma_f32 v[8:9], v[16:17], v[96:97], v[8:9] op_sel:[1,0,0] op_sel_hi:[0,0,1] neg_lo:[1,0,0]
	v_xor_b32_e32 v16, 0x80000000, v43
	v_pk_fma_f32 v[0:1], v[36:37], v[96:97], v[0:1] op_sel_hi:[1,0,1]
	v_mov_b32_e32 v17, v42
	s_delay_alu instid0(VALU_DEP_4) | instskip(NEXT) | instid1(VALU_DEP_3)
	v_pk_fma_f32 v[8:9], v[40:41], v[48:49], v[8:9] op_sel_hi:[1,0,1]
	v_pk_fma_f32 v[0:1], v[42:43], v[48:49], v[0:1] op_sel_hi:[1,0,1]
	s_delay_alu instid0(VALU_DEP_2) | instskip(NEXT) | instid1(VALU_DEP_2)
	v_pk_fma_f32 v[8:9], v[40:41], v[48:49], v[8:9] op_sel:[1,1,0] op_sel_hi:[0,1,1] neg_lo:[1,0,0]
	v_pk_fma_f32 v[0:1], v[16:17], v[48:49], v[0:1] op_sel:[0,1,0]
	v_xor_b32_e32 v16, 0x80000000, v47
	v_mov_b32_e32 v17, v46
	s_delay_alu instid0(VALU_DEP_4) | instskip(NEXT) | instid1(VALU_DEP_4)
	v_pk_fma_f32 v[8:9], v[44:45], v[50:51], v[8:9] op_sel_hi:[1,0,1]
	v_pk_fma_f32 v[0:1], v[46:47], v[50:51], v[0:1] op_sel_hi:[1,0,1]
	s_delay_alu instid0(VALU_DEP_2) | instskip(NEXT) | instid1(VALU_DEP_2)
	v_pk_fma_f32 v[8:9], v[44:45], v[18:19], v[8:9] op_sel:[1,0,0] op_sel_hi:[0,0,1] neg_lo:[1,0,0]
	v_pk_fma_f32 v[0:1], v[16:17], v[18:19], v[0:1] op_sel_hi:[1,0,1]
	s_wait_loadcnt 0xe
	v_xor_b32_e32 v16, 0x80000000, v55
	v_mov_b32_e32 v17, v54
	s_wait_loadcnt 0xd
	v_pk_fma_f32 v[8:9], v[52:53], v[56:57], v[8:9] op_sel_hi:[1,0,1]
	v_mov_b32_e32 v18, v59
	v_pk_fma_f32 v[0:1], v[54:55], v[56:57], v[0:1] op_sel_hi:[1,0,1]
	s_delay_alu instid0(VALU_DEP_3) | instskip(NEXT) | instid1(VALU_DEP_2)
	v_pk_fma_f32 v[8:9], v[52:53], v[56:57], v[8:9] op_sel:[1,1,0] op_sel_hi:[0,1,1] neg_lo:[1,0,0]
	v_pk_fma_f32 v[0:1], v[16:17], v[56:57], v[0:1] op_sel:[0,1,0]
	s_wait_loadcnt 0xc
	v_xor_b32_e32 v16, 0x80000000, v63
	v_mov_b32_e32 v17, v62
	v_pk_fma_f32 v[8:9], v[60:61], v[58:59], v[8:9] op_sel_hi:[1,0,1]
	v_pk_fma_f32 v[0:1], v[62:63], v[58:59], v[0:1] op_sel_hi:[1,0,1]
	s_delay_alu instid0(VALU_DEP_2) | instskip(NEXT) | instid1(VALU_DEP_2)
	v_pk_fma_f32 v[8:9], v[60:61], v[18:19], v[8:9] op_sel:[1,0,0] op_sel_hi:[0,0,1] neg_lo:[1,0,0]
	v_pk_fma_f32 v[0:1], v[16:17], v[18:19], v[0:1] op_sel_hi:[1,0,1]
	s_wait_loadcnt 0xb
	v_xor_b32_e32 v16, 0x80000000, v67
	v_mov_b32_e32 v17, v66
	s_wait_loadcnt 0x9
	v_pk_fma_f32 v[8:9], v[64:65], v[72:73], v[8:9] op_sel_hi:[1,0,1]
	v_mov_b32_e32 v18, v75
	v_pk_fma_f32 v[0:1], v[66:67], v[72:73], v[0:1] op_sel_hi:[1,0,1]
	s_delay_alu instid0(VALU_DEP_3) | instskip(NEXT) | instid1(VALU_DEP_2)
	v_pk_fma_f32 v[8:9], v[64:65], v[72:73], v[8:9] op_sel:[1,1,0] op_sel_hi:[0,1,1] neg_lo:[1,0,0]
	v_pk_fma_f32 v[0:1], v[16:17], v[72:73], v[0:1] op_sel:[0,1,0]
	v_xor_b32_e32 v16, 0x80000000, v71
	v_mov_b32_e32 v17, v70
	s_delay_alu instid0(VALU_DEP_4) | instskip(NEXT) | instid1(VALU_DEP_4)
	v_pk_fma_f32 v[8:9], v[68:69], v[74:75], v[8:9] op_sel_hi:[1,0,1]
	v_pk_fma_f32 v[0:1], v[70:71], v[74:75], v[0:1] op_sel_hi:[1,0,1]
	s_delay_alu instid0(VALU_DEP_2) | instskip(NEXT) | instid1(VALU_DEP_2)
	v_pk_fma_f32 v[8:9], v[68:69], v[18:19], v[8:9] op_sel:[1,0,0] op_sel_hi:[0,0,1] neg_lo:[1,0,0]
	v_pk_fma_f32 v[0:1], v[16:17], v[18:19], v[0:1] op_sel_hi:[1,0,1]
	s_wait_loadcnt 0x8
	v_xor_b32_e32 v16, 0x80000000, v79
	v_mov_b32_e32 v17, v78
	s_wait_loadcnt 0x6
	v_pk_fma_f32 v[8:9], v[76:77], v[84:85], v[8:9] op_sel_hi:[1,0,1]
	v_mov_b32_e32 v18, v87
	v_pk_fma_f32 v[0:1], v[78:79], v[84:85], v[0:1] op_sel_hi:[1,0,1]
	s_delay_alu instid0(VALU_DEP_3) | instskip(NEXT) | instid1(VALU_DEP_2)
	v_pk_fma_f32 v[8:9], v[76:77], v[84:85], v[8:9] op_sel:[1,1,0] op_sel_hi:[0,1,1] neg_lo:[1,0,0]
	v_pk_fma_f32 v[0:1], v[16:17], v[84:85], v[0:1] op_sel:[0,1,0]
	v_xor_b32_e32 v16, 0x80000000, v83
	v_mov_b32_e32 v17, v82
	s_delay_alu instid0(VALU_DEP_4) | instskip(NEXT) | instid1(VALU_DEP_4)
	v_pk_fma_f32 v[8:9], v[80:81], v[86:87], v[8:9] op_sel_hi:[1,0,1]
	v_pk_fma_f32 v[0:1], v[82:83], v[86:87], v[0:1] op_sel_hi:[1,0,1]
	s_delay_alu instid0(VALU_DEP_2) | instskip(NEXT) | instid1(VALU_DEP_2)
	v_pk_fma_f32 v[8:9], v[80:81], v[18:19], v[8:9] op_sel:[1,0,0] op_sel_hi:[0,0,1] neg_lo:[1,0,0]
	v_pk_fma_f32 v[0:1], v[16:17], v[18:19], v[0:1] op_sel_hi:[1,0,1]
	s_wait_loadcnt 0x5
	v_xor_b32_e32 v16, 0x80000000, v91
	v_mov_b32_e32 v17, v90
	s_wait_loadcnt 0x4
	v_pk_fma_f32 v[8:9], v[88:89], v[28:29], v[8:9] op_sel_hi:[1,0,1]
	v_pk_fma_f32 v[0:1], v[90:91], v[28:29], v[0:1] op_sel_hi:[1,0,1]
	v_mov_b32_e32 v18, v31
	s_delay_alu instid0(VALU_DEP_3) | instskip(NEXT) | instid1(VALU_DEP_3)
	v_pk_fma_f32 v[8:9], v[88:89], v[28:29], v[8:9] op_sel:[1,1,0] op_sel_hi:[0,1,1] neg_lo:[1,0,0]
	v_pk_fma_f32 v[0:1], v[16:17], v[28:29], v[0:1] op_sel:[0,1,0]
	s_wait_loadcnt 0x3
	v_xor_b32_e32 v16, 0x80000000, v95
	v_mov_b32_e32 v17, v94
	v_pk_fma_f32 v[8:9], v[92:93], v[30:31], v[8:9] op_sel_hi:[1,0,1]
	v_pk_fma_f32 v[0:1], v[94:95], v[30:31], v[0:1] op_sel_hi:[1,0,1]
	s_delay_alu instid0(VALU_DEP_2) | instskip(NEXT) | instid1(VALU_DEP_2)
	v_pk_fma_f32 v[8:9], v[92:93], v[18:19], v[8:9] op_sel:[1,0,0] op_sel_hi:[0,0,1] neg_lo:[1,0,0]
	v_pk_fma_f32 v[0:1], v[16:17], v[18:19], v[0:1] op_sel_hi:[1,0,1]
	s_wait_loadcnt 0x2
	v_xor_b32_e32 v16, 0x80000000, v27
	s_wait_loadcnt 0x1
	v_dual_mov_b32 v17, v26 :: v_dual_mov_b32 v18, v35
	v_pk_fma_f32 v[8:9], v[24:25], v[32:33], v[8:9] op_sel_hi:[1,0,1]
	v_pk_fma_f32 v[0:1], v[26:27], v[32:33], v[0:1] op_sel_hi:[1,0,1]
	s_delay_alu instid0(VALU_DEP_2) | instskip(NEXT) | instid1(VALU_DEP_2)
	v_pk_fma_f32 v[8:9], v[24:25], v[32:33], v[8:9] op_sel:[1,1,0] op_sel_hi:[0,1,1] neg_lo:[1,0,0]
	v_pk_fma_f32 v[0:1], v[16:17], v[32:33], v[0:1] op_sel:[0,1,0]
	s_wait_loadcnt 0x0
	v_xor_b32_e32 v16, 0x80000000, v23
	v_mov_b32_e32 v17, v22
	v_pk_fma_f32 v[8:9], v[20:21], v[34:35], v[8:9] op_sel_hi:[1,0,1]
	v_pk_fma_f32 v[0:1], v[22:23], v[34:35], v[0:1] op_sel_hi:[1,0,1]
	s_delay_alu instid0(VALU_DEP_2) | instskip(NEXT) | instid1(VALU_DEP_2)
	v_pk_fma_f32 v[8:9], v[20:21], v[18:19], v[8:9] op_sel:[1,0,0] op_sel_hi:[0,0,1] neg_lo:[1,0,0]
	v_pk_fma_f32 v[0:1], v[16:17], v[18:19], v[0:1] op_sel_hi:[1,0,1]
	s_and_not1_b32 exec_lo, exec_lo, s4
	s_cbranch_execnz .LBB223_5
; %bb.6:
	s_or_b32 exec_lo, exec_lo, s4
.LBB223_7:
	s_delay_alu instid0(SALU_CYCLE_1)
	s_or_b32 exec_lo, exec_lo, s3
	s_cbranch_execz .LBB223_9
	s_branch .LBB223_14
.LBB223_8:
                                        ; implicit-def: $vgpr9
                                        ; implicit-def: $vgpr1
.LBB223_9:
	v_mov_b32_e32 v9, 0
	s_delay_alu instid0(VALU_DEP_1)
	v_dual_mov_b32 v8, v9 :: v_dual_mov_b32 v1, v9
	v_mov_b32_e32 v0, v9
	s_and_saveexec_b32 s3, s2
	s_cbranch_execz .LBB223_13
; %bb.10:
	v_dual_mov_b32 v11, 0 :: v_dual_lshlrev_b32 v10, 5, v13
	s_mov_b32 s2, 0
	s_delay_alu instid0(VALU_DEP_1)
	v_dual_mov_b32 v0, v11 :: v_dual_mov_b32 v1, v11
	v_dual_mov_b32 v8, v11 :: v_dual_mov_b32 v9, v11
.LBB223_11:                             ; =>This Inner Loop Header: Depth=1
	global_load_b32 v66, v13, s[6:7] scale_offset
	v_lshl_add_u64 v[74:75], v[10:11], 3, s[8:9]
	v_add_nc_u32_e32 v10, 0x100, v10
	s_clause 0xc
	global_load_b128 v[14:17], v[74:75], off
	global_load_b128 v[18:21], v[74:75], off offset:128
	global_load_b128 v[22:25], v[74:75], off offset:144
	;; [unrolled: 1-line block ×12, first 2 shown]
	s_wait_xcnt 0xd
	v_add_nc_u32_e32 v13, 8, v13
	s_delay_alu instid0(VALU_DEP_1)
	v_cmp_ge_i32_e32 vcc_lo, v13, v12
	s_or_b32 s2, vcc_lo, s2
	s_wait_loadcnt 0xc
	v_xor_b32_e32 v76, 0x80000000, v17
	s_wait_loadcnt 0xb
	v_dual_mov_b32 v77, v16 :: v_dual_mov_b32 v79, v20
	v_xor_b32_e32 v78, 0x80000000, v21
	s_wait_loadcnt 0x9
	v_xor_b32_e32 v82, 0x80000000, v29
	v_dual_mov_b32 v83, v28 :: v_dual_mov_b32 v85, v24
	v_subrev_nc_u32_e32 v66, s12, v66
	v_mov_b32_e32 v67, v11
	v_xor_b32_e32 v84, 0x80000000, v25
	s_delay_alu instid0(VALU_DEP_3) | instskip(NEXT) | instid1(VALU_DEP_1)
	v_lshlrev_b32_e32 v66, 4, v66
	v_lshl_add_u64 v[80:81], v[66:67], 3, s[10:11]
	s_clause 0x1
	global_load_b128 v[66:69], v[80:81], off
	global_load_b128 v[70:73], v[80:81], off offset:16
	s_wait_loadcnt 0x1
	v_pk_fma_f32 v[8:9], v[14:15], v[66:67], v[8:9] op_sel_hi:[1,0,1]
	v_pk_fma_f32 v[0:1], v[18:19], v[66:67], v[0:1] op_sel_hi:[1,0,1]
	s_delay_alu instid0(VALU_DEP_2) | instskip(NEXT) | instid1(VALU_DEP_2)
	v_pk_fma_f32 v[8:9], v[14:15], v[66:67], v[8:9] op_sel:[1,1,0] op_sel_hi:[0,1,1] neg_lo:[1,0,0]
	v_pk_fma_f32 v[0:1], v[18:19], v[66:67], v[0:1] op_sel:[1,1,0] op_sel_hi:[0,1,1] neg_lo:[1,0,0]
	v_mov_b32_e32 v66, v69
	s_delay_alu instid0(VALU_DEP_3)
	v_pk_fma_f32 v[8:9], v[16:17], v[68:69], v[8:9] op_sel_hi:[1,0,1]
	global_load_b128 v[14:17], v[80:81], off offset:32
	v_pk_fma_f32 v[0:1], v[20:21], v[68:69], v[0:1] op_sel_hi:[1,0,1]
	global_load_b128 v[18:21], v[80:81], off offset:48
	v_pk_fma_f32 v[8:9], v[76:77], v[66:67], v[8:9] op_sel_hi:[1,0,1]
	s_wait_loadcnt 0x2
	v_mov_b32_e32 v76, v73
	v_pk_fma_f32 v[0:1], v[78:79], v[66:67], v[0:1] op_sel_hi:[1,0,1]
	global_load_b128 v[66:69], v[80:81], off offset:80
	v_xor_b32_e32 v78, 0x80000000, v37
	v_pk_fma_f32 v[8:9], v[26:27], v[70:71], v[8:9] op_sel_hi:[1,0,1]
	v_mov_b32_e32 v79, v36
	v_pk_fma_f32 v[0:1], v[22:23], v[70:71], v[0:1] op_sel_hi:[1,0,1]
	s_delay_alu instid0(VALU_DEP_3) | instskip(NEXT) | instid1(VALU_DEP_2)
	v_pk_fma_f32 v[8:9], v[26:27], v[70:71], v[8:9] op_sel:[1,1,0] op_sel_hi:[0,1,1] neg_lo:[1,0,0]
	v_pk_fma_f32 v[0:1], v[22:23], v[70:71], v[0:1] op_sel:[1,1,0] op_sel_hi:[0,1,1] neg_lo:[1,0,0]
	s_delay_alu instid0(VALU_DEP_2)
	v_pk_fma_f32 v[8:9], v[28:29], v[72:73], v[8:9] op_sel_hi:[1,0,1]
	global_load_b128 v[26:29], v[80:81], off offset:64
	v_pk_fma_f32 v[0:1], v[24:25], v[72:73], v[0:1] op_sel_hi:[1,0,1]
	s_clause 0x1
	global_load_b128 v[22:25], v[74:75], off offset:96
	global_load_b128 v[70:73], v[74:75], off offset:240
	v_pk_fma_f32 v[8:9], v[82:83], v[76:77], v[8:9] op_sel_hi:[1,0,1]
	v_xor_b32_e32 v82, 0x80000000, v45
	v_pk_fma_f32 v[0:1], v[84:85], v[76:77], v[0:1] op_sel_hi:[1,0,1]
	global_load_b128 v[74:77], v[74:75], off offset:224
	v_mov_b32_e32 v83, v44
	s_wait_loadcnt 0x6
	v_pk_fma_f32 v[8:9], v[34:35], v[14:15], v[8:9] op_sel_hi:[1,0,1]
	v_pk_fma_f32 v[0:1], v[42:43], v[14:15], v[0:1] op_sel_hi:[1,0,1]
	s_delay_alu instid0(VALU_DEP_2) | instskip(NEXT) | instid1(VALU_DEP_2)
	v_pk_fma_f32 v[8:9], v[34:35], v[14:15], v[8:9] op_sel:[1,1,0] op_sel_hi:[0,1,1] neg_lo:[1,0,0]
	v_pk_fma_f32 v[0:1], v[42:43], v[14:15], v[0:1] op_sel:[1,1,0] op_sel_hi:[0,1,1] neg_lo:[1,0,0]
	v_mov_b32_e32 v14, v17
	s_delay_alu instid0(VALU_DEP_3) | instskip(NEXT) | instid1(VALU_DEP_3)
	v_pk_fma_f32 v[8:9], v[36:37], v[16:17], v[8:9] op_sel_hi:[1,0,1]
	v_pk_fma_f32 v[0:1], v[44:45], v[16:17], v[0:1] op_sel_hi:[1,0,1]
	s_clause 0x1
	global_load_b128 v[34:37], v[80:81], off offset:96
	global_load_b128 v[42:45], v[80:81], off offset:112
	v_xor_b32_e32 v16, 0x80000000, v41
	v_mov_b32_e32 v17, v40
	v_pk_fma_f32 v[8:9], v[78:79], v[14:15], v[8:9] op_sel_hi:[1,0,1]
	v_pk_fma_f32 v[0:1], v[82:83], v[14:15], v[0:1] op_sel_hi:[1,0,1]
	v_xor_b32_e32 v14, 0x80000000, v33
	v_mov_b32_e32 v15, v32
	s_wait_loadcnt 0x7
	v_pk_fma_f32 v[8:9], v[30:31], v[18:19], v[8:9] op_sel_hi:[1,0,1]
	v_pk_fma_f32 v[0:1], v[38:39], v[18:19], v[0:1] op_sel_hi:[1,0,1]
	s_delay_alu instid0(VALU_DEP_2) | instskip(NEXT) | instid1(VALU_DEP_2)
	v_pk_fma_f32 v[8:9], v[30:31], v[18:19], v[8:9] op_sel:[1,1,0] op_sel_hi:[0,1,1] neg_lo:[1,0,0]
	v_pk_fma_f32 v[0:1], v[38:39], v[18:19], v[0:1] op_sel:[1,1,0] op_sel_hi:[0,1,1] neg_lo:[1,0,0]
	v_mov_b32_e32 v18, v21
	s_delay_alu instid0(VALU_DEP_3) | instskip(NEXT) | instid1(VALU_DEP_3)
	v_pk_fma_f32 v[8:9], v[32:33], v[20:21], v[8:9] op_sel_hi:[1,0,1]
	v_pk_fma_f32 v[0:1], v[40:41], v[20:21], v[0:1] op_sel_hi:[1,0,1]
	s_delay_alu instid0(VALU_DEP_2) | instskip(NEXT) | instid1(VALU_DEP_2)
	v_pk_fma_f32 v[8:9], v[14:15], v[18:19], v[8:9] op_sel_hi:[1,0,1]
	v_pk_fma_f32 v[0:1], v[16:17], v[18:19], v[0:1] op_sel_hi:[1,0,1]
	v_xor_b32_e32 v14, 0x80000000, v53
	v_dual_mov_b32 v15, v52 :: v_dual_mov_b32 v17, v60
	s_wait_loadcnt 0x5
	v_pk_fma_f32 v[8:9], v[50:51], v[26:27], v[8:9] op_sel_hi:[1,0,1]
	v_pk_fma_f32 v[0:1], v[58:59], v[26:27], v[0:1] op_sel_hi:[1,0,1]
	v_xor_b32_e32 v16, 0x80000000, v61
	v_mov_b32_e32 v18, v29
	s_delay_alu instid0(VALU_DEP_4) | instskip(NEXT) | instid1(VALU_DEP_4)
	v_pk_fma_f32 v[8:9], v[50:51], v[26:27], v[8:9] op_sel:[1,1,0] op_sel_hi:[0,1,1] neg_lo:[1,0,0]
	v_pk_fma_f32 v[0:1], v[58:59], v[26:27], v[0:1] op_sel:[1,1,0] op_sel_hi:[0,1,1] neg_lo:[1,0,0]
	s_delay_alu instid0(VALU_DEP_2) | instskip(NEXT) | instid1(VALU_DEP_2)
	v_pk_fma_f32 v[8:9], v[52:53], v[28:29], v[8:9] op_sel_hi:[1,0,1]
	v_pk_fma_f32 v[0:1], v[60:61], v[28:29], v[0:1] op_sel_hi:[1,0,1]
	s_delay_alu instid0(VALU_DEP_2) | instskip(SKIP_1) | instid1(VALU_DEP_3)
	v_pk_fma_f32 v[8:9], v[14:15], v[18:19], v[8:9] op_sel_hi:[1,0,1]
	v_mov_b32_e32 v15, v48
	v_pk_fma_f32 v[0:1], v[16:17], v[18:19], v[0:1] op_sel_hi:[1,0,1]
	v_xor_b32_e32 v14, 0x80000000, v49
	v_xor_b32_e32 v16, 0x80000000, v57
	v_pk_fma_f32 v[8:9], v[46:47], v[66:67], v[8:9] op_sel_hi:[1,0,1]
	v_dual_mov_b32 v17, v56 :: v_dual_mov_b32 v18, v69
	v_pk_fma_f32 v[0:1], v[54:55], v[66:67], v[0:1] op_sel_hi:[1,0,1]
	s_delay_alu instid0(VALU_DEP_3) | instskip(NEXT) | instid1(VALU_DEP_2)
	v_pk_fma_f32 v[8:9], v[46:47], v[66:67], v[8:9] op_sel:[1,1,0] op_sel_hi:[0,1,1] neg_lo:[1,0,0]
	v_pk_fma_f32 v[0:1], v[54:55], v[66:67], v[0:1] op_sel:[1,1,0] op_sel_hi:[0,1,1] neg_lo:[1,0,0]
	s_delay_alu instid0(VALU_DEP_2) | instskip(NEXT) | instid1(VALU_DEP_2)
	v_pk_fma_f32 v[8:9], v[48:49], v[68:69], v[8:9] op_sel_hi:[1,0,1]
	v_pk_fma_f32 v[0:1], v[56:57], v[68:69], v[0:1] op_sel_hi:[1,0,1]
	s_delay_alu instid0(VALU_DEP_2)
	v_pk_fma_f32 v[8:9], v[14:15], v[18:19], v[8:9] op_sel_hi:[1,0,1]
	s_wait_loadcnt 0x4
	v_xor_b32_e32 v14, 0x80000000, v25
	v_mov_b32_e32 v15, v24
	v_pk_fma_f32 v[0:1], v[16:17], v[18:19], v[0:1] op_sel_hi:[1,0,1]
	s_wait_loadcnt 0x2
	v_xor_b32_e32 v16, 0x80000000, v77
	v_mov_b32_e32 v17, v76
	s_wait_loadcnt 0x1
	v_pk_fma_f32 v[8:9], v[22:23], v[34:35], v[8:9] op_sel_hi:[1,0,1]
	v_pk_fma_f32 v[0:1], v[74:75], v[34:35], v[0:1] op_sel_hi:[1,0,1]
	v_mov_b32_e32 v18, v37
	s_delay_alu instid0(VALU_DEP_3) | instskip(NEXT) | instid1(VALU_DEP_3)
	v_pk_fma_f32 v[8:9], v[22:23], v[34:35], v[8:9] op_sel:[1,1,0] op_sel_hi:[0,1,1] neg_lo:[1,0,0]
	v_pk_fma_f32 v[0:1], v[74:75], v[34:35], v[0:1] op_sel:[1,1,0] op_sel_hi:[0,1,1] neg_lo:[1,0,0]
	s_delay_alu instid0(VALU_DEP_2) | instskip(NEXT) | instid1(VALU_DEP_2)
	v_pk_fma_f32 v[8:9], v[24:25], v[36:37], v[8:9] op_sel_hi:[1,0,1]
	v_pk_fma_f32 v[0:1], v[76:77], v[36:37], v[0:1] op_sel_hi:[1,0,1]
	s_delay_alu instid0(VALU_DEP_2) | instskip(NEXT) | instid1(VALU_DEP_2)
	v_pk_fma_f32 v[8:9], v[14:15], v[18:19], v[8:9] op_sel_hi:[1,0,1]
	v_pk_fma_f32 v[0:1], v[16:17], v[18:19], v[0:1] op_sel_hi:[1,0,1]
	v_xor_b32_e32 v14, 0x80000000, v65
	v_dual_mov_b32 v15, v64 :: v_dual_mov_b32 v17, v72
	s_wait_loadcnt 0x0
	v_pk_fma_f32 v[8:9], v[62:63], v[42:43], v[8:9] op_sel_hi:[1,0,1]
	v_pk_fma_f32 v[0:1], v[70:71], v[42:43], v[0:1] op_sel_hi:[1,0,1]
	v_xor_b32_e32 v16, 0x80000000, v73
	v_mov_b32_e32 v18, v45
	s_delay_alu instid0(VALU_DEP_4) | instskip(NEXT) | instid1(VALU_DEP_4)
	v_pk_fma_f32 v[8:9], v[62:63], v[42:43], v[8:9] op_sel:[1,1,0] op_sel_hi:[0,1,1] neg_lo:[1,0,0]
	v_pk_fma_f32 v[0:1], v[70:71], v[42:43], v[0:1] op_sel:[1,1,0] op_sel_hi:[0,1,1] neg_lo:[1,0,0]
	s_delay_alu instid0(VALU_DEP_2) | instskip(NEXT) | instid1(VALU_DEP_2)
	v_pk_fma_f32 v[8:9], v[64:65], v[44:45], v[8:9] op_sel_hi:[1,0,1]
	v_pk_fma_f32 v[0:1], v[72:73], v[44:45], v[0:1] op_sel_hi:[1,0,1]
	s_delay_alu instid0(VALU_DEP_2) | instskip(NEXT) | instid1(VALU_DEP_2)
	v_pk_fma_f32 v[8:9], v[14:15], v[18:19], v[8:9] op_sel_hi:[1,0,1]
	v_pk_fma_f32 v[0:1], v[16:17], v[18:19], v[0:1] op_sel_hi:[1,0,1]
	s_and_not1_b32 exec_lo, exec_lo, s2
	s_cbranch_execnz .LBB223_11
; %bb.12:
	s_or_b32 exec_lo, exec_lo, s2
.LBB223_13:
	s_delay_alu instid0(SALU_CYCLE_1)
	s_or_b32 exec_lo, exec_lo, s3
.LBB223_14:
	v_mbcnt_lo_u32_b32 v10, -1, 0
	s_delay_alu instid0(VALU_DEP_1) | instskip(SKIP_1) | instid1(VALU_DEP_1)
	v_xor_b32_e32 v15, 2, v10
	v_xor_b32_e32 v11, 4, v10
	v_cmp_gt_i32_e32 vcc_lo, 32, v11
	v_cndmask_b32_e32 v11, v10, v11, vcc_lo
	s_delay_alu instid0(VALU_DEP_1)
	v_lshlrev_b32_e32 v11, 2, v11
	ds_bpermute_b32 v13, v11, v9
	s_wait_dscnt 0x0
	v_add_f32_e32 v9, v9, v13
	ds_bpermute_b32 v12, v11, v8
	ds_bpermute_b32 v14, v11, v0
	;; [unrolled: 1-line block ×3, first 2 shown]
	s_wait_dscnt 0x2
	v_add_f32_e32 v8, v8, v12
	s_wait_dscnt 0x0
	v_dual_add_f32 v12, v0, v14 :: v_dual_add_f32 v11, v1, v11
	v_cmp_gt_i32_e32 vcc_lo, 32, v15
	v_cndmask_b32_e32 v15, v10, v15, vcc_lo
	s_delay_alu instid0(VALU_DEP_1)
	v_lshlrev_b32_e32 v15, 2, v15
	ds_bpermute_b32 v0, v15, v8
	ds_bpermute_b32 v1, v15, v9
	;; [unrolled: 1-line block ×4, first 2 shown]
	s_wait_dscnt 0x3
	v_dual_add_f32 v0, v8, v0 :: v_dual_bitop2_b32 v15, 1, v10 bitop3:0x14
	s_delay_alu instid0(VALU_DEP_1) | instskip(SKIP_4) | instid1(VALU_DEP_2)
	v_cmp_gt_i32_e32 vcc_lo, 32, v15
	s_wait_dscnt 0x0
	v_dual_add_f32 v8, v9, v1 :: v_dual_add_f32 v9, v11, v14
	v_dual_add_f32 v1, v12, v13 :: v_dual_cndmask_b32 v10, v10, v15
	v_cmp_eq_u32_e32 vcc_lo, 7, v7
	v_lshlrev_b32_e32 v15, 2, v10
	ds_bpermute_b32 v12, v15, v0
	ds_bpermute_b32 v13, v15, v8
	;; [unrolled: 1-line block ×4, first 2 shown]
	s_and_b32 exec_lo, exec_lo, vcc_lo
	s_cbranch_execz .LBB223_19
; %bb.15:
	s_load_b64 s[2:3], s[0:1], 0x38
	v_cmp_eq_f32_e32 vcc_lo, 0, v4
	s_wait_xcnt 0x0
	v_cmp_eq_f32_e64 s0, 0, v5
	s_wait_dscnt 0x3
	v_add_f32_e32 v0, v0, v12
	s_wait_dscnt 0x1
	v_dual_add_f32 v12, v8, v13 :: v_dual_add_f32 v8, v1, v10
	s_wait_dscnt 0x0
	v_add_f32_e32 v10, v9, v11
	s_and_b32 s0, vcc_lo, s0
	s_delay_alu instid0(SALU_CYCLE_1) | instskip(NEXT) | instid1(SALU_CYCLE_1)
	s_and_saveexec_b32 s1, s0
	s_xor_b32 s0, exec_lo, s1
	s_cbranch_execz .LBB223_17
; %bb.16:
	v_xor_b32_e32 v4, 0x80000000, v3
	v_dual_mov_b32 v5, v2 :: v_dual_lshlrev_b32 v6, 1, v6
	s_delay_alu instid0(VALU_DEP_1) | instskip(NEXT) | instid1(VALU_DEP_2)
	v_ashrrev_i32_e32 v7, 31, v6
	v_pk_mul_f32 v[12:13], v[12:13], v[4:5] op_sel_hi:[0,1]
	v_pk_mul_f32 v[4:5], v[10:11], v[4:5] op_sel_hi:[0,1]
                                        ; implicit-def: $vgpr10
	s_wait_kmcnt 0x0
	s_delay_alu instid0(VALU_DEP_3) | instskip(NEXT) | instid1(VALU_DEP_3)
	v_lshl_add_u64 v[6:7], v[6:7], 3, s[2:3]
	v_pk_fma_f32 v[0:1], v[2:3], v[0:1], v[12:13] op_sel_hi:[1,0,1]
	s_delay_alu instid0(VALU_DEP_3)
	v_pk_fma_f32 v[2:3], v[2:3], v[8:9], v[4:5] op_sel_hi:[1,0,1]
                                        ; implicit-def: $vgpr4_vgpr5
                                        ; implicit-def: $vgpr12
                                        ; implicit-def: $vgpr8
	global_store_b128 v[6:7], v[0:3], off
                                        ; implicit-def: $vgpr6
                                        ; implicit-def: $vgpr2_vgpr3
                                        ; implicit-def: $vgpr0
.LBB223_17:
	s_wait_xcnt 0x0
	s_and_not1_saveexec_b32 s0, s0
	s_cbranch_execz .LBB223_19
; %bb.18:
	v_dual_mov_b32 v19, v2 :: v_dual_lshlrev_b32 v6, 1, v6
	v_xor_b32_e32 v18, 0x80000000, v3
	s_delay_alu instid0(VALU_DEP_2) | instskip(NEXT) | instid1(VALU_DEP_2)
	v_ashrrev_i32_e32 v7, 31, v6
	v_pk_mul_f32 v[12:13], v[12:13], v[18:19] op_sel_hi:[0,1]
	v_pk_mul_f32 v[10:11], v[10:11], v[18:19] op_sel_hi:[0,1]
	s_delay_alu instid0(VALU_DEP_2) | instskip(NEXT) | instid1(VALU_DEP_2)
	v_pk_fma_f32 v[0:1], v[2:3], v[0:1], v[12:13] op_sel_hi:[1,0,1]
	v_pk_fma_f32 v[2:3], v[2:3], v[8:9], v[10:11] op_sel_hi:[1,0,1]
	v_mov_b32_e32 v9, v4
	s_wait_kmcnt 0x0
	v_lshl_add_u64 v[6:7], v[6:7], 3, s[2:3]
	v_xor_b32_e32 v8, 0x80000000, v5
	global_load_b128 v[14:17], v[6:7], off
	s_wait_loadcnt 0x0
	v_pk_fma_f32 v[0:1], v[4:5], v[14:15], v[0:1] op_sel_hi:[1,0,1]
	v_pk_fma_f32 v[2:3], v[4:5], v[16:17], v[2:3] op_sel_hi:[1,0,1]
	v_mov_b32_e32 v4, v17
	s_delay_alu instid0(VALU_DEP_3) | instskip(NEXT) | instid1(VALU_DEP_2)
	v_pk_fma_f32 v[0:1], v[8:9], v[14:15], v[0:1] op_sel:[0,1,0]
	v_pk_fma_f32 v[2:3], v[8:9], v[4:5], v[2:3] op_sel_hi:[1,0,1]
	global_store_b128 v[6:7], v[0:3], off
.LBB223_19:
	s_sendmsg sendmsg(MSG_DEALLOC_VGPRS)
	s_endpgm
	.section	.rodata,"a",@progbits
	.p2align	6, 0x0
	.amdhsa_kernel _ZN9rocsparseL19gebsrmvn_2xn_kernelILj128ELj16ELj8E21rocsparse_complex_numIfEEEvi20rocsparse_direction_NS_24const_host_device_scalarIT2_EEPKiS8_PKS5_SA_S6_PS5_21rocsparse_index_base_b
		.amdhsa_group_segment_fixed_size 0
		.amdhsa_private_segment_fixed_size 0
		.amdhsa_kernarg_size 72
		.amdhsa_user_sgpr_count 2
		.amdhsa_user_sgpr_dispatch_ptr 0
		.amdhsa_user_sgpr_queue_ptr 0
		.amdhsa_user_sgpr_kernarg_segment_ptr 1
		.amdhsa_user_sgpr_dispatch_id 0
		.amdhsa_user_sgpr_kernarg_preload_length 0
		.amdhsa_user_sgpr_kernarg_preload_offset 0
		.amdhsa_user_sgpr_private_segment_size 0
		.amdhsa_wavefront_size32 1
		.amdhsa_uses_dynamic_stack 0
		.amdhsa_enable_private_segment 0
		.amdhsa_system_sgpr_workgroup_id_x 1
		.amdhsa_system_sgpr_workgroup_id_y 0
		.amdhsa_system_sgpr_workgroup_id_z 0
		.amdhsa_system_sgpr_workgroup_info 0
		.amdhsa_system_vgpr_workitem_id 0
		.amdhsa_next_free_vgpr 102
		.amdhsa_next_free_sgpr 14
		.amdhsa_named_barrier_count 0
		.amdhsa_reserve_vcc 1
		.amdhsa_float_round_mode_32 0
		.amdhsa_float_round_mode_16_64 0
		.amdhsa_float_denorm_mode_32 3
		.amdhsa_float_denorm_mode_16_64 3
		.amdhsa_fp16_overflow 0
		.amdhsa_memory_ordered 1
		.amdhsa_forward_progress 1
		.amdhsa_inst_pref_size 29
		.amdhsa_round_robin_scheduling 0
		.amdhsa_exception_fp_ieee_invalid_op 0
		.amdhsa_exception_fp_denorm_src 0
		.amdhsa_exception_fp_ieee_div_zero 0
		.amdhsa_exception_fp_ieee_overflow 0
		.amdhsa_exception_fp_ieee_underflow 0
		.amdhsa_exception_fp_ieee_inexact 0
		.amdhsa_exception_int_div_zero 0
	.end_amdhsa_kernel
	.section	.text._ZN9rocsparseL19gebsrmvn_2xn_kernelILj128ELj16ELj8E21rocsparse_complex_numIfEEEvi20rocsparse_direction_NS_24const_host_device_scalarIT2_EEPKiS8_PKS5_SA_S6_PS5_21rocsparse_index_base_b,"axG",@progbits,_ZN9rocsparseL19gebsrmvn_2xn_kernelILj128ELj16ELj8E21rocsparse_complex_numIfEEEvi20rocsparse_direction_NS_24const_host_device_scalarIT2_EEPKiS8_PKS5_SA_S6_PS5_21rocsparse_index_base_b,comdat
.Lfunc_end223:
	.size	_ZN9rocsparseL19gebsrmvn_2xn_kernelILj128ELj16ELj8E21rocsparse_complex_numIfEEEvi20rocsparse_direction_NS_24const_host_device_scalarIT2_EEPKiS8_PKS5_SA_S6_PS5_21rocsparse_index_base_b, .Lfunc_end223-_ZN9rocsparseL19gebsrmvn_2xn_kernelILj128ELj16ELj8E21rocsparse_complex_numIfEEEvi20rocsparse_direction_NS_24const_host_device_scalarIT2_EEPKiS8_PKS5_SA_S6_PS5_21rocsparse_index_base_b
                                        ; -- End function
	.set _ZN9rocsparseL19gebsrmvn_2xn_kernelILj128ELj16ELj8E21rocsparse_complex_numIfEEEvi20rocsparse_direction_NS_24const_host_device_scalarIT2_EEPKiS8_PKS5_SA_S6_PS5_21rocsparse_index_base_b.num_vgpr, 102
	.set _ZN9rocsparseL19gebsrmvn_2xn_kernelILj128ELj16ELj8E21rocsparse_complex_numIfEEEvi20rocsparse_direction_NS_24const_host_device_scalarIT2_EEPKiS8_PKS5_SA_S6_PS5_21rocsparse_index_base_b.num_agpr, 0
	.set _ZN9rocsparseL19gebsrmvn_2xn_kernelILj128ELj16ELj8E21rocsparse_complex_numIfEEEvi20rocsparse_direction_NS_24const_host_device_scalarIT2_EEPKiS8_PKS5_SA_S6_PS5_21rocsparse_index_base_b.numbered_sgpr, 14
	.set _ZN9rocsparseL19gebsrmvn_2xn_kernelILj128ELj16ELj8E21rocsparse_complex_numIfEEEvi20rocsparse_direction_NS_24const_host_device_scalarIT2_EEPKiS8_PKS5_SA_S6_PS5_21rocsparse_index_base_b.num_named_barrier, 0
	.set _ZN9rocsparseL19gebsrmvn_2xn_kernelILj128ELj16ELj8E21rocsparse_complex_numIfEEEvi20rocsparse_direction_NS_24const_host_device_scalarIT2_EEPKiS8_PKS5_SA_S6_PS5_21rocsparse_index_base_b.private_seg_size, 0
	.set _ZN9rocsparseL19gebsrmvn_2xn_kernelILj128ELj16ELj8E21rocsparse_complex_numIfEEEvi20rocsparse_direction_NS_24const_host_device_scalarIT2_EEPKiS8_PKS5_SA_S6_PS5_21rocsparse_index_base_b.uses_vcc, 1
	.set _ZN9rocsparseL19gebsrmvn_2xn_kernelILj128ELj16ELj8E21rocsparse_complex_numIfEEEvi20rocsparse_direction_NS_24const_host_device_scalarIT2_EEPKiS8_PKS5_SA_S6_PS5_21rocsparse_index_base_b.uses_flat_scratch, 1
	.set _ZN9rocsparseL19gebsrmvn_2xn_kernelILj128ELj16ELj8E21rocsparse_complex_numIfEEEvi20rocsparse_direction_NS_24const_host_device_scalarIT2_EEPKiS8_PKS5_SA_S6_PS5_21rocsparse_index_base_b.has_dyn_sized_stack, 0
	.set _ZN9rocsparseL19gebsrmvn_2xn_kernelILj128ELj16ELj8E21rocsparse_complex_numIfEEEvi20rocsparse_direction_NS_24const_host_device_scalarIT2_EEPKiS8_PKS5_SA_S6_PS5_21rocsparse_index_base_b.has_recursion, 0
	.set _ZN9rocsparseL19gebsrmvn_2xn_kernelILj128ELj16ELj8E21rocsparse_complex_numIfEEEvi20rocsparse_direction_NS_24const_host_device_scalarIT2_EEPKiS8_PKS5_SA_S6_PS5_21rocsparse_index_base_b.has_indirect_call, 0
	.section	.AMDGPU.csdata,"",@progbits
; Kernel info:
; codeLenInByte = 3604
; TotalNumSgprs: 16
; NumVgprs: 102
; ScratchSize: 0
; MemoryBound: 0
; FloatMode: 240
; IeeeMode: 1
; LDSByteSize: 0 bytes/workgroup (compile time only)
; SGPRBlocks: 0
; VGPRBlocks: 6
; NumSGPRsForWavesPerEU: 16
; NumVGPRsForWavesPerEU: 102
; NamedBarCnt: 0
; Occupancy: 9
; WaveLimiterHint : 1
; COMPUTE_PGM_RSRC2:SCRATCH_EN: 0
; COMPUTE_PGM_RSRC2:USER_SGPR: 2
; COMPUTE_PGM_RSRC2:TRAP_HANDLER: 0
; COMPUTE_PGM_RSRC2:TGID_X_EN: 1
; COMPUTE_PGM_RSRC2:TGID_Y_EN: 0
; COMPUTE_PGM_RSRC2:TGID_Z_EN: 0
; COMPUTE_PGM_RSRC2:TIDIG_COMP_CNT: 0
	.section	.text._ZN9rocsparseL19gebsrmvn_2xn_kernelILj128ELj16ELj16E21rocsparse_complex_numIfEEEvi20rocsparse_direction_NS_24const_host_device_scalarIT2_EEPKiS8_PKS5_SA_S6_PS5_21rocsparse_index_base_b,"axG",@progbits,_ZN9rocsparseL19gebsrmvn_2xn_kernelILj128ELj16ELj16E21rocsparse_complex_numIfEEEvi20rocsparse_direction_NS_24const_host_device_scalarIT2_EEPKiS8_PKS5_SA_S6_PS5_21rocsparse_index_base_b,comdat
	.globl	_ZN9rocsparseL19gebsrmvn_2xn_kernelILj128ELj16ELj16E21rocsparse_complex_numIfEEEvi20rocsparse_direction_NS_24const_host_device_scalarIT2_EEPKiS8_PKS5_SA_S6_PS5_21rocsparse_index_base_b ; -- Begin function _ZN9rocsparseL19gebsrmvn_2xn_kernelILj128ELj16ELj16E21rocsparse_complex_numIfEEEvi20rocsparse_direction_NS_24const_host_device_scalarIT2_EEPKiS8_PKS5_SA_S6_PS5_21rocsparse_index_base_b
	.p2align	8
	.type	_ZN9rocsparseL19gebsrmvn_2xn_kernelILj128ELj16ELj16E21rocsparse_complex_numIfEEEvi20rocsparse_direction_NS_24const_host_device_scalarIT2_EEPKiS8_PKS5_SA_S6_PS5_21rocsparse_index_base_b,@function
_ZN9rocsparseL19gebsrmvn_2xn_kernelILj128ELj16ELj16E21rocsparse_complex_numIfEEEvi20rocsparse_direction_NS_24const_host_device_scalarIT2_EEPKiS8_PKS5_SA_S6_PS5_21rocsparse_index_base_b: ; @_ZN9rocsparseL19gebsrmvn_2xn_kernelILj128ELj16ELj16E21rocsparse_complex_numIfEEEvi20rocsparse_direction_NS_24const_host_device_scalarIT2_EEPKiS8_PKS5_SA_S6_PS5_21rocsparse_index_base_b
; %bb.0:
	s_clause 0x2
	s_load_b64 s[12:13], s[0:1], 0x40
	s_load_b64 s[2:3], s[0:1], 0x8
	;; [unrolled: 1-line block ×3, first 2 shown]
	v_mov_b32_e32 v1, 0
	s_add_nc_u64 s[6:7], s[0:1], 8
	s_add_nc_u64 s[8:9], s[0:1], 48
	s_wait_kmcnt 0x0
	s_bitcmp1_b32 s13, 0
	s_cselect_b32 s3, s7, s3
	s_cselect_b32 s2, s6, s2
	;; [unrolled: 1-line block ×4, first 2 shown]
	s_clause 0x1
	flat_load_b64 v[2:3], v1, s[2:3]
	flat_load_b64 v[4:5], v1, s[4:5]
	s_wait_loadcnt_dscnt 0x101
	v_cmp_eq_f32_e32 vcc_lo, 0, v2
	v_cmp_eq_f32_e64 s2, 0, v3
	s_wait_loadcnt_dscnt 0x0
	v_cmp_eq_f32_e64 s3, 1.0, v4
	v_cmp_eq_f32_e64 s4, 0, v5
	s_and_b32 s2, vcc_lo, s2
	s_and_b32 s3, s3, s4
	s_delay_alu instid0(SALU_CYCLE_1) | instskip(NEXT) | instid1(SALU_CYCLE_1)
	s_and_b32 s2, s2, s3
	s_xor_b32 s2, s2, -1
	s_delay_alu instid0(SALU_CYCLE_1)
	s_and_saveexec_b32 s3, s2
	s_cbranch_execz .LBB224_19
; %bb.1:
	s_load_b64 s[2:3], s[0:1], 0x0
	s_bfe_u32 s4, ttmp6, 0x4000c
	s_and_b32 s5, ttmp6, 15
	s_add_co_i32 s4, s4, 1
	s_getreg_b32 s6, hwreg(HW_REG_IB_STS2, 6, 4)
	s_mul_i32 s4, ttmp9, s4
	v_lshrrev_b32_e32 v1, 4, v0
	s_add_co_i32 s5, s5, s4
	s_cmp_eq_u32 s6, 0
	s_cselect_b32 s4, ttmp9, s5
	s_delay_alu instid0(VALU_DEP_1) | instid1(SALU_CYCLE_1)
	v_lshl_or_b32 v6, s4, 3, v1
	s_wait_kmcnt 0x0
	s_delay_alu instid0(VALU_DEP_1)
	v_cmp_gt_i32_e32 vcc_lo, s2, v6
	s_and_b32 exec_lo, exec_lo, vcc_lo
	s_cbranch_execz .LBB224_19
; %bb.2:
	s_load_b256 s[4:11], s[0:1], 0x10
	v_ashrrev_i32_e32 v7, 31, v6
	s_cmp_lg_u32 s3, 0
	s_wait_kmcnt 0x0
	s_delay_alu instid0(VALU_DEP_1)
	v_lshl_add_u64 v[8:9], v[6:7], 2, s[4:5]
	v_and_b32_e32 v7, 15, v0
	global_load_b64 v[8:9], v[8:9], off
	s_wait_loadcnt 0x0
	v_subrev_nc_u32_e32 v0, s12, v8
	v_subrev_nc_u32_e32 v12, s12, v9
	s_delay_alu instid0(VALU_DEP_2) | instskip(NEXT) | instid1(VALU_DEP_1)
	v_add_nc_u32_e32 v13, v0, v7
	v_cmp_lt_i32_e64 s2, v13, v12
	s_cbranch_scc0 .LBB224_8
; %bb.3:
	v_mov_b32_e32 v9, 0
	s_delay_alu instid0(VALU_DEP_1)
	v_dual_mov_b32 v8, v9 :: v_dual_mov_b32 v1, v9
	v_mov_b32_e32 v0, v9
	s_and_saveexec_b32 s3, s2
	s_cbranch_execz .LBB224_7
; %bb.4:
	v_dual_mov_b32 v11, 0 :: v_dual_lshlrev_b32 v10, 5, v13
	v_mov_b32_e32 v14, v13
	s_mov_b32 s4, 0
	s_delay_alu instid0(VALU_DEP_2)
	v_dual_mov_b32 v0, v11 :: v_dual_mov_b32 v1, v11
	v_dual_mov_b32 v8, v11 :: v_dual_mov_b32 v9, v11
.LBB224_5:                              ; =>This Inner Loop Header: Depth=1
	global_load_b32 v15, v14, s[6:7] scale_offset
	v_lshl_add_u64 v[96:97], v[10:11], 3, s[8:9]
	s_clause 0x3
	global_load_b128 v[16:19], v[96:97], off offset:48
	global_load_b128 v[20:23], v[96:97], off offset:32
	;; [unrolled: 1-line block ×3, first 2 shown]
	global_load_b128 v[28:31], v[96:97], off
	s_wait_xcnt 0x4
	v_add_nc_u32_e32 v14, 16, v14
	v_add_nc_u32_e32 v10, 0x200, v10
	s_delay_alu instid0(VALU_DEP_2)
	v_cmp_ge_i32_e32 vcc_lo, v14, v12
	s_or_b32 s4, vcc_lo, s4
	s_wait_loadcnt 0x4
	v_subrev_nc_u32_e32 v15, s12, v15
	s_wait_loadcnt 0x2
	v_dual_mov_b32 v33, v11 :: v_dual_mov_b32 v101, v22
	s_delay_alu instid0(VALU_DEP_2) | instskip(SKIP_3) | instid1(VALU_DEP_3)
	v_lshlrev_b32_e32 v32, 4, v15
	s_wait_loadcnt 0x0
	v_xor_b32_e32 v92, 0x80000000, v31
	v_xor_b32_e32 v100, 0x80000000, v23
	v_lshl_add_u64 v[98:99], v[32:33], 3, s[10:11]
	s_clause 0x1
	global_load_b128 v[32:35], v[98:99], off
	global_load_b128 v[36:39], v[98:99], off offset:16
	s_clause 0x1
	global_load_b128 v[40:43], v[96:97], off offset:64
	global_load_b128 v[44:47], v[96:97], off offset:80
	;; [unrolled: 1-line block ×5, first 2 shown]
	s_clause 0x2
	global_load_b128 v[60:63], v[96:97], off offset:112
	global_load_b128 v[64:67], v[96:97], off offset:128
	global_load_b128 v[68:71], v[96:97], off offset:144
	global_load_b128 v[72:75], v[98:99], off offset:64
	s_clause 0x1
	global_load_b128 v[76:79], v[96:97], off offset:160
	global_load_b128 v[80:83], v[96:97], off offset:176
	;; [unrolled: 1-line block ×4, first 2 shown]
	v_mov_b32_e32 v93, v30
	s_wait_loadcnt 0xe
	v_pk_fma_f32 v[8:9], v[28:29], v[32:33], v[8:9] op_sel_hi:[1,0,1]
	v_pk_fma_f32 v[0:1], v[30:31], v[32:33], v[0:1] op_sel_hi:[1,0,1]
	s_delay_alu instid0(VALU_DEP_2)
	v_pk_fma_f32 v[8:9], v[28:29], v[32:33], v[8:9] op_sel:[1,1,0] op_sel_hi:[0,1,1] neg_lo:[1,0,0]
	global_load_b128 v[28:31], v[98:99], off offset:96
	v_pk_fma_f32 v[0:1], v[92:93], v[32:33], v[0:1] op_sel:[0,1,0]
	global_load_b128 v[92:95], v[96:97], off offset:208
	v_mov_b32_e32 v32, v35
	v_pk_fma_f32 v[8:9], v[24:25], v[34:35], v[8:9] op_sel_hi:[1,0,1]
	v_pk_fma_f32 v[0:1], v[26:27], v[34:35], v[0:1] op_sel_hi:[1,0,1]
	v_xor_b32_e32 v34, 0x80000000, v27
	v_mov_b32_e32 v35, v26
	s_delay_alu instid0(VALU_DEP_4)
	v_pk_fma_f32 v[8:9], v[24:25], v[32:33], v[8:9] op_sel:[1,0,0] op_sel_hi:[0,0,1] neg_lo:[1,0,0]
	global_load_b128 v[24:27], v[96:97], off offset:224
	v_pk_fma_f32 v[0:1], v[34:35], v[32:33], v[0:1] op_sel_hi:[1,0,1]
	global_load_b128 v[32:35], v[98:99], off offset:112
	s_wait_loadcnt 0x11
	v_pk_fma_f32 v[8:9], v[20:21], v[36:37], v[8:9] op_sel_hi:[1,0,1]
	v_pk_fma_f32 v[0:1], v[22:23], v[36:37], v[0:1] op_sel_hi:[1,0,1]
	s_delay_alu instid0(VALU_DEP_2)
	v_pk_fma_f32 v[8:9], v[20:21], v[36:37], v[8:9] op_sel:[1,1,0] op_sel_hi:[0,1,1] neg_lo:[1,0,0]
	global_load_b128 v[20:23], v[96:97], off offset:240
	s_wait_xcnt 0x0
	v_mov_b32_e32 v96, v39
	v_pk_fma_f32 v[0:1], v[100:101], v[36:37], v[0:1] op_sel:[0,1,0]
	v_xor_b32_e32 v36, 0x80000000, v19
	v_mov_b32_e32 v37, v18
	v_pk_fma_f32 v[8:9], v[16:17], v[38:39], v[8:9] op_sel_hi:[1,0,1]
	s_delay_alu instid0(VALU_DEP_4) | instskip(SKIP_2) | instid1(VALU_DEP_3)
	v_pk_fma_f32 v[0:1], v[18:19], v[38:39], v[0:1] op_sel_hi:[1,0,1]
	s_wait_loadcnt 0xf
	v_mov_b32_e32 v18, v51
	v_pk_fma_f32 v[8:9], v[16:17], v[96:97], v[8:9] op_sel:[1,0,0] op_sel_hi:[0,0,1] neg_lo:[1,0,0]
	v_xor_b32_e32 v16, 0x80000000, v43
	v_pk_fma_f32 v[0:1], v[36:37], v[96:97], v[0:1] op_sel_hi:[1,0,1]
	v_mov_b32_e32 v17, v42
	s_delay_alu instid0(VALU_DEP_4) | instskip(NEXT) | instid1(VALU_DEP_3)
	v_pk_fma_f32 v[8:9], v[40:41], v[48:49], v[8:9] op_sel_hi:[1,0,1]
	v_pk_fma_f32 v[0:1], v[42:43], v[48:49], v[0:1] op_sel_hi:[1,0,1]
	s_delay_alu instid0(VALU_DEP_2) | instskip(NEXT) | instid1(VALU_DEP_2)
	v_pk_fma_f32 v[8:9], v[40:41], v[48:49], v[8:9] op_sel:[1,1,0] op_sel_hi:[0,1,1] neg_lo:[1,0,0]
	v_pk_fma_f32 v[0:1], v[16:17], v[48:49], v[0:1] op_sel:[0,1,0]
	v_xor_b32_e32 v16, 0x80000000, v47
	v_mov_b32_e32 v17, v46
	s_delay_alu instid0(VALU_DEP_4) | instskip(NEXT) | instid1(VALU_DEP_4)
	v_pk_fma_f32 v[8:9], v[44:45], v[50:51], v[8:9] op_sel_hi:[1,0,1]
	v_pk_fma_f32 v[0:1], v[46:47], v[50:51], v[0:1] op_sel_hi:[1,0,1]
	s_delay_alu instid0(VALU_DEP_2) | instskip(NEXT) | instid1(VALU_DEP_2)
	v_pk_fma_f32 v[8:9], v[44:45], v[18:19], v[8:9] op_sel:[1,0,0] op_sel_hi:[0,0,1] neg_lo:[1,0,0]
	v_pk_fma_f32 v[0:1], v[16:17], v[18:19], v[0:1] op_sel_hi:[1,0,1]
	s_wait_loadcnt 0xe
	v_xor_b32_e32 v16, 0x80000000, v55
	v_mov_b32_e32 v17, v54
	s_wait_loadcnt 0xd
	v_pk_fma_f32 v[8:9], v[52:53], v[56:57], v[8:9] op_sel_hi:[1,0,1]
	v_mov_b32_e32 v18, v59
	v_pk_fma_f32 v[0:1], v[54:55], v[56:57], v[0:1] op_sel_hi:[1,0,1]
	s_delay_alu instid0(VALU_DEP_3) | instskip(NEXT) | instid1(VALU_DEP_2)
	v_pk_fma_f32 v[8:9], v[52:53], v[56:57], v[8:9] op_sel:[1,1,0] op_sel_hi:[0,1,1] neg_lo:[1,0,0]
	v_pk_fma_f32 v[0:1], v[16:17], v[56:57], v[0:1] op_sel:[0,1,0]
	s_wait_loadcnt 0xc
	v_xor_b32_e32 v16, 0x80000000, v63
	v_mov_b32_e32 v17, v62
	v_pk_fma_f32 v[8:9], v[60:61], v[58:59], v[8:9] op_sel_hi:[1,0,1]
	v_pk_fma_f32 v[0:1], v[62:63], v[58:59], v[0:1] op_sel_hi:[1,0,1]
	s_delay_alu instid0(VALU_DEP_2) | instskip(NEXT) | instid1(VALU_DEP_2)
	v_pk_fma_f32 v[8:9], v[60:61], v[18:19], v[8:9] op_sel:[1,0,0] op_sel_hi:[0,0,1] neg_lo:[1,0,0]
	v_pk_fma_f32 v[0:1], v[16:17], v[18:19], v[0:1] op_sel_hi:[1,0,1]
	s_wait_loadcnt 0xb
	v_xor_b32_e32 v16, 0x80000000, v67
	v_mov_b32_e32 v17, v66
	s_wait_loadcnt 0x9
	v_pk_fma_f32 v[8:9], v[64:65], v[72:73], v[8:9] op_sel_hi:[1,0,1]
	v_mov_b32_e32 v18, v75
	v_pk_fma_f32 v[0:1], v[66:67], v[72:73], v[0:1] op_sel_hi:[1,0,1]
	s_delay_alu instid0(VALU_DEP_3) | instskip(NEXT) | instid1(VALU_DEP_2)
	v_pk_fma_f32 v[8:9], v[64:65], v[72:73], v[8:9] op_sel:[1,1,0] op_sel_hi:[0,1,1] neg_lo:[1,0,0]
	v_pk_fma_f32 v[0:1], v[16:17], v[72:73], v[0:1] op_sel:[0,1,0]
	v_xor_b32_e32 v16, 0x80000000, v71
	v_mov_b32_e32 v17, v70
	s_delay_alu instid0(VALU_DEP_4) | instskip(NEXT) | instid1(VALU_DEP_4)
	v_pk_fma_f32 v[8:9], v[68:69], v[74:75], v[8:9] op_sel_hi:[1,0,1]
	v_pk_fma_f32 v[0:1], v[70:71], v[74:75], v[0:1] op_sel_hi:[1,0,1]
	s_delay_alu instid0(VALU_DEP_2) | instskip(NEXT) | instid1(VALU_DEP_2)
	v_pk_fma_f32 v[8:9], v[68:69], v[18:19], v[8:9] op_sel:[1,0,0] op_sel_hi:[0,0,1] neg_lo:[1,0,0]
	v_pk_fma_f32 v[0:1], v[16:17], v[18:19], v[0:1] op_sel_hi:[1,0,1]
	s_wait_loadcnt 0x8
	v_xor_b32_e32 v16, 0x80000000, v79
	v_mov_b32_e32 v17, v78
	s_wait_loadcnt 0x6
	v_pk_fma_f32 v[8:9], v[76:77], v[84:85], v[8:9] op_sel_hi:[1,0,1]
	v_mov_b32_e32 v18, v87
	v_pk_fma_f32 v[0:1], v[78:79], v[84:85], v[0:1] op_sel_hi:[1,0,1]
	s_delay_alu instid0(VALU_DEP_3) | instskip(NEXT) | instid1(VALU_DEP_2)
	v_pk_fma_f32 v[8:9], v[76:77], v[84:85], v[8:9] op_sel:[1,1,0] op_sel_hi:[0,1,1] neg_lo:[1,0,0]
	v_pk_fma_f32 v[0:1], v[16:17], v[84:85], v[0:1] op_sel:[0,1,0]
	v_xor_b32_e32 v16, 0x80000000, v83
	v_mov_b32_e32 v17, v82
	s_delay_alu instid0(VALU_DEP_4) | instskip(NEXT) | instid1(VALU_DEP_4)
	v_pk_fma_f32 v[8:9], v[80:81], v[86:87], v[8:9] op_sel_hi:[1,0,1]
	v_pk_fma_f32 v[0:1], v[82:83], v[86:87], v[0:1] op_sel_hi:[1,0,1]
	s_delay_alu instid0(VALU_DEP_2) | instskip(NEXT) | instid1(VALU_DEP_2)
	v_pk_fma_f32 v[8:9], v[80:81], v[18:19], v[8:9] op_sel:[1,0,0] op_sel_hi:[0,0,1] neg_lo:[1,0,0]
	v_pk_fma_f32 v[0:1], v[16:17], v[18:19], v[0:1] op_sel_hi:[1,0,1]
	s_wait_loadcnt 0x5
	v_xor_b32_e32 v16, 0x80000000, v91
	v_mov_b32_e32 v17, v90
	s_wait_loadcnt 0x4
	v_pk_fma_f32 v[8:9], v[88:89], v[28:29], v[8:9] op_sel_hi:[1,0,1]
	v_pk_fma_f32 v[0:1], v[90:91], v[28:29], v[0:1] op_sel_hi:[1,0,1]
	v_mov_b32_e32 v18, v31
	s_delay_alu instid0(VALU_DEP_3) | instskip(NEXT) | instid1(VALU_DEP_3)
	v_pk_fma_f32 v[8:9], v[88:89], v[28:29], v[8:9] op_sel:[1,1,0] op_sel_hi:[0,1,1] neg_lo:[1,0,0]
	v_pk_fma_f32 v[0:1], v[16:17], v[28:29], v[0:1] op_sel:[0,1,0]
	s_wait_loadcnt 0x3
	v_xor_b32_e32 v16, 0x80000000, v95
	v_mov_b32_e32 v17, v94
	v_pk_fma_f32 v[8:9], v[92:93], v[30:31], v[8:9] op_sel_hi:[1,0,1]
	v_pk_fma_f32 v[0:1], v[94:95], v[30:31], v[0:1] op_sel_hi:[1,0,1]
	s_delay_alu instid0(VALU_DEP_2) | instskip(NEXT) | instid1(VALU_DEP_2)
	v_pk_fma_f32 v[8:9], v[92:93], v[18:19], v[8:9] op_sel:[1,0,0] op_sel_hi:[0,0,1] neg_lo:[1,0,0]
	v_pk_fma_f32 v[0:1], v[16:17], v[18:19], v[0:1] op_sel_hi:[1,0,1]
	s_wait_loadcnt 0x2
	v_xor_b32_e32 v16, 0x80000000, v27
	s_wait_loadcnt 0x1
	v_dual_mov_b32 v17, v26 :: v_dual_mov_b32 v18, v35
	v_pk_fma_f32 v[8:9], v[24:25], v[32:33], v[8:9] op_sel_hi:[1,0,1]
	v_pk_fma_f32 v[0:1], v[26:27], v[32:33], v[0:1] op_sel_hi:[1,0,1]
	s_delay_alu instid0(VALU_DEP_2) | instskip(NEXT) | instid1(VALU_DEP_2)
	v_pk_fma_f32 v[8:9], v[24:25], v[32:33], v[8:9] op_sel:[1,1,0] op_sel_hi:[0,1,1] neg_lo:[1,0,0]
	v_pk_fma_f32 v[0:1], v[16:17], v[32:33], v[0:1] op_sel:[0,1,0]
	s_wait_loadcnt 0x0
	v_xor_b32_e32 v16, 0x80000000, v23
	v_mov_b32_e32 v17, v22
	v_pk_fma_f32 v[8:9], v[20:21], v[34:35], v[8:9] op_sel_hi:[1,0,1]
	v_pk_fma_f32 v[0:1], v[22:23], v[34:35], v[0:1] op_sel_hi:[1,0,1]
	s_delay_alu instid0(VALU_DEP_2) | instskip(NEXT) | instid1(VALU_DEP_2)
	v_pk_fma_f32 v[8:9], v[20:21], v[18:19], v[8:9] op_sel:[1,0,0] op_sel_hi:[0,0,1] neg_lo:[1,0,0]
	v_pk_fma_f32 v[0:1], v[16:17], v[18:19], v[0:1] op_sel_hi:[1,0,1]
	s_and_not1_b32 exec_lo, exec_lo, s4
	s_cbranch_execnz .LBB224_5
; %bb.6:
	s_or_b32 exec_lo, exec_lo, s4
.LBB224_7:
	s_delay_alu instid0(SALU_CYCLE_1)
	s_or_b32 exec_lo, exec_lo, s3
	s_cbranch_execz .LBB224_9
	s_branch .LBB224_14
.LBB224_8:
                                        ; implicit-def: $vgpr9
                                        ; implicit-def: $vgpr1
.LBB224_9:
	v_mov_b32_e32 v9, 0
	s_delay_alu instid0(VALU_DEP_1)
	v_dual_mov_b32 v8, v9 :: v_dual_mov_b32 v1, v9
	v_mov_b32_e32 v0, v9
	s_and_saveexec_b32 s3, s2
	s_cbranch_execz .LBB224_13
; %bb.10:
	v_dual_mov_b32 v11, 0 :: v_dual_lshlrev_b32 v10, 5, v13
	s_mov_b32 s2, 0
	s_delay_alu instid0(VALU_DEP_1)
	v_dual_mov_b32 v0, v11 :: v_dual_mov_b32 v1, v11
	v_dual_mov_b32 v8, v11 :: v_dual_mov_b32 v9, v11
.LBB224_11:                             ; =>This Inner Loop Header: Depth=1
	global_load_b32 v66, v13, s[6:7] scale_offset
	v_lshl_add_u64 v[74:75], v[10:11], 3, s[8:9]
	v_add_nc_u32_e32 v10, 0x200, v10
	s_clause 0xc
	global_load_b128 v[14:17], v[74:75], off
	global_load_b128 v[18:21], v[74:75], off offset:128
	global_load_b128 v[22:25], v[74:75], off offset:144
	;; [unrolled: 1-line block ×12, first 2 shown]
	s_wait_xcnt 0xd
	v_add_nc_u32_e32 v13, 16, v13
	s_delay_alu instid0(VALU_DEP_1)
	v_cmp_ge_i32_e32 vcc_lo, v13, v12
	s_or_b32 s2, vcc_lo, s2
	s_wait_loadcnt 0xc
	v_xor_b32_e32 v76, 0x80000000, v17
	s_wait_loadcnt 0xb
	v_dual_mov_b32 v77, v16 :: v_dual_mov_b32 v79, v20
	v_xor_b32_e32 v78, 0x80000000, v21
	s_wait_loadcnt 0x9
	v_xor_b32_e32 v82, 0x80000000, v29
	v_dual_mov_b32 v83, v28 :: v_dual_mov_b32 v85, v24
	v_subrev_nc_u32_e32 v66, s12, v66
	v_mov_b32_e32 v67, v11
	v_xor_b32_e32 v84, 0x80000000, v25
	s_delay_alu instid0(VALU_DEP_3) | instskip(NEXT) | instid1(VALU_DEP_1)
	v_lshlrev_b32_e32 v66, 4, v66
	v_lshl_add_u64 v[80:81], v[66:67], 3, s[10:11]
	s_clause 0x1
	global_load_b128 v[66:69], v[80:81], off
	global_load_b128 v[70:73], v[80:81], off offset:16
	s_wait_loadcnt 0x1
	v_pk_fma_f32 v[8:9], v[14:15], v[66:67], v[8:9] op_sel_hi:[1,0,1]
	v_pk_fma_f32 v[0:1], v[18:19], v[66:67], v[0:1] op_sel_hi:[1,0,1]
	s_delay_alu instid0(VALU_DEP_2) | instskip(NEXT) | instid1(VALU_DEP_2)
	v_pk_fma_f32 v[8:9], v[14:15], v[66:67], v[8:9] op_sel:[1,1,0] op_sel_hi:[0,1,1] neg_lo:[1,0,0]
	v_pk_fma_f32 v[0:1], v[18:19], v[66:67], v[0:1] op_sel:[1,1,0] op_sel_hi:[0,1,1] neg_lo:[1,0,0]
	v_mov_b32_e32 v66, v69
	s_delay_alu instid0(VALU_DEP_3)
	v_pk_fma_f32 v[8:9], v[16:17], v[68:69], v[8:9] op_sel_hi:[1,0,1]
	global_load_b128 v[14:17], v[80:81], off offset:32
	v_pk_fma_f32 v[0:1], v[20:21], v[68:69], v[0:1] op_sel_hi:[1,0,1]
	global_load_b128 v[18:21], v[80:81], off offset:48
	v_pk_fma_f32 v[8:9], v[76:77], v[66:67], v[8:9] op_sel_hi:[1,0,1]
	s_wait_loadcnt 0x2
	v_mov_b32_e32 v76, v73
	v_pk_fma_f32 v[0:1], v[78:79], v[66:67], v[0:1] op_sel_hi:[1,0,1]
	global_load_b128 v[66:69], v[80:81], off offset:80
	v_xor_b32_e32 v78, 0x80000000, v37
	v_pk_fma_f32 v[8:9], v[26:27], v[70:71], v[8:9] op_sel_hi:[1,0,1]
	v_mov_b32_e32 v79, v36
	v_pk_fma_f32 v[0:1], v[22:23], v[70:71], v[0:1] op_sel_hi:[1,0,1]
	s_delay_alu instid0(VALU_DEP_3) | instskip(NEXT) | instid1(VALU_DEP_2)
	v_pk_fma_f32 v[8:9], v[26:27], v[70:71], v[8:9] op_sel:[1,1,0] op_sel_hi:[0,1,1] neg_lo:[1,0,0]
	v_pk_fma_f32 v[0:1], v[22:23], v[70:71], v[0:1] op_sel:[1,1,0] op_sel_hi:[0,1,1] neg_lo:[1,0,0]
	s_delay_alu instid0(VALU_DEP_2)
	v_pk_fma_f32 v[8:9], v[28:29], v[72:73], v[8:9] op_sel_hi:[1,0,1]
	global_load_b128 v[26:29], v[80:81], off offset:64
	v_pk_fma_f32 v[0:1], v[24:25], v[72:73], v[0:1] op_sel_hi:[1,0,1]
	s_clause 0x1
	global_load_b128 v[22:25], v[74:75], off offset:96
	global_load_b128 v[70:73], v[74:75], off offset:240
	v_pk_fma_f32 v[8:9], v[82:83], v[76:77], v[8:9] op_sel_hi:[1,0,1]
	v_xor_b32_e32 v82, 0x80000000, v45
	v_pk_fma_f32 v[0:1], v[84:85], v[76:77], v[0:1] op_sel_hi:[1,0,1]
	global_load_b128 v[74:77], v[74:75], off offset:224
	v_mov_b32_e32 v83, v44
	s_wait_loadcnt 0x6
	v_pk_fma_f32 v[8:9], v[34:35], v[14:15], v[8:9] op_sel_hi:[1,0,1]
	v_pk_fma_f32 v[0:1], v[42:43], v[14:15], v[0:1] op_sel_hi:[1,0,1]
	s_delay_alu instid0(VALU_DEP_2) | instskip(NEXT) | instid1(VALU_DEP_2)
	v_pk_fma_f32 v[8:9], v[34:35], v[14:15], v[8:9] op_sel:[1,1,0] op_sel_hi:[0,1,1] neg_lo:[1,0,0]
	v_pk_fma_f32 v[0:1], v[42:43], v[14:15], v[0:1] op_sel:[1,1,0] op_sel_hi:[0,1,1] neg_lo:[1,0,0]
	v_mov_b32_e32 v14, v17
	s_delay_alu instid0(VALU_DEP_3) | instskip(NEXT) | instid1(VALU_DEP_3)
	v_pk_fma_f32 v[8:9], v[36:37], v[16:17], v[8:9] op_sel_hi:[1,0,1]
	v_pk_fma_f32 v[0:1], v[44:45], v[16:17], v[0:1] op_sel_hi:[1,0,1]
	s_clause 0x1
	global_load_b128 v[34:37], v[80:81], off offset:96
	global_load_b128 v[42:45], v[80:81], off offset:112
	v_xor_b32_e32 v16, 0x80000000, v41
	v_mov_b32_e32 v17, v40
	v_pk_fma_f32 v[8:9], v[78:79], v[14:15], v[8:9] op_sel_hi:[1,0,1]
	v_pk_fma_f32 v[0:1], v[82:83], v[14:15], v[0:1] op_sel_hi:[1,0,1]
	v_xor_b32_e32 v14, 0x80000000, v33
	v_mov_b32_e32 v15, v32
	s_wait_loadcnt 0x7
	v_pk_fma_f32 v[8:9], v[30:31], v[18:19], v[8:9] op_sel_hi:[1,0,1]
	v_pk_fma_f32 v[0:1], v[38:39], v[18:19], v[0:1] op_sel_hi:[1,0,1]
	s_delay_alu instid0(VALU_DEP_2) | instskip(NEXT) | instid1(VALU_DEP_2)
	v_pk_fma_f32 v[8:9], v[30:31], v[18:19], v[8:9] op_sel:[1,1,0] op_sel_hi:[0,1,1] neg_lo:[1,0,0]
	v_pk_fma_f32 v[0:1], v[38:39], v[18:19], v[0:1] op_sel:[1,1,0] op_sel_hi:[0,1,1] neg_lo:[1,0,0]
	v_mov_b32_e32 v18, v21
	s_delay_alu instid0(VALU_DEP_3) | instskip(NEXT) | instid1(VALU_DEP_3)
	v_pk_fma_f32 v[8:9], v[32:33], v[20:21], v[8:9] op_sel_hi:[1,0,1]
	v_pk_fma_f32 v[0:1], v[40:41], v[20:21], v[0:1] op_sel_hi:[1,0,1]
	s_delay_alu instid0(VALU_DEP_2) | instskip(NEXT) | instid1(VALU_DEP_2)
	v_pk_fma_f32 v[8:9], v[14:15], v[18:19], v[8:9] op_sel_hi:[1,0,1]
	v_pk_fma_f32 v[0:1], v[16:17], v[18:19], v[0:1] op_sel_hi:[1,0,1]
	v_xor_b32_e32 v14, 0x80000000, v53
	v_dual_mov_b32 v15, v52 :: v_dual_mov_b32 v17, v60
	s_wait_loadcnt 0x5
	v_pk_fma_f32 v[8:9], v[50:51], v[26:27], v[8:9] op_sel_hi:[1,0,1]
	v_pk_fma_f32 v[0:1], v[58:59], v[26:27], v[0:1] op_sel_hi:[1,0,1]
	v_xor_b32_e32 v16, 0x80000000, v61
	v_mov_b32_e32 v18, v29
	s_delay_alu instid0(VALU_DEP_4) | instskip(NEXT) | instid1(VALU_DEP_4)
	v_pk_fma_f32 v[8:9], v[50:51], v[26:27], v[8:9] op_sel:[1,1,0] op_sel_hi:[0,1,1] neg_lo:[1,0,0]
	v_pk_fma_f32 v[0:1], v[58:59], v[26:27], v[0:1] op_sel:[1,1,0] op_sel_hi:[0,1,1] neg_lo:[1,0,0]
	s_delay_alu instid0(VALU_DEP_2) | instskip(NEXT) | instid1(VALU_DEP_2)
	v_pk_fma_f32 v[8:9], v[52:53], v[28:29], v[8:9] op_sel_hi:[1,0,1]
	v_pk_fma_f32 v[0:1], v[60:61], v[28:29], v[0:1] op_sel_hi:[1,0,1]
	s_delay_alu instid0(VALU_DEP_2) | instskip(SKIP_1) | instid1(VALU_DEP_3)
	v_pk_fma_f32 v[8:9], v[14:15], v[18:19], v[8:9] op_sel_hi:[1,0,1]
	v_mov_b32_e32 v15, v48
	v_pk_fma_f32 v[0:1], v[16:17], v[18:19], v[0:1] op_sel_hi:[1,0,1]
	v_xor_b32_e32 v14, 0x80000000, v49
	v_xor_b32_e32 v16, 0x80000000, v57
	v_pk_fma_f32 v[8:9], v[46:47], v[66:67], v[8:9] op_sel_hi:[1,0,1]
	v_dual_mov_b32 v17, v56 :: v_dual_mov_b32 v18, v69
	v_pk_fma_f32 v[0:1], v[54:55], v[66:67], v[0:1] op_sel_hi:[1,0,1]
	s_delay_alu instid0(VALU_DEP_3) | instskip(NEXT) | instid1(VALU_DEP_2)
	v_pk_fma_f32 v[8:9], v[46:47], v[66:67], v[8:9] op_sel:[1,1,0] op_sel_hi:[0,1,1] neg_lo:[1,0,0]
	v_pk_fma_f32 v[0:1], v[54:55], v[66:67], v[0:1] op_sel:[1,1,0] op_sel_hi:[0,1,1] neg_lo:[1,0,0]
	s_delay_alu instid0(VALU_DEP_2) | instskip(NEXT) | instid1(VALU_DEP_2)
	v_pk_fma_f32 v[8:9], v[48:49], v[68:69], v[8:9] op_sel_hi:[1,0,1]
	v_pk_fma_f32 v[0:1], v[56:57], v[68:69], v[0:1] op_sel_hi:[1,0,1]
	s_delay_alu instid0(VALU_DEP_2)
	v_pk_fma_f32 v[8:9], v[14:15], v[18:19], v[8:9] op_sel_hi:[1,0,1]
	s_wait_loadcnt 0x4
	v_xor_b32_e32 v14, 0x80000000, v25
	v_mov_b32_e32 v15, v24
	v_pk_fma_f32 v[0:1], v[16:17], v[18:19], v[0:1] op_sel_hi:[1,0,1]
	s_wait_loadcnt 0x2
	v_xor_b32_e32 v16, 0x80000000, v77
	v_mov_b32_e32 v17, v76
	s_wait_loadcnt 0x1
	v_pk_fma_f32 v[8:9], v[22:23], v[34:35], v[8:9] op_sel_hi:[1,0,1]
	v_pk_fma_f32 v[0:1], v[74:75], v[34:35], v[0:1] op_sel_hi:[1,0,1]
	v_mov_b32_e32 v18, v37
	s_delay_alu instid0(VALU_DEP_3) | instskip(NEXT) | instid1(VALU_DEP_3)
	v_pk_fma_f32 v[8:9], v[22:23], v[34:35], v[8:9] op_sel:[1,1,0] op_sel_hi:[0,1,1] neg_lo:[1,0,0]
	v_pk_fma_f32 v[0:1], v[74:75], v[34:35], v[0:1] op_sel:[1,1,0] op_sel_hi:[0,1,1] neg_lo:[1,0,0]
	s_delay_alu instid0(VALU_DEP_2) | instskip(NEXT) | instid1(VALU_DEP_2)
	v_pk_fma_f32 v[8:9], v[24:25], v[36:37], v[8:9] op_sel_hi:[1,0,1]
	v_pk_fma_f32 v[0:1], v[76:77], v[36:37], v[0:1] op_sel_hi:[1,0,1]
	s_delay_alu instid0(VALU_DEP_2) | instskip(NEXT) | instid1(VALU_DEP_2)
	v_pk_fma_f32 v[8:9], v[14:15], v[18:19], v[8:9] op_sel_hi:[1,0,1]
	v_pk_fma_f32 v[0:1], v[16:17], v[18:19], v[0:1] op_sel_hi:[1,0,1]
	v_xor_b32_e32 v14, 0x80000000, v65
	v_dual_mov_b32 v15, v64 :: v_dual_mov_b32 v17, v72
	s_wait_loadcnt 0x0
	v_pk_fma_f32 v[8:9], v[62:63], v[42:43], v[8:9] op_sel_hi:[1,0,1]
	v_pk_fma_f32 v[0:1], v[70:71], v[42:43], v[0:1] op_sel_hi:[1,0,1]
	v_xor_b32_e32 v16, 0x80000000, v73
	v_mov_b32_e32 v18, v45
	s_delay_alu instid0(VALU_DEP_4) | instskip(NEXT) | instid1(VALU_DEP_4)
	v_pk_fma_f32 v[8:9], v[62:63], v[42:43], v[8:9] op_sel:[1,1,0] op_sel_hi:[0,1,1] neg_lo:[1,0,0]
	v_pk_fma_f32 v[0:1], v[70:71], v[42:43], v[0:1] op_sel:[1,1,0] op_sel_hi:[0,1,1] neg_lo:[1,0,0]
	s_delay_alu instid0(VALU_DEP_2) | instskip(NEXT) | instid1(VALU_DEP_2)
	v_pk_fma_f32 v[8:9], v[64:65], v[44:45], v[8:9] op_sel_hi:[1,0,1]
	v_pk_fma_f32 v[0:1], v[72:73], v[44:45], v[0:1] op_sel_hi:[1,0,1]
	s_delay_alu instid0(VALU_DEP_2) | instskip(NEXT) | instid1(VALU_DEP_2)
	v_pk_fma_f32 v[8:9], v[14:15], v[18:19], v[8:9] op_sel_hi:[1,0,1]
	v_pk_fma_f32 v[0:1], v[16:17], v[18:19], v[0:1] op_sel_hi:[1,0,1]
	s_and_not1_b32 exec_lo, exec_lo, s2
	s_cbranch_execnz .LBB224_11
; %bb.12:
	s_or_b32 exec_lo, exec_lo, s2
.LBB224_13:
	s_delay_alu instid0(SALU_CYCLE_1)
	s_or_b32 exec_lo, exec_lo, s3
.LBB224_14:
	v_mbcnt_lo_u32_b32 v10, -1, 0
	s_delay_alu instid0(VALU_DEP_1) | instskip(SKIP_1) | instid1(VALU_DEP_1)
	v_xor_b32_e32 v15, 4, v10
	v_xor_b32_e32 v11, 8, v10
	v_cmp_gt_i32_e32 vcc_lo, 32, v11
	v_cndmask_b32_e32 v11, v10, v11, vcc_lo
	s_delay_alu instid0(VALU_DEP_1)
	v_lshlrev_b32_e32 v11, 2, v11
	ds_bpermute_b32 v13, v11, v9
	s_wait_dscnt 0x0
	v_add_f32_e32 v9, v9, v13
	ds_bpermute_b32 v12, v11, v8
	ds_bpermute_b32 v14, v11, v0
	;; [unrolled: 1-line block ×3, first 2 shown]
	s_wait_dscnt 0x2
	v_add_f32_e32 v8, v8, v12
	s_wait_dscnt 0x0
	v_dual_add_f32 v0, v0, v14 :: v_dual_add_f32 v1, v1, v11
	v_cmp_gt_i32_e32 vcc_lo, 32, v15
	v_cndmask_b32_e32 v15, v10, v15, vcc_lo
	s_delay_alu instid0(VALU_DEP_1)
	v_lshlrev_b32_e32 v15, 2, v15
	ds_bpermute_b32 v11, v15, v8
	ds_bpermute_b32 v12, v15, v9
	;; [unrolled: 1-line block ×4, first 2 shown]
	s_wait_dscnt 0x3
	v_dual_add_f32 v8, v8, v11 :: v_dual_bitop2_b32 v15, 2, v10 bitop3:0x14
	s_delay_alu instid0(VALU_DEP_1)
	v_cmp_gt_i32_e32 vcc_lo, 32, v15
	s_wait_dscnt 0x2
	v_add_f32_e32 v9, v9, v12
	s_wait_dscnt 0x0
	v_dual_add_f32 v12, v1, v14 :: v_dual_add_f32 v11, v0, v13
	v_cndmask_b32_e32 v15, v10, v15, vcc_lo
	s_delay_alu instid0(VALU_DEP_1)
	v_lshlrev_b32_e32 v15, 2, v15
	ds_bpermute_b32 v0, v15, v8
	ds_bpermute_b32 v1, v15, v9
	;; [unrolled: 1-line block ×4, first 2 shown]
	s_wait_dscnt 0x3
	v_dual_add_f32 v0, v8, v0 :: v_dual_bitop2_b32 v15, 1, v10 bitop3:0x14
	s_delay_alu instid0(VALU_DEP_1)
	v_cmp_gt_i32_e32 vcc_lo, 32, v15
	s_wait_dscnt 0x2
	v_dual_add_f32 v8, v9, v1 :: v_dual_cndmask_b32 v10, v10, v15, vcc_lo
	s_wait_dscnt 0x0
	v_dual_add_f32 v1, v11, v13 :: v_dual_add_f32 v9, v12, v14
	v_cmp_eq_u32_e32 vcc_lo, 15, v7
	s_delay_alu instid0(VALU_DEP_3)
	v_lshlrev_b32_e32 v15, 2, v10
	ds_bpermute_b32 v12, v15, v0
	ds_bpermute_b32 v13, v15, v8
	;; [unrolled: 1-line block ×4, first 2 shown]
	s_and_b32 exec_lo, exec_lo, vcc_lo
	s_cbranch_execz .LBB224_19
; %bb.15:
	s_load_b64 s[2:3], s[0:1], 0x38
	v_cmp_eq_f32_e32 vcc_lo, 0, v4
	s_wait_xcnt 0x0
	v_cmp_eq_f32_e64 s0, 0, v5
	s_wait_dscnt 0x3
	v_add_f32_e32 v0, v0, v12
	s_wait_dscnt 0x1
	v_dual_add_f32 v12, v8, v13 :: v_dual_add_f32 v8, v1, v10
	s_wait_dscnt 0x0
	v_add_f32_e32 v10, v9, v11
	s_and_b32 s0, vcc_lo, s0
	s_delay_alu instid0(SALU_CYCLE_1) | instskip(NEXT) | instid1(SALU_CYCLE_1)
	s_and_saveexec_b32 s1, s0
	s_xor_b32 s0, exec_lo, s1
	s_cbranch_execz .LBB224_17
; %bb.16:
	v_xor_b32_e32 v4, 0x80000000, v3
	v_dual_mov_b32 v5, v2 :: v_dual_lshlrev_b32 v6, 1, v6
	s_delay_alu instid0(VALU_DEP_1) | instskip(NEXT) | instid1(VALU_DEP_2)
	v_ashrrev_i32_e32 v7, 31, v6
	v_pk_mul_f32 v[12:13], v[12:13], v[4:5] op_sel_hi:[0,1]
	v_pk_mul_f32 v[4:5], v[10:11], v[4:5] op_sel_hi:[0,1]
                                        ; implicit-def: $vgpr10
	s_wait_kmcnt 0x0
	s_delay_alu instid0(VALU_DEP_3) | instskip(NEXT) | instid1(VALU_DEP_3)
	v_lshl_add_u64 v[6:7], v[6:7], 3, s[2:3]
	v_pk_fma_f32 v[0:1], v[2:3], v[0:1], v[12:13] op_sel_hi:[1,0,1]
	s_delay_alu instid0(VALU_DEP_3)
	v_pk_fma_f32 v[2:3], v[2:3], v[8:9], v[4:5] op_sel_hi:[1,0,1]
                                        ; implicit-def: $vgpr4_vgpr5
                                        ; implicit-def: $vgpr12
                                        ; implicit-def: $vgpr8
	global_store_b128 v[6:7], v[0:3], off
                                        ; implicit-def: $vgpr6
                                        ; implicit-def: $vgpr2_vgpr3
                                        ; implicit-def: $vgpr0
.LBB224_17:
	s_wait_xcnt 0x0
	s_and_not1_saveexec_b32 s0, s0
	s_cbranch_execz .LBB224_19
; %bb.18:
	v_dual_mov_b32 v19, v2 :: v_dual_lshlrev_b32 v6, 1, v6
	v_xor_b32_e32 v18, 0x80000000, v3
	s_delay_alu instid0(VALU_DEP_2) | instskip(NEXT) | instid1(VALU_DEP_2)
	v_ashrrev_i32_e32 v7, 31, v6
	v_pk_mul_f32 v[12:13], v[12:13], v[18:19] op_sel_hi:[0,1]
	v_pk_mul_f32 v[10:11], v[10:11], v[18:19] op_sel_hi:[0,1]
	s_delay_alu instid0(VALU_DEP_2) | instskip(NEXT) | instid1(VALU_DEP_2)
	v_pk_fma_f32 v[0:1], v[2:3], v[0:1], v[12:13] op_sel_hi:[1,0,1]
	v_pk_fma_f32 v[2:3], v[2:3], v[8:9], v[10:11] op_sel_hi:[1,0,1]
	v_mov_b32_e32 v9, v4
	s_wait_kmcnt 0x0
	v_lshl_add_u64 v[6:7], v[6:7], 3, s[2:3]
	v_xor_b32_e32 v8, 0x80000000, v5
	global_load_b128 v[14:17], v[6:7], off
	s_wait_loadcnt 0x0
	v_pk_fma_f32 v[0:1], v[4:5], v[14:15], v[0:1] op_sel_hi:[1,0,1]
	v_pk_fma_f32 v[2:3], v[4:5], v[16:17], v[2:3] op_sel_hi:[1,0,1]
	v_mov_b32_e32 v4, v17
	s_delay_alu instid0(VALU_DEP_3) | instskip(NEXT) | instid1(VALU_DEP_2)
	v_pk_fma_f32 v[0:1], v[8:9], v[14:15], v[0:1] op_sel:[0,1,0]
	v_pk_fma_f32 v[2:3], v[8:9], v[4:5], v[2:3] op_sel_hi:[1,0,1]
	global_store_b128 v[6:7], v[0:3], off
.LBB224_19:
	s_sendmsg sendmsg(MSG_DEALLOC_VGPRS)
	s_endpgm
	.section	.rodata,"a",@progbits
	.p2align	6, 0x0
	.amdhsa_kernel _ZN9rocsparseL19gebsrmvn_2xn_kernelILj128ELj16ELj16E21rocsparse_complex_numIfEEEvi20rocsparse_direction_NS_24const_host_device_scalarIT2_EEPKiS8_PKS5_SA_S6_PS5_21rocsparse_index_base_b
		.amdhsa_group_segment_fixed_size 0
		.amdhsa_private_segment_fixed_size 0
		.amdhsa_kernarg_size 72
		.amdhsa_user_sgpr_count 2
		.amdhsa_user_sgpr_dispatch_ptr 0
		.amdhsa_user_sgpr_queue_ptr 0
		.amdhsa_user_sgpr_kernarg_segment_ptr 1
		.amdhsa_user_sgpr_dispatch_id 0
		.amdhsa_user_sgpr_kernarg_preload_length 0
		.amdhsa_user_sgpr_kernarg_preload_offset 0
		.amdhsa_user_sgpr_private_segment_size 0
		.amdhsa_wavefront_size32 1
		.amdhsa_uses_dynamic_stack 0
		.amdhsa_enable_private_segment 0
		.amdhsa_system_sgpr_workgroup_id_x 1
		.amdhsa_system_sgpr_workgroup_id_y 0
		.amdhsa_system_sgpr_workgroup_id_z 0
		.amdhsa_system_sgpr_workgroup_info 0
		.amdhsa_system_vgpr_workitem_id 0
		.amdhsa_next_free_vgpr 102
		.amdhsa_next_free_sgpr 14
		.amdhsa_named_barrier_count 0
		.amdhsa_reserve_vcc 1
		.amdhsa_float_round_mode_32 0
		.amdhsa_float_round_mode_16_64 0
		.amdhsa_float_denorm_mode_32 3
		.amdhsa_float_denorm_mode_16_64 3
		.amdhsa_fp16_overflow 0
		.amdhsa_memory_ordered 1
		.amdhsa_forward_progress 1
		.amdhsa_inst_pref_size 29
		.amdhsa_round_robin_scheduling 0
		.amdhsa_exception_fp_ieee_invalid_op 0
		.amdhsa_exception_fp_denorm_src 0
		.amdhsa_exception_fp_ieee_div_zero 0
		.amdhsa_exception_fp_ieee_overflow 0
		.amdhsa_exception_fp_ieee_underflow 0
		.amdhsa_exception_fp_ieee_inexact 0
		.amdhsa_exception_int_div_zero 0
	.end_amdhsa_kernel
	.section	.text._ZN9rocsparseL19gebsrmvn_2xn_kernelILj128ELj16ELj16E21rocsparse_complex_numIfEEEvi20rocsparse_direction_NS_24const_host_device_scalarIT2_EEPKiS8_PKS5_SA_S6_PS5_21rocsparse_index_base_b,"axG",@progbits,_ZN9rocsparseL19gebsrmvn_2xn_kernelILj128ELj16ELj16E21rocsparse_complex_numIfEEEvi20rocsparse_direction_NS_24const_host_device_scalarIT2_EEPKiS8_PKS5_SA_S6_PS5_21rocsparse_index_base_b,comdat
.Lfunc_end224:
	.size	_ZN9rocsparseL19gebsrmvn_2xn_kernelILj128ELj16ELj16E21rocsparse_complex_numIfEEEvi20rocsparse_direction_NS_24const_host_device_scalarIT2_EEPKiS8_PKS5_SA_S6_PS5_21rocsparse_index_base_b, .Lfunc_end224-_ZN9rocsparseL19gebsrmvn_2xn_kernelILj128ELj16ELj16E21rocsparse_complex_numIfEEEvi20rocsparse_direction_NS_24const_host_device_scalarIT2_EEPKiS8_PKS5_SA_S6_PS5_21rocsparse_index_base_b
                                        ; -- End function
	.set _ZN9rocsparseL19gebsrmvn_2xn_kernelILj128ELj16ELj16E21rocsparse_complex_numIfEEEvi20rocsparse_direction_NS_24const_host_device_scalarIT2_EEPKiS8_PKS5_SA_S6_PS5_21rocsparse_index_base_b.num_vgpr, 102
	.set _ZN9rocsparseL19gebsrmvn_2xn_kernelILj128ELj16ELj16E21rocsparse_complex_numIfEEEvi20rocsparse_direction_NS_24const_host_device_scalarIT2_EEPKiS8_PKS5_SA_S6_PS5_21rocsparse_index_base_b.num_agpr, 0
	.set _ZN9rocsparseL19gebsrmvn_2xn_kernelILj128ELj16ELj16E21rocsparse_complex_numIfEEEvi20rocsparse_direction_NS_24const_host_device_scalarIT2_EEPKiS8_PKS5_SA_S6_PS5_21rocsparse_index_base_b.numbered_sgpr, 14
	.set _ZN9rocsparseL19gebsrmvn_2xn_kernelILj128ELj16ELj16E21rocsparse_complex_numIfEEEvi20rocsparse_direction_NS_24const_host_device_scalarIT2_EEPKiS8_PKS5_SA_S6_PS5_21rocsparse_index_base_b.num_named_barrier, 0
	.set _ZN9rocsparseL19gebsrmvn_2xn_kernelILj128ELj16ELj16E21rocsparse_complex_numIfEEEvi20rocsparse_direction_NS_24const_host_device_scalarIT2_EEPKiS8_PKS5_SA_S6_PS5_21rocsparse_index_base_b.private_seg_size, 0
	.set _ZN9rocsparseL19gebsrmvn_2xn_kernelILj128ELj16ELj16E21rocsparse_complex_numIfEEEvi20rocsparse_direction_NS_24const_host_device_scalarIT2_EEPKiS8_PKS5_SA_S6_PS5_21rocsparse_index_base_b.uses_vcc, 1
	.set _ZN9rocsparseL19gebsrmvn_2xn_kernelILj128ELj16ELj16E21rocsparse_complex_numIfEEEvi20rocsparse_direction_NS_24const_host_device_scalarIT2_EEPKiS8_PKS5_SA_S6_PS5_21rocsparse_index_base_b.uses_flat_scratch, 1
	.set _ZN9rocsparseL19gebsrmvn_2xn_kernelILj128ELj16ELj16E21rocsparse_complex_numIfEEEvi20rocsparse_direction_NS_24const_host_device_scalarIT2_EEPKiS8_PKS5_SA_S6_PS5_21rocsparse_index_base_b.has_dyn_sized_stack, 0
	.set _ZN9rocsparseL19gebsrmvn_2xn_kernelILj128ELj16ELj16E21rocsparse_complex_numIfEEEvi20rocsparse_direction_NS_24const_host_device_scalarIT2_EEPKiS8_PKS5_SA_S6_PS5_21rocsparse_index_base_b.has_recursion, 0
	.set _ZN9rocsparseL19gebsrmvn_2xn_kernelILj128ELj16ELj16E21rocsparse_complex_numIfEEEvi20rocsparse_direction_NS_24const_host_device_scalarIT2_EEPKiS8_PKS5_SA_S6_PS5_21rocsparse_index_base_b.has_indirect_call, 0
	.section	.AMDGPU.csdata,"",@progbits
; Kernel info:
; codeLenInByte = 3708
; TotalNumSgprs: 16
; NumVgprs: 102
; ScratchSize: 0
; MemoryBound: 0
; FloatMode: 240
; IeeeMode: 1
; LDSByteSize: 0 bytes/workgroup (compile time only)
; SGPRBlocks: 0
; VGPRBlocks: 6
; NumSGPRsForWavesPerEU: 16
; NumVGPRsForWavesPerEU: 102
; NamedBarCnt: 0
; Occupancy: 9
; WaveLimiterHint : 1
; COMPUTE_PGM_RSRC2:SCRATCH_EN: 0
; COMPUTE_PGM_RSRC2:USER_SGPR: 2
; COMPUTE_PGM_RSRC2:TRAP_HANDLER: 0
; COMPUTE_PGM_RSRC2:TGID_X_EN: 1
; COMPUTE_PGM_RSRC2:TGID_Y_EN: 0
; COMPUTE_PGM_RSRC2:TGID_Z_EN: 0
; COMPUTE_PGM_RSRC2:TIDIG_COMP_CNT: 0
	.section	.text._ZN9rocsparseL19gebsrmvn_2xn_kernelILj128ELj16ELj32E21rocsparse_complex_numIfEEEvi20rocsparse_direction_NS_24const_host_device_scalarIT2_EEPKiS8_PKS5_SA_S6_PS5_21rocsparse_index_base_b,"axG",@progbits,_ZN9rocsparseL19gebsrmvn_2xn_kernelILj128ELj16ELj32E21rocsparse_complex_numIfEEEvi20rocsparse_direction_NS_24const_host_device_scalarIT2_EEPKiS8_PKS5_SA_S6_PS5_21rocsparse_index_base_b,comdat
	.globl	_ZN9rocsparseL19gebsrmvn_2xn_kernelILj128ELj16ELj32E21rocsparse_complex_numIfEEEvi20rocsparse_direction_NS_24const_host_device_scalarIT2_EEPKiS8_PKS5_SA_S6_PS5_21rocsparse_index_base_b ; -- Begin function _ZN9rocsparseL19gebsrmvn_2xn_kernelILj128ELj16ELj32E21rocsparse_complex_numIfEEEvi20rocsparse_direction_NS_24const_host_device_scalarIT2_EEPKiS8_PKS5_SA_S6_PS5_21rocsparse_index_base_b
	.p2align	8
	.type	_ZN9rocsparseL19gebsrmvn_2xn_kernelILj128ELj16ELj32E21rocsparse_complex_numIfEEEvi20rocsparse_direction_NS_24const_host_device_scalarIT2_EEPKiS8_PKS5_SA_S6_PS5_21rocsparse_index_base_b,@function
_ZN9rocsparseL19gebsrmvn_2xn_kernelILj128ELj16ELj32E21rocsparse_complex_numIfEEEvi20rocsparse_direction_NS_24const_host_device_scalarIT2_EEPKiS8_PKS5_SA_S6_PS5_21rocsparse_index_base_b: ; @_ZN9rocsparseL19gebsrmvn_2xn_kernelILj128ELj16ELj32E21rocsparse_complex_numIfEEEvi20rocsparse_direction_NS_24const_host_device_scalarIT2_EEPKiS8_PKS5_SA_S6_PS5_21rocsparse_index_base_b
; %bb.0:
	s_clause 0x2
	s_load_b64 s[12:13], s[0:1], 0x40
	s_load_b64 s[2:3], s[0:1], 0x8
	;; [unrolled: 1-line block ×3, first 2 shown]
	v_mov_b32_e32 v1, 0
	s_add_nc_u64 s[6:7], s[0:1], 8
	s_add_nc_u64 s[8:9], s[0:1], 48
	s_wait_kmcnt 0x0
	s_bitcmp1_b32 s13, 0
	s_cselect_b32 s3, s7, s3
	s_cselect_b32 s2, s6, s2
	;; [unrolled: 1-line block ×4, first 2 shown]
	s_clause 0x1
	flat_load_b64 v[2:3], v1, s[2:3]
	flat_load_b64 v[4:5], v1, s[4:5]
	s_wait_loadcnt_dscnt 0x101
	v_cmp_eq_f32_e32 vcc_lo, 0, v2
	v_cmp_eq_f32_e64 s2, 0, v3
	s_wait_loadcnt_dscnt 0x0
	v_cmp_eq_f32_e64 s3, 1.0, v4
	v_cmp_eq_f32_e64 s4, 0, v5
	s_and_b32 s2, vcc_lo, s2
	s_and_b32 s3, s3, s4
	s_delay_alu instid0(SALU_CYCLE_1) | instskip(NEXT) | instid1(SALU_CYCLE_1)
	s_and_b32 s2, s2, s3
	s_xor_b32 s2, s2, -1
	s_delay_alu instid0(SALU_CYCLE_1)
	s_and_saveexec_b32 s3, s2
	s_cbranch_execz .LBB225_19
; %bb.1:
	s_load_b64 s[2:3], s[0:1], 0x0
	s_bfe_u32 s4, ttmp6, 0x4000c
	s_and_b32 s5, ttmp6, 15
	s_add_co_i32 s4, s4, 1
	s_getreg_b32 s6, hwreg(HW_REG_IB_STS2, 6, 4)
	s_mul_i32 s4, ttmp9, s4
	v_lshrrev_b32_e32 v1, 5, v0
	s_add_co_i32 s5, s5, s4
	s_cmp_eq_u32 s6, 0
	s_cselect_b32 s4, ttmp9, s5
	s_delay_alu instid0(VALU_DEP_1) | instid1(SALU_CYCLE_1)
	v_lshl_or_b32 v6, s4, 2, v1
	s_wait_kmcnt 0x0
	s_delay_alu instid0(VALU_DEP_1)
	v_cmp_gt_i32_e32 vcc_lo, s2, v6
	s_and_b32 exec_lo, exec_lo, vcc_lo
	s_cbranch_execz .LBB225_19
; %bb.2:
	s_load_b256 s[4:11], s[0:1], 0x10
	v_ashrrev_i32_e32 v7, 31, v6
	s_cmp_lg_u32 s3, 0
	s_wait_kmcnt 0x0
	s_delay_alu instid0(VALU_DEP_1)
	v_lshl_add_u64 v[8:9], v[6:7], 2, s[4:5]
	v_and_b32_e32 v7, 31, v0
	global_load_b64 v[8:9], v[8:9], off
	s_wait_loadcnt 0x0
	v_subrev_nc_u32_e32 v0, s12, v8
	v_subrev_nc_u32_e32 v12, s12, v9
	s_delay_alu instid0(VALU_DEP_2) | instskip(NEXT) | instid1(VALU_DEP_1)
	v_add_nc_u32_e32 v13, v0, v7
	v_cmp_lt_i32_e64 s2, v13, v12
	s_cbranch_scc0 .LBB225_8
; %bb.3:
	v_mov_b32_e32 v9, 0
	s_delay_alu instid0(VALU_DEP_1)
	v_dual_mov_b32 v8, v9 :: v_dual_mov_b32 v1, v9
	v_mov_b32_e32 v0, v9
	s_and_saveexec_b32 s3, s2
	s_cbranch_execz .LBB225_7
; %bb.4:
	v_dual_mov_b32 v11, 0 :: v_dual_lshlrev_b32 v10, 5, v13
	v_mov_b32_e32 v14, v13
	s_mov_b32 s4, 0
	s_delay_alu instid0(VALU_DEP_2)
	v_dual_mov_b32 v0, v11 :: v_dual_mov_b32 v1, v11
	v_dual_mov_b32 v8, v11 :: v_dual_mov_b32 v9, v11
.LBB225_5:                              ; =>This Inner Loop Header: Depth=1
	global_load_b32 v15, v14, s[6:7] scale_offset
	v_lshl_add_u64 v[96:97], v[10:11], 3, s[8:9]
	s_clause 0x3
	global_load_b128 v[16:19], v[96:97], off offset:48
	global_load_b128 v[20:23], v[96:97], off offset:32
	global_load_b128 v[24:27], v[96:97], off offset:16
	global_load_b128 v[28:31], v[96:97], off
	s_wait_xcnt 0x4
	v_add_nc_u32_e32 v14, 32, v14
	v_add_nc_u32_e32 v10, 0x400, v10
	s_delay_alu instid0(VALU_DEP_2)
	v_cmp_ge_i32_e32 vcc_lo, v14, v12
	s_or_b32 s4, vcc_lo, s4
	s_wait_loadcnt 0x4
	v_subrev_nc_u32_e32 v15, s12, v15
	s_wait_loadcnt 0x2
	v_dual_mov_b32 v33, v11 :: v_dual_mov_b32 v101, v22
	s_delay_alu instid0(VALU_DEP_2) | instskip(SKIP_3) | instid1(VALU_DEP_3)
	v_lshlrev_b32_e32 v32, 4, v15
	s_wait_loadcnt 0x0
	v_xor_b32_e32 v92, 0x80000000, v31
	v_xor_b32_e32 v100, 0x80000000, v23
	v_lshl_add_u64 v[98:99], v[32:33], 3, s[10:11]
	s_clause 0x1
	global_load_b128 v[32:35], v[98:99], off
	global_load_b128 v[36:39], v[98:99], off offset:16
	s_clause 0x1
	global_load_b128 v[40:43], v[96:97], off offset:64
	global_load_b128 v[44:47], v[96:97], off offset:80
	;; [unrolled: 1-line block ×5, first 2 shown]
	s_clause 0x2
	global_load_b128 v[60:63], v[96:97], off offset:112
	global_load_b128 v[64:67], v[96:97], off offset:128
	;; [unrolled: 1-line block ×4, first 2 shown]
	s_clause 0x1
	global_load_b128 v[76:79], v[96:97], off offset:160
	global_load_b128 v[80:83], v[96:97], off offset:176
	;; [unrolled: 1-line block ×4, first 2 shown]
	v_mov_b32_e32 v93, v30
	s_wait_loadcnt 0xe
	v_pk_fma_f32 v[8:9], v[28:29], v[32:33], v[8:9] op_sel_hi:[1,0,1]
	v_pk_fma_f32 v[0:1], v[30:31], v[32:33], v[0:1] op_sel_hi:[1,0,1]
	s_delay_alu instid0(VALU_DEP_2)
	v_pk_fma_f32 v[8:9], v[28:29], v[32:33], v[8:9] op_sel:[1,1,0] op_sel_hi:[0,1,1] neg_lo:[1,0,0]
	global_load_b128 v[28:31], v[98:99], off offset:96
	v_pk_fma_f32 v[0:1], v[92:93], v[32:33], v[0:1] op_sel:[0,1,0]
	global_load_b128 v[92:95], v[96:97], off offset:208
	v_mov_b32_e32 v32, v35
	v_pk_fma_f32 v[8:9], v[24:25], v[34:35], v[8:9] op_sel_hi:[1,0,1]
	v_pk_fma_f32 v[0:1], v[26:27], v[34:35], v[0:1] op_sel_hi:[1,0,1]
	v_xor_b32_e32 v34, 0x80000000, v27
	v_mov_b32_e32 v35, v26
	s_delay_alu instid0(VALU_DEP_4)
	v_pk_fma_f32 v[8:9], v[24:25], v[32:33], v[8:9] op_sel:[1,0,0] op_sel_hi:[0,0,1] neg_lo:[1,0,0]
	global_load_b128 v[24:27], v[96:97], off offset:224
	v_pk_fma_f32 v[0:1], v[34:35], v[32:33], v[0:1] op_sel_hi:[1,0,1]
	global_load_b128 v[32:35], v[98:99], off offset:112
	s_wait_loadcnt 0x11
	v_pk_fma_f32 v[8:9], v[20:21], v[36:37], v[8:9] op_sel_hi:[1,0,1]
	v_pk_fma_f32 v[0:1], v[22:23], v[36:37], v[0:1] op_sel_hi:[1,0,1]
	s_delay_alu instid0(VALU_DEP_2)
	v_pk_fma_f32 v[8:9], v[20:21], v[36:37], v[8:9] op_sel:[1,1,0] op_sel_hi:[0,1,1] neg_lo:[1,0,0]
	global_load_b128 v[20:23], v[96:97], off offset:240
	s_wait_xcnt 0x0
	v_mov_b32_e32 v96, v39
	v_pk_fma_f32 v[0:1], v[100:101], v[36:37], v[0:1] op_sel:[0,1,0]
	v_xor_b32_e32 v36, 0x80000000, v19
	v_mov_b32_e32 v37, v18
	v_pk_fma_f32 v[8:9], v[16:17], v[38:39], v[8:9] op_sel_hi:[1,0,1]
	s_delay_alu instid0(VALU_DEP_4) | instskip(SKIP_2) | instid1(VALU_DEP_3)
	v_pk_fma_f32 v[0:1], v[18:19], v[38:39], v[0:1] op_sel_hi:[1,0,1]
	s_wait_loadcnt 0xf
	v_mov_b32_e32 v18, v51
	v_pk_fma_f32 v[8:9], v[16:17], v[96:97], v[8:9] op_sel:[1,0,0] op_sel_hi:[0,0,1] neg_lo:[1,0,0]
	v_xor_b32_e32 v16, 0x80000000, v43
	v_pk_fma_f32 v[0:1], v[36:37], v[96:97], v[0:1] op_sel_hi:[1,0,1]
	v_mov_b32_e32 v17, v42
	s_delay_alu instid0(VALU_DEP_4) | instskip(NEXT) | instid1(VALU_DEP_3)
	v_pk_fma_f32 v[8:9], v[40:41], v[48:49], v[8:9] op_sel_hi:[1,0,1]
	v_pk_fma_f32 v[0:1], v[42:43], v[48:49], v[0:1] op_sel_hi:[1,0,1]
	s_delay_alu instid0(VALU_DEP_2) | instskip(NEXT) | instid1(VALU_DEP_2)
	v_pk_fma_f32 v[8:9], v[40:41], v[48:49], v[8:9] op_sel:[1,1,0] op_sel_hi:[0,1,1] neg_lo:[1,0,0]
	v_pk_fma_f32 v[0:1], v[16:17], v[48:49], v[0:1] op_sel:[0,1,0]
	v_xor_b32_e32 v16, 0x80000000, v47
	v_mov_b32_e32 v17, v46
	s_delay_alu instid0(VALU_DEP_4) | instskip(NEXT) | instid1(VALU_DEP_4)
	v_pk_fma_f32 v[8:9], v[44:45], v[50:51], v[8:9] op_sel_hi:[1,0,1]
	v_pk_fma_f32 v[0:1], v[46:47], v[50:51], v[0:1] op_sel_hi:[1,0,1]
	s_delay_alu instid0(VALU_DEP_2) | instskip(NEXT) | instid1(VALU_DEP_2)
	v_pk_fma_f32 v[8:9], v[44:45], v[18:19], v[8:9] op_sel:[1,0,0] op_sel_hi:[0,0,1] neg_lo:[1,0,0]
	v_pk_fma_f32 v[0:1], v[16:17], v[18:19], v[0:1] op_sel_hi:[1,0,1]
	s_wait_loadcnt 0xe
	v_xor_b32_e32 v16, 0x80000000, v55
	v_mov_b32_e32 v17, v54
	s_wait_loadcnt 0xd
	v_pk_fma_f32 v[8:9], v[52:53], v[56:57], v[8:9] op_sel_hi:[1,0,1]
	v_mov_b32_e32 v18, v59
	v_pk_fma_f32 v[0:1], v[54:55], v[56:57], v[0:1] op_sel_hi:[1,0,1]
	s_delay_alu instid0(VALU_DEP_3) | instskip(NEXT) | instid1(VALU_DEP_2)
	v_pk_fma_f32 v[8:9], v[52:53], v[56:57], v[8:9] op_sel:[1,1,0] op_sel_hi:[0,1,1] neg_lo:[1,0,0]
	v_pk_fma_f32 v[0:1], v[16:17], v[56:57], v[0:1] op_sel:[0,1,0]
	s_wait_loadcnt 0xc
	v_xor_b32_e32 v16, 0x80000000, v63
	v_mov_b32_e32 v17, v62
	v_pk_fma_f32 v[8:9], v[60:61], v[58:59], v[8:9] op_sel_hi:[1,0,1]
	v_pk_fma_f32 v[0:1], v[62:63], v[58:59], v[0:1] op_sel_hi:[1,0,1]
	s_delay_alu instid0(VALU_DEP_2) | instskip(NEXT) | instid1(VALU_DEP_2)
	v_pk_fma_f32 v[8:9], v[60:61], v[18:19], v[8:9] op_sel:[1,0,0] op_sel_hi:[0,0,1] neg_lo:[1,0,0]
	v_pk_fma_f32 v[0:1], v[16:17], v[18:19], v[0:1] op_sel_hi:[1,0,1]
	s_wait_loadcnt 0xb
	v_xor_b32_e32 v16, 0x80000000, v67
	v_mov_b32_e32 v17, v66
	s_wait_loadcnt 0x9
	v_pk_fma_f32 v[8:9], v[64:65], v[72:73], v[8:9] op_sel_hi:[1,0,1]
	v_mov_b32_e32 v18, v75
	v_pk_fma_f32 v[0:1], v[66:67], v[72:73], v[0:1] op_sel_hi:[1,0,1]
	s_delay_alu instid0(VALU_DEP_3) | instskip(NEXT) | instid1(VALU_DEP_2)
	v_pk_fma_f32 v[8:9], v[64:65], v[72:73], v[8:9] op_sel:[1,1,0] op_sel_hi:[0,1,1] neg_lo:[1,0,0]
	v_pk_fma_f32 v[0:1], v[16:17], v[72:73], v[0:1] op_sel:[0,1,0]
	v_xor_b32_e32 v16, 0x80000000, v71
	v_mov_b32_e32 v17, v70
	s_delay_alu instid0(VALU_DEP_4) | instskip(NEXT) | instid1(VALU_DEP_4)
	v_pk_fma_f32 v[8:9], v[68:69], v[74:75], v[8:9] op_sel_hi:[1,0,1]
	v_pk_fma_f32 v[0:1], v[70:71], v[74:75], v[0:1] op_sel_hi:[1,0,1]
	s_delay_alu instid0(VALU_DEP_2) | instskip(NEXT) | instid1(VALU_DEP_2)
	v_pk_fma_f32 v[8:9], v[68:69], v[18:19], v[8:9] op_sel:[1,0,0] op_sel_hi:[0,0,1] neg_lo:[1,0,0]
	v_pk_fma_f32 v[0:1], v[16:17], v[18:19], v[0:1] op_sel_hi:[1,0,1]
	s_wait_loadcnt 0x8
	v_xor_b32_e32 v16, 0x80000000, v79
	v_mov_b32_e32 v17, v78
	s_wait_loadcnt 0x6
	v_pk_fma_f32 v[8:9], v[76:77], v[84:85], v[8:9] op_sel_hi:[1,0,1]
	v_mov_b32_e32 v18, v87
	v_pk_fma_f32 v[0:1], v[78:79], v[84:85], v[0:1] op_sel_hi:[1,0,1]
	s_delay_alu instid0(VALU_DEP_3) | instskip(NEXT) | instid1(VALU_DEP_2)
	v_pk_fma_f32 v[8:9], v[76:77], v[84:85], v[8:9] op_sel:[1,1,0] op_sel_hi:[0,1,1] neg_lo:[1,0,0]
	v_pk_fma_f32 v[0:1], v[16:17], v[84:85], v[0:1] op_sel:[0,1,0]
	v_xor_b32_e32 v16, 0x80000000, v83
	v_mov_b32_e32 v17, v82
	s_delay_alu instid0(VALU_DEP_4) | instskip(NEXT) | instid1(VALU_DEP_4)
	v_pk_fma_f32 v[8:9], v[80:81], v[86:87], v[8:9] op_sel_hi:[1,0,1]
	v_pk_fma_f32 v[0:1], v[82:83], v[86:87], v[0:1] op_sel_hi:[1,0,1]
	s_delay_alu instid0(VALU_DEP_2) | instskip(NEXT) | instid1(VALU_DEP_2)
	v_pk_fma_f32 v[8:9], v[80:81], v[18:19], v[8:9] op_sel:[1,0,0] op_sel_hi:[0,0,1] neg_lo:[1,0,0]
	v_pk_fma_f32 v[0:1], v[16:17], v[18:19], v[0:1] op_sel_hi:[1,0,1]
	s_wait_loadcnt 0x5
	v_xor_b32_e32 v16, 0x80000000, v91
	v_mov_b32_e32 v17, v90
	s_wait_loadcnt 0x4
	v_pk_fma_f32 v[8:9], v[88:89], v[28:29], v[8:9] op_sel_hi:[1,0,1]
	v_pk_fma_f32 v[0:1], v[90:91], v[28:29], v[0:1] op_sel_hi:[1,0,1]
	v_mov_b32_e32 v18, v31
	s_delay_alu instid0(VALU_DEP_3) | instskip(NEXT) | instid1(VALU_DEP_3)
	v_pk_fma_f32 v[8:9], v[88:89], v[28:29], v[8:9] op_sel:[1,1,0] op_sel_hi:[0,1,1] neg_lo:[1,0,0]
	v_pk_fma_f32 v[0:1], v[16:17], v[28:29], v[0:1] op_sel:[0,1,0]
	s_wait_loadcnt 0x3
	v_xor_b32_e32 v16, 0x80000000, v95
	v_mov_b32_e32 v17, v94
	v_pk_fma_f32 v[8:9], v[92:93], v[30:31], v[8:9] op_sel_hi:[1,0,1]
	v_pk_fma_f32 v[0:1], v[94:95], v[30:31], v[0:1] op_sel_hi:[1,0,1]
	s_delay_alu instid0(VALU_DEP_2) | instskip(NEXT) | instid1(VALU_DEP_2)
	v_pk_fma_f32 v[8:9], v[92:93], v[18:19], v[8:9] op_sel:[1,0,0] op_sel_hi:[0,0,1] neg_lo:[1,0,0]
	v_pk_fma_f32 v[0:1], v[16:17], v[18:19], v[0:1] op_sel_hi:[1,0,1]
	s_wait_loadcnt 0x2
	v_xor_b32_e32 v16, 0x80000000, v27
	s_wait_loadcnt 0x1
	v_dual_mov_b32 v17, v26 :: v_dual_mov_b32 v18, v35
	v_pk_fma_f32 v[8:9], v[24:25], v[32:33], v[8:9] op_sel_hi:[1,0,1]
	v_pk_fma_f32 v[0:1], v[26:27], v[32:33], v[0:1] op_sel_hi:[1,0,1]
	s_delay_alu instid0(VALU_DEP_2) | instskip(NEXT) | instid1(VALU_DEP_2)
	v_pk_fma_f32 v[8:9], v[24:25], v[32:33], v[8:9] op_sel:[1,1,0] op_sel_hi:[0,1,1] neg_lo:[1,0,0]
	v_pk_fma_f32 v[0:1], v[16:17], v[32:33], v[0:1] op_sel:[0,1,0]
	s_wait_loadcnt 0x0
	v_xor_b32_e32 v16, 0x80000000, v23
	v_mov_b32_e32 v17, v22
	v_pk_fma_f32 v[8:9], v[20:21], v[34:35], v[8:9] op_sel_hi:[1,0,1]
	v_pk_fma_f32 v[0:1], v[22:23], v[34:35], v[0:1] op_sel_hi:[1,0,1]
	s_delay_alu instid0(VALU_DEP_2) | instskip(NEXT) | instid1(VALU_DEP_2)
	v_pk_fma_f32 v[8:9], v[20:21], v[18:19], v[8:9] op_sel:[1,0,0] op_sel_hi:[0,0,1] neg_lo:[1,0,0]
	v_pk_fma_f32 v[0:1], v[16:17], v[18:19], v[0:1] op_sel_hi:[1,0,1]
	s_and_not1_b32 exec_lo, exec_lo, s4
	s_cbranch_execnz .LBB225_5
; %bb.6:
	s_or_b32 exec_lo, exec_lo, s4
.LBB225_7:
	s_delay_alu instid0(SALU_CYCLE_1)
	s_or_b32 exec_lo, exec_lo, s3
	s_cbranch_execz .LBB225_9
	s_branch .LBB225_14
.LBB225_8:
                                        ; implicit-def: $vgpr9
                                        ; implicit-def: $vgpr1
.LBB225_9:
	v_mov_b32_e32 v9, 0
	s_delay_alu instid0(VALU_DEP_1)
	v_dual_mov_b32 v8, v9 :: v_dual_mov_b32 v1, v9
	v_mov_b32_e32 v0, v9
	s_and_saveexec_b32 s3, s2
	s_cbranch_execz .LBB225_13
; %bb.10:
	v_dual_mov_b32 v11, 0 :: v_dual_lshlrev_b32 v10, 5, v13
	s_mov_b32 s2, 0
	s_delay_alu instid0(VALU_DEP_1)
	v_dual_mov_b32 v0, v11 :: v_dual_mov_b32 v1, v11
	v_dual_mov_b32 v8, v11 :: v_dual_mov_b32 v9, v11
.LBB225_11:                             ; =>This Inner Loop Header: Depth=1
	global_load_b32 v66, v13, s[6:7] scale_offset
	v_lshl_add_u64 v[74:75], v[10:11], 3, s[8:9]
	v_add_nc_u32_e32 v10, 0x400, v10
	s_clause 0xc
	global_load_b128 v[14:17], v[74:75], off
	global_load_b128 v[18:21], v[74:75], off offset:128
	global_load_b128 v[22:25], v[74:75], off offset:144
	;; [unrolled: 1-line block ×12, first 2 shown]
	s_wait_xcnt 0xd
	v_add_nc_u32_e32 v13, 32, v13
	s_delay_alu instid0(VALU_DEP_1)
	v_cmp_ge_i32_e32 vcc_lo, v13, v12
	s_or_b32 s2, vcc_lo, s2
	s_wait_loadcnt 0xc
	v_xor_b32_e32 v76, 0x80000000, v17
	s_wait_loadcnt 0xb
	v_dual_mov_b32 v77, v16 :: v_dual_mov_b32 v79, v20
	v_xor_b32_e32 v78, 0x80000000, v21
	s_wait_loadcnt 0x9
	v_xor_b32_e32 v82, 0x80000000, v29
	v_dual_mov_b32 v83, v28 :: v_dual_mov_b32 v85, v24
	v_subrev_nc_u32_e32 v66, s12, v66
	v_mov_b32_e32 v67, v11
	v_xor_b32_e32 v84, 0x80000000, v25
	s_delay_alu instid0(VALU_DEP_3) | instskip(NEXT) | instid1(VALU_DEP_1)
	v_lshlrev_b32_e32 v66, 4, v66
	v_lshl_add_u64 v[80:81], v[66:67], 3, s[10:11]
	s_clause 0x1
	global_load_b128 v[66:69], v[80:81], off
	global_load_b128 v[70:73], v[80:81], off offset:16
	s_wait_loadcnt 0x1
	v_pk_fma_f32 v[8:9], v[14:15], v[66:67], v[8:9] op_sel_hi:[1,0,1]
	v_pk_fma_f32 v[0:1], v[18:19], v[66:67], v[0:1] op_sel_hi:[1,0,1]
	s_delay_alu instid0(VALU_DEP_2) | instskip(NEXT) | instid1(VALU_DEP_2)
	v_pk_fma_f32 v[8:9], v[14:15], v[66:67], v[8:9] op_sel:[1,1,0] op_sel_hi:[0,1,1] neg_lo:[1,0,0]
	v_pk_fma_f32 v[0:1], v[18:19], v[66:67], v[0:1] op_sel:[1,1,0] op_sel_hi:[0,1,1] neg_lo:[1,0,0]
	v_mov_b32_e32 v66, v69
	s_delay_alu instid0(VALU_DEP_3)
	v_pk_fma_f32 v[8:9], v[16:17], v[68:69], v[8:9] op_sel_hi:[1,0,1]
	global_load_b128 v[14:17], v[80:81], off offset:32
	v_pk_fma_f32 v[0:1], v[20:21], v[68:69], v[0:1] op_sel_hi:[1,0,1]
	global_load_b128 v[18:21], v[80:81], off offset:48
	v_pk_fma_f32 v[8:9], v[76:77], v[66:67], v[8:9] op_sel_hi:[1,0,1]
	s_wait_loadcnt 0x2
	v_mov_b32_e32 v76, v73
	v_pk_fma_f32 v[0:1], v[78:79], v[66:67], v[0:1] op_sel_hi:[1,0,1]
	global_load_b128 v[66:69], v[80:81], off offset:80
	v_xor_b32_e32 v78, 0x80000000, v37
	v_pk_fma_f32 v[8:9], v[26:27], v[70:71], v[8:9] op_sel_hi:[1,0,1]
	v_mov_b32_e32 v79, v36
	v_pk_fma_f32 v[0:1], v[22:23], v[70:71], v[0:1] op_sel_hi:[1,0,1]
	s_delay_alu instid0(VALU_DEP_3) | instskip(NEXT) | instid1(VALU_DEP_2)
	v_pk_fma_f32 v[8:9], v[26:27], v[70:71], v[8:9] op_sel:[1,1,0] op_sel_hi:[0,1,1] neg_lo:[1,0,0]
	v_pk_fma_f32 v[0:1], v[22:23], v[70:71], v[0:1] op_sel:[1,1,0] op_sel_hi:[0,1,1] neg_lo:[1,0,0]
	s_delay_alu instid0(VALU_DEP_2)
	v_pk_fma_f32 v[8:9], v[28:29], v[72:73], v[8:9] op_sel_hi:[1,0,1]
	global_load_b128 v[26:29], v[80:81], off offset:64
	v_pk_fma_f32 v[0:1], v[24:25], v[72:73], v[0:1] op_sel_hi:[1,0,1]
	s_clause 0x1
	global_load_b128 v[22:25], v[74:75], off offset:96
	global_load_b128 v[70:73], v[74:75], off offset:240
	v_pk_fma_f32 v[8:9], v[82:83], v[76:77], v[8:9] op_sel_hi:[1,0,1]
	v_xor_b32_e32 v82, 0x80000000, v45
	v_pk_fma_f32 v[0:1], v[84:85], v[76:77], v[0:1] op_sel_hi:[1,0,1]
	global_load_b128 v[74:77], v[74:75], off offset:224
	v_mov_b32_e32 v83, v44
	s_wait_loadcnt 0x6
	v_pk_fma_f32 v[8:9], v[34:35], v[14:15], v[8:9] op_sel_hi:[1,0,1]
	v_pk_fma_f32 v[0:1], v[42:43], v[14:15], v[0:1] op_sel_hi:[1,0,1]
	s_delay_alu instid0(VALU_DEP_2) | instskip(NEXT) | instid1(VALU_DEP_2)
	v_pk_fma_f32 v[8:9], v[34:35], v[14:15], v[8:9] op_sel:[1,1,0] op_sel_hi:[0,1,1] neg_lo:[1,0,0]
	v_pk_fma_f32 v[0:1], v[42:43], v[14:15], v[0:1] op_sel:[1,1,0] op_sel_hi:[0,1,1] neg_lo:[1,0,0]
	v_mov_b32_e32 v14, v17
	s_delay_alu instid0(VALU_DEP_3) | instskip(NEXT) | instid1(VALU_DEP_3)
	v_pk_fma_f32 v[8:9], v[36:37], v[16:17], v[8:9] op_sel_hi:[1,0,1]
	v_pk_fma_f32 v[0:1], v[44:45], v[16:17], v[0:1] op_sel_hi:[1,0,1]
	s_clause 0x1
	global_load_b128 v[34:37], v[80:81], off offset:96
	global_load_b128 v[42:45], v[80:81], off offset:112
	v_xor_b32_e32 v16, 0x80000000, v41
	v_mov_b32_e32 v17, v40
	v_pk_fma_f32 v[8:9], v[78:79], v[14:15], v[8:9] op_sel_hi:[1,0,1]
	v_pk_fma_f32 v[0:1], v[82:83], v[14:15], v[0:1] op_sel_hi:[1,0,1]
	v_xor_b32_e32 v14, 0x80000000, v33
	v_mov_b32_e32 v15, v32
	s_wait_loadcnt 0x7
	v_pk_fma_f32 v[8:9], v[30:31], v[18:19], v[8:9] op_sel_hi:[1,0,1]
	v_pk_fma_f32 v[0:1], v[38:39], v[18:19], v[0:1] op_sel_hi:[1,0,1]
	s_delay_alu instid0(VALU_DEP_2) | instskip(NEXT) | instid1(VALU_DEP_2)
	v_pk_fma_f32 v[8:9], v[30:31], v[18:19], v[8:9] op_sel:[1,1,0] op_sel_hi:[0,1,1] neg_lo:[1,0,0]
	v_pk_fma_f32 v[0:1], v[38:39], v[18:19], v[0:1] op_sel:[1,1,0] op_sel_hi:[0,1,1] neg_lo:[1,0,0]
	v_mov_b32_e32 v18, v21
	s_delay_alu instid0(VALU_DEP_3) | instskip(NEXT) | instid1(VALU_DEP_3)
	v_pk_fma_f32 v[8:9], v[32:33], v[20:21], v[8:9] op_sel_hi:[1,0,1]
	v_pk_fma_f32 v[0:1], v[40:41], v[20:21], v[0:1] op_sel_hi:[1,0,1]
	s_delay_alu instid0(VALU_DEP_2) | instskip(NEXT) | instid1(VALU_DEP_2)
	v_pk_fma_f32 v[8:9], v[14:15], v[18:19], v[8:9] op_sel_hi:[1,0,1]
	v_pk_fma_f32 v[0:1], v[16:17], v[18:19], v[0:1] op_sel_hi:[1,0,1]
	v_xor_b32_e32 v14, 0x80000000, v53
	v_dual_mov_b32 v15, v52 :: v_dual_mov_b32 v17, v60
	s_wait_loadcnt 0x5
	v_pk_fma_f32 v[8:9], v[50:51], v[26:27], v[8:9] op_sel_hi:[1,0,1]
	v_pk_fma_f32 v[0:1], v[58:59], v[26:27], v[0:1] op_sel_hi:[1,0,1]
	v_xor_b32_e32 v16, 0x80000000, v61
	v_mov_b32_e32 v18, v29
	s_delay_alu instid0(VALU_DEP_4) | instskip(NEXT) | instid1(VALU_DEP_4)
	v_pk_fma_f32 v[8:9], v[50:51], v[26:27], v[8:9] op_sel:[1,1,0] op_sel_hi:[0,1,1] neg_lo:[1,0,0]
	v_pk_fma_f32 v[0:1], v[58:59], v[26:27], v[0:1] op_sel:[1,1,0] op_sel_hi:[0,1,1] neg_lo:[1,0,0]
	s_delay_alu instid0(VALU_DEP_2) | instskip(NEXT) | instid1(VALU_DEP_2)
	v_pk_fma_f32 v[8:9], v[52:53], v[28:29], v[8:9] op_sel_hi:[1,0,1]
	v_pk_fma_f32 v[0:1], v[60:61], v[28:29], v[0:1] op_sel_hi:[1,0,1]
	s_delay_alu instid0(VALU_DEP_2) | instskip(SKIP_1) | instid1(VALU_DEP_3)
	v_pk_fma_f32 v[8:9], v[14:15], v[18:19], v[8:9] op_sel_hi:[1,0,1]
	v_mov_b32_e32 v15, v48
	v_pk_fma_f32 v[0:1], v[16:17], v[18:19], v[0:1] op_sel_hi:[1,0,1]
	v_xor_b32_e32 v14, 0x80000000, v49
	v_xor_b32_e32 v16, 0x80000000, v57
	v_pk_fma_f32 v[8:9], v[46:47], v[66:67], v[8:9] op_sel_hi:[1,0,1]
	v_dual_mov_b32 v17, v56 :: v_dual_mov_b32 v18, v69
	v_pk_fma_f32 v[0:1], v[54:55], v[66:67], v[0:1] op_sel_hi:[1,0,1]
	s_delay_alu instid0(VALU_DEP_3) | instskip(NEXT) | instid1(VALU_DEP_2)
	v_pk_fma_f32 v[8:9], v[46:47], v[66:67], v[8:9] op_sel:[1,1,0] op_sel_hi:[0,1,1] neg_lo:[1,0,0]
	v_pk_fma_f32 v[0:1], v[54:55], v[66:67], v[0:1] op_sel:[1,1,0] op_sel_hi:[0,1,1] neg_lo:[1,0,0]
	s_delay_alu instid0(VALU_DEP_2) | instskip(NEXT) | instid1(VALU_DEP_2)
	v_pk_fma_f32 v[8:9], v[48:49], v[68:69], v[8:9] op_sel_hi:[1,0,1]
	v_pk_fma_f32 v[0:1], v[56:57], v[68:69], v[0:1] op_sel_hi:[1,0,1]
	s_delay_alu instid0(VALU_DEP_2)
	v_pk_fma_f32 v[8:9], v[14:15], v[18:19], v[8:9] op_sel_hi:[1,0,1]
	s_wait_loadcnt 0x4
	v_xor_b32_e32 v14, 0x80000000, v25
	v_mov_b32_e32 v15, v24
	v_pk_fma_f32 v[0:1], v[16:17], v[18:19], v[0:1] op_sel_hi:[1,0,1]
	s_wait_loadcnt 0x2
	v_xor_b32_e32 v16, 0x80000000, v77
	v_mov_b32_e32 v17, v76
	s_wait_loadcnt 0x1
	v_pk_fma_f32 v[8:9], v[22:23], v[34:35], v[8:9] op_sel_hi:[1,0,1]
	v_pk_fma_f32 v[0:1], v[74:75], v[34:35], v[0:1] op_sel_hi:[1,0,1]
	v_mov_b32_e32 v18, v37
	s_delay_alu instid0(VALU_DEP_3) | instskip(NEXT) | instid1(VALU_DEP_3)
	v_pk_fma_f32 v[8:9], v[22:23], v[34:35], v[8:9] op_sel:[1,1,0] op_sel_hi:[0,1,1] neg_lo:[1,0,0]
	v_pk_fma_f32 v[0:1], v[74:75], v[34:35], v[0:1] op_sel:[1,1,0] op_sel_hi:[0,1,1] neg_lo:[1,0,0]
	s_delay_alu instid0(VALU_DEP_2) | instskip(NEXT) | instid1(VALU_DEP_2)
	v_pk_fma_f32 v[8:9], v[24:25], v[36:37], v[8:9] op_sel_hi:[1,0,1]
	v_pk_fma_f32 v[0:1], v[76:77], v[36:37], v[0:1] op_sel_hi:[1,0,1]
	s_delay_alu instid0(VALU_DEP_2) | instskip(NEXT) | instid1(VALU_DEP_2)
	v_pk_fma_f32 v[8:9], v[14:15], v[18:19], v[8:9] op_sel_hi:[1,0,1]
	v_pk_fma_f32 v[0:1], v[16:17], v[18:19], v[0:1] op_sel_hi:[1,0,1]
	v_xor_b32_e32 v14, 0x80000000, v65
	v_dual_mov_b32 v15, v64 :: v_dual_mov_b32 v17, v72
	s_wait_loadcnt 0x0
	v_pk_fma_f32 v[8:9], v[62:63], v[42:43], v[8:9] op_sel_hi:[1,0,1]
	v_pk_fma_f32 v[0:1], v[70:71], v[42:43], v[0:1] op_sel_hi:[1,0,1]
	v_xor_b32_e32 v16, 0x80000000, v73
	v_mov_b32_e32 v18, v45
	s_delay_alu instid0(VALU_DEP_4) | instskip(NEXT) | instid1(VALU_DEP_4)
	v_pk_fma_f32 v[8:9], v[62:63], v[42:43], v[8:9] op_sel:[1,1,0] op_sel_hi:[0,1,1] neg_lo:[1,0,0]
	v_pk_fma_f32 v[0:1], v[70:71], v[42:43], v[0:1] op_sel:[1,1,0] op_sel_hi:[0,1,1] neg_lo:[1,0,0]
	s_delay_alu instid0(VALU_DEP_2) | instskip(NEXT) | instid1(VALU_DEP_2)
	v_pk_fma_f32 v[8:9], v[64:65], v[44:45], v[8:9] op_sel_hi:[1,0,1]
	v_pk_fma_f32 v[0:1], v[72:73], v[44:45], v[0:1] op_sel_hi:[1,0,1]
	s_delay_alu instid0(VALU_DEP_2) | instskip(NEXT) | instid1(VALU_DEP_2)
	v_pk_fma_f32 v[8:9], v[14:15], v[18:19], v[8:9] op_sel_hi:[1,0,1]
	v_pk_fma_f32 v[0:1], v[16:17], v[18:19], v[0:1] op_sel_hi:[1,0,1]
	s_and_not1_b32 exec_lo, exec_lo, s2
	s_cbranch_execnz .LBB225_11
; %bb.12:
	s_or_b32 exec_lo, exec_lo, s2
.LBB225_13:
	s_delay_alu instid0(SALU_CYCLE_1)
	s_or_b32 exec_lo, exec_lo, s3
.LBB225_14:
	v_mbcnt_lo_u32_b32 v10, -1, 0
	s_delay_alu instid0(VALU_DEP_1) | instskip(SKIP_1) | instid1(VALU_DEP_1)
	v_xor_b32_e32 v15, 8, v10
	v_xor_b32_e32 v11, 16, v10
	v_cmp_gt_i32_e32 vcc_lo, 32, v11
	v_cndmask_b32_e32 v11, v10, v11, vcc_lo
	s_delay_alu instid0(VALU_DEP_1)
	v_lshlrev_b32_e32 v11, 2, v11
	ds_bpermute_b32 v13, v11, v9
	s_wait_dscnt 0x0
	v_add_f32_e32 v9, v9, v13
	ds_bpermute_b32 v12, v11, v8
	ds_bpermute_b32 v14, v11, v0
	;; [unrolled: 1-line block ×3, first 2 shown]
	s_wait_dscnt 0x2
	v_add_f32_e32 v8, v8, v12
	s_wait_dscnt 0x0
	v_dual_add_f32 v0, v0, v14 :: v_dual_add_f32 v1, v1, v11
	v_cmp_gt_i32_e32 vcc_lo, 32, v15
	v_cndmask_b32_e32 v15, v10, v15, vcc_lo
	s_delay_alu instid0(VALU_DEP_1)
	v_lshlrev_b32_e32 v15, 2, v15
	ds_bpermute_b32 v11, v15, v8
	ds_bpermute_b32 v12, v15, v9
	;; [unrolled: 1-line block ×4, first 2 shown]
	s_wait_dscnt 0x3
	v_dual_add_f32 v8, v8, v11 :: v_dual_bitop2_b32 v15, 4, v10 bitop3:0x14
	s_delay_alu instid0(VALU_DEP_1)
	v_cmp_gt_i32_e32 vcc_lo, 32, v15
	s_wait_dscnt 0x2
	v_add_f32_e32 v9, v9, v12
	s_wait_dscnt 0x0
	v_dual_add_f32 v1, v1, v14 :: v_dual_add_f32 v0, v0, v13
	v_cndmask_b32_e32 v15, v10, v15, vcc_lo
	s_delay_alu instid0(VALU_DEP_1)
	v_lshlrev_b32_e32 v15, 2, v15
	ds_bpermute_b32 v11, v15, v8
	ds_bpermute_b32 v12, v15, v9
	;; [unrolled: 1-line block ×4, first 2 shown]
	s_wait_dscnt 0x3
	v_dual_add_f32 v8, v8, v11 :: v_dual_bitop2_b32 v15, 2, v10 bitop3:0x14
	s_delay_alu instid0(VALU_DEP_1) | instskip(SKIP_4) | instid1(VALU_DEP_2)
	v_cmp_gt_i32_e32 vcc_lo, 32, v15
	s_wait_dscnt 0x2
	v_dual_add_f32 v9, v9, v12 :: v_dual_cndmask_b32 v15, v10, v15, vcc_lo
	s_wait_dscnt 0x0
	v_dual_add_f32 v11, v0, v13 :: v_dual_add_f32 v12, v1, v14
	v_lshlrev_b32_e32 v15, 2, v15
	ds_bpermute_b32 v0, v15, v8
	ds_bpermute_b32 v1, v15, v9
	;; [unrolled: 1-line block ×4, first 2 shown]
	s_wait_dscnt 0x3
	v_dual_add_f32 v0, v8, v0 :: v_dual_bitop2_b32 v15, 1, v10 bitop3:0x14
	s_delay_alu instid0(VALU_DEP_1)
	v_cmp_gt_i32_e32 vcc_lo, 32, v15
	s_wait_dscnt 0x2
	v_add_f32_e32 v8, v9, v1
	s_wait_dscnt 0x0
	v_dual_add_f32 v1, v11, v13 :: v_dual_add_f32 v9, v12, v14
	v_cndmask_b32_e32 v10, v10, v15, vcc_lo
	v_cmp_eq_u32_e32 vcc_lo, 31, v7
	s_delay_alu instid0(VALU_DEP_2)
	v_lshlrev_b32_e32 v15, 2, v10
	ds_bpermute_b32 v12, v15, v0
	ds_bpermute_b32 v13, v15, v8
	;; [unrolled: 1-line block ×4, first 2 shown]
	s_and_b32 exec_lo, exec_lo, vcc_lo
	s_cbranch_execz .LBB225_19
; %bb.15:
	s_load_b64 s[2:3], s[0:1], 0x38
	v_cmp_eq_f32_e32 vcc_lo, 0, v4
	s_wait_xcnt 0x0
	v_cmp_eq_f32_e64 s0, 0, v5
	s_wait_dscnt 0x3
	v_add_f32_e32 v0, v0, v12
	s_wait_dscnt 0x1
	v_dual_add_f32 v12, v8, v13 :: v_dual_add_f32 v8, v1, v10
	s_wait_dscnt 0x0
	v_add_f32_e32 v10, v9, v11
	s_and_b32 s0, vcc_lo, s0
	s_delay_alu instid0(SALU_CYCLE_1) | instskip(NEXT) | instid1(SALU_CYCLE_1)
	s_and_saveexec_b32 s1, s0
	s_xor_b32 s0, exec_lo, s1
	s_cbranch_execz .LBB225_17
; %bb.16:
	v_xor_b32_e32 v4, 0x80000000, v3
	v_dual_mov_b32 v5, v2 :: v_dual_lshlrev_b32 v6, 1, v6
	s_delay_alu instid0(VALU_DEP_1) | instskip(NEXT) | instid1(VALU_DEP_2)
	v_ashrrev_i32_e32 v7, 31, v6
	v_pk_mul_f32 v[12:13], v[12:13], v[4:5] op_sel_hi:[0,1]
	v_pk_mul_f32 v[4:5], v[10:11], v[4:5] op_sel_hi:[0,1]
                                        ; implicit-def: $vgpr10
	s_wait_kmcnt 0x0
	s_delay_alu instid0(VALU_DEP_3) | instskip(NEXT) | instid1(VALU_DEP_3)
	v_lshl_add_u64 v[6:7], v[6:7], 3, s[2:3]
	v_pk_fma_f32 v[0:1], v[2:3], v[0:1], v[12:13] op_sel_hi:[1,0,1]
	s_delay_alu instid0(VALU_DEP_3)
	v_pk_fma_f32 v[2:3], v[2:3], v[8:9], v[4:5] op_sel_hi:[1,0,1]
                                        ; implicit-def: $vgpr4_vgpr5
                                        ; implicit-def: $vgpr12
                                        ; implicit-def: $vgpr8
	global_store_b128 v[6:7], v[0:3], off
                                        ; implicit-def: $vgpr6
                                        ; implicit-def: $vgpr2_vgpr3
                                        ; implicit-def: $vgpr0
.LBB225_17:
	s_wait_xcnt 0x0
	s_and_not1_saveexec_b32 s0, s0
	s_cbranch_execz .LBB225_19
; %bb.18:
	v_dual_mov_b32 v19, v2 :: v_dual_lshlrev_b32 v6, 1, v6
	v_xor_b32_e32 v18, 0x80000000, v3
	s_delay_alu instid0(VALU_DEP_2) | instskip(NEXT) | instid1(VALU_DEP_2)
	v_ashrrev_i32_e32 v7, 31, v6
	v_pk_mul_f32 v[12:13], v[12:13], v[18:19] op_sel_hi:[0,1]
	v_pk_mul_f32 v[10:11], v[10:11], v[18:19] op_sel_hi:[0,1]
	s_delay_alu instid0(VALU_DEP_2) | instskip(NEXT) | instid1(VALU_DEP_2)
	v_pk_fma_f32 v[0:1], v[2:3], v[0:1], v[12:13] op_sel_hi:[1,0,1]
	v_pk_fma_f32 v[2:3], v[2:3], v[8:9], v[10:11] op_sel_hi:[1,0,1]
	v_mov_b32_e32 v9, v4
	s_wait_kmcnt 0x0
	v_lshl_add_u64 v[6:7], v[6:7], 3, s[2:3]
	v_xor_b32_e32 v8, 0x80000000, v5
	global_load_b128 v[14:17], v[6:7], off
	s_wait_loadcnt 0x0
	v_pk_fma_f32 v[0:1], v[4:5], v[14:15], v[0:1] op_sel_hi:[1,0,1]
	v_pk_fma_f32 v[2:3], v[4:5], v[16:17], v[2:3] op_sel_hi:[1,0,1]
	v_mov_b32_e32 v4, v17
	s_delay_alu instid0(VALU_DEP_3) | instskip(NEXT) | instid1(VALU_DEP_2)
	v_pk_fma_f32 v[0:1], v[8:9], v[14:15], v[0:1] op_sel:[0,1,0]
	v_pk_fma_f32 v[2:3], v[8:9], v[4:5], v[2:3] op_sel_hi:[1,0,1]
	global_store_b128 v[6:7], v[0:3], off
.LBB225_19:
	s_sendmsg sendmsg(MSG_DEALLOC_VGPRS)
	s_endpgm
	.section	.rodata,"a",@progbits
	.p2align	6, 0x0
	.amdhsa_kernel _ZN9rocsparseL19gebsrmvn_2xn_kernelILj128ELj16ELj32E21rocsparse_complex_numIfEEEvi20rocsparse_direction_NS_24const_host_device_scalarIT2_EEPKiS8_PKS5_SA_S6_PS5_21rocsparse_index_base_b
		.amdhsa_group_segment_fixed_size 0
		.amdhsa_private_segment_fixed_size 0
		.amdhsa_kernarg_size 72
		.amdhsa_user_sgpr_count 2
		.amdhsa_user_sgpr_dispatch_ptr 0
		.amdhsa_user_sgpr_queue_ptr 0
		.amdhsa_user_sgpr_kernarg_segment_ptr 1
		.amdhsa_user_sgpr_dispatch_id 0
		.amdhsa_user_sgpr_kernarg_preload_length 0
		.amdhsa_user_sgpr_kernarg_preload_offset 0
		.amdhsa_user_sgpr_private_segment_size 0
		.amdhsa_wavefront_size32 1
		.amdhsa_uses_dynamic_stack 0
		.amdhsa_enable_private_segment 0
		.amdhsa_system_sgpr_workgroup_id_x 1
		.amdhsa_system_sgpr_workgroup_id_y 0
		.amdhsa_system_sgpr_workgroup_id_z 0
		.amdhsa_system_sgpr_workgroup_info 0
		.amdhsa_system_vgpr_workitem_id 0
		.amdhsa_next_free_vgpr 102
		.amdhsa_next_free_sgpr 14
		.amdhsa_named_barrier_count 0
		.amdhsa_reserve_vcc 1
		.amdhsa_float_round_mode_32 0
		.amdhsa_float_round_mode_16_64 0
		.amdhsa_float_denorm_mode_32 3
		.amdhsa_float_denorm_mode_16_64 3
		.amdhsa_fp16_overflow 0
		.amdhsa_memory_ordered 1
		.amdhsa_forward_progress 1
		.amdhsa_inst_pref_size 30
		.amdhsa_round_robin_scheduling 0
		.amdhsa_exception_fp_ieee_invalid_op 0
		.amdhsa_exception_fp_denorm_src 0
		.amdhsa_exception_fp_ieee_div_zero 0
		.amdhsa_exception_fp_ieee_overflow 0
		.amdhsa_exception_fp_ieee_underflow 0
		.amdhsa_exception_fp_ieee_inexact 0
		.amdhsa_exception_int_div_zero 0
	.end_amdhsa_kernel
	.section	.text._ZN9rocsparseL19gebsrmvn_2xn_kernelILj128ELj16ELj32E21rocsparse_complex_numIfEEEvi20rocsparse_direction_NS_24const_host_device_scalarIT2_EEPKiS8_PKS5_SA_S6_PS5_21rocsparse_index_base_b,"axG",@progbits,_ZN9rocsparseL19gebsrmvn_2xn_kernelILj128ELj16ELj32E21rocsparse_complex_numIfEEEvi20rocsparse_direction_NS_24const_host_device_scalarIT2_EEPKiS8_PKS5_SA_S6_PS5_21rocsparse_index_base_b,comdat
.Lfunc_end225:
	.size	_ZN9rocsparseL19gebsrmvn_2xn_kernelILj128ELj16ELj32E21rocsparse_complex_numIfEEEvi20rocsparse_direction_NS_24const_host_device_scalarIT2_EEPKiS8_PKS5_SA_S6_PS5_21rocsparse_index_base_b, .Lfunc_end225-_ZN9rocsparseL19gebsrmvn_2xn_kernelILj128ELj16ELj32E21rocsparse_complex_numIfEEEvi20rocsparse_direction_NS_24const_host_device_scalarIT2_EEPKiS8_PKS5_SA_S6_PS5_21rocsparse_index_base_b
                                        ; -- End function
	.set _ZN9rocsparseL19gebsrmvn_2xn_kernelILj128ELj16ELj32E21rocsparse_complex_numIfEEEvi20rocsparse_direction_NS_24const_host_device_scalarIT2_EEPKiS8_PKS5_SA_S6_PS5_21rocsparse_index_base_b.num_vgpr, 102
	.set _ZN9rocsparseL19gebsrmvn_2xn_kernelILj128ELj16ELj32E21rocsparse_complex_numIfEEEvi20rocsparse_direction_NS_24const_host_device_scalarIT2_EEPKiS8_PKS5_SA_S6_PS5_21rocsparse_index_base_b.num_agpr, 0
	.set _ZN9rocsparseL19gebsrmvn_2xn_kernelILj128ELj16ELj32E21rocsparse_complex_numIfEEEvi20rocsparse_direction_NS_24const_host_device_scalarIT2_EEPKiS8_PKS5_SA_S6_PS5_21rocsparse_index_base_b.numbered_sgpr, 14
	.set _ZN9rocsparseL19gebsrmvn_2xn_kernelILj128ELj16ELj32E21rocsparse_complex_numIfEEEvi20rocsparse_direction_NS_24const_host_device_scalarIT2_EEPKiS8_PKS5_SA_S6_PS5_21rocsparse_index_base_b.num_named_barrier, 0
	.set _ZN9rocsparseL19gebsrmvn_2xn_kernelILj128ELj16ELj32E21rocsparse_complex_numIfEEEvi20rocsparse_direction_NS_24const_host_device_scalarIT2_EEPKiS8_PKS5_SA_S6_PS5_21rocsparse_index_base_b.private_seg_size, 0
	.set _ZN9rocsparseL19gebsrmvn_2xn_kernelILj128ELj16ELj32E21rocsparse_complex_numIfEEEvi20rocsparse_direction_NS_24const_host_device_scalarIT2_EEPKiS8_PKS5_SA_S6_PS5_21rocsparse_index_base_b.uses_vcc, 1
	.set _ZN9rocsparseL19gebsrmvn_2xn_kernelILj128ELj16ELj32E21rocsparse_complex_numIfEEEvi20rocsparse_direction_NS_24const_host_device_scalarIT2_EEPKiS8_PKS5_SA_S6_PS5_21rocsparse_index_base_b.uses_flat_scratch, 1
	.set _ZN9rocsparseL19gebsrmvn_2xn_kernelILj128ELj16ELj32E21rocsparse_complex_numIfEEEvi20rocsparse_direction_NS_24const_host_device_scalarIT2_EEPKiS8_PKS5_SA_S6_PS5_21rocsparse_index_base_b.has_dyn_sized_stack, 0
	.set _ZN9rocsparseL19gebsrmvn_2xn_kernelILj128ELj16ELj32E21rocsparse_complex_numIfEEEvi20rocsparse_direction_NS_24const_host_device_scalarIT2_EEPKiS8_PKS5_SA_S6_PS5_21rocsparse_index_base_b.has_recursion, 0
	.set _ZN9rocsparseL19gebsrmvn_2xn_kernelILj128ELj16ELj32E21rocsparse_complex_numIfEEEvi20rocsparse_direction_NS_24const_host_device_scalarIT2_EEPKiS8_PKS5_SA_S6_PS5_21rocsparse_index_base_b.has_indirect_call, 0
	.section	.AMDGPU.csdata,"",@progbits
; Kernel info:
; codeLenInByte = 3792
; TotalNumSgprs: 16
; NumVgprs: 102
; ScratchSize: 0
; MemoryBound: 0
; FloatMode: 240
; IeeeMode: 1
; LDSByteSize: 0 bytes/workgroup (compile time only)
; SGPRBlocks: 0
; VGPRBlocks: 6
; NumSGPRsForWavesPerEU: 16
; NumVGPRsForWavesPerEU: 102
; NamedBarCnt: 0
; Occupancy: 9
; WaveLimiterHint : 1
; COMPUTE_PGM_RSRC2:SCRATCH_EN: 0
; COMPUTE_PGM_RSRC2:USER_SGPR: 2
; COMPUTE_PGM_RSRC2:TRAP_HANDLER: 0
; COMPUTE_PGM_RSRC2:TGID_X_EN: 1
; COMPUTE_PGM_RSRC2:TGID_Y_EN: 0
; COMPUTE_PGM_RSRC2:TGID_Z_EN: 0
; COMPUTE_PGM_RSRC2:TIDIG_COMP_CNT: 0
	.section	.text._ZN9rocsparseL19gebsrmvn_2xn_kernelILj128ELj16ELj64E21rocsparse_complex_numIfEEEvi20rocsparse_direction_NS_24const_host_device_scalarIT2_EEPKiS8_PKS5_SA_S6_PS5_21rocsparse_index_base_b,"axG",@progbits,_ZN9rocsparseL19gebsrmvn_2xn_kernelILj128ELj16ELj64E21rocsparse_complex_numIfEEEvi20rocsparse_direction_NS_24const_host_device_scalarIT2_EEPKiS8_PKS5_SA_S6_PS5_21rocsparse_index_base_b,comdat
	.globl	_ZN9rocsparseL19gebsrmvn_2xn_kernelILj128ELj16ELj64E21rocsparse_complex_numIfEEEvi20rocsparse_direction_NS_24const_host_device_scalarIT2_EEPKiS8_PKS5_SA_S6_PS5_21rocsparse_index_base_b ; -- Begin function _ZN9rocsparseL19gebsrmvn_2xn_kernelILj128ELj16ELj64E21rocsparse_complex_numIfEEEvi20rocsparse_direction_NS_24const_host_device_scalarIT2_EEPKiS8_PKS5_SA_S6_PS5_21rocsparse_index_base_b
	.p2align	8
	.type	_ZN9rocsparseL19gebsrmvn_2xn_kernelILj128ELj16ELj64E21rocsparse_complex_numIfEEEvi20rocsparse_direction_NS_24const_host_device_scalarIT2_EEPKiS8_PKS5_SA_S6_PS5_21rocsparse_index_base_b,@function
_ZN9rocsparseL19gebsrmvn_2xn_kernelILj128ELj16ELj64E21rocsparse_complex_numIfEEEvi20rocsparse_direction_NS_24const_host_device_scalarIT2_EEPKiS8_PKS5_SA_S6_PS5_21rocsparse_index_base_b: ; @_ZN9rocsparseL19gebsrmvn_2xn_kernelILj128ELj16ELj64E21rocsparse_complex_numIfEEEvi20rocsparse_direction_NS_24const_host_device_scalarIT2_EEPKiS8_PKS5_SA_S6_PS5_21rocsparse_index_base_b
; %bb.0:
	s_clause 0x2
	s_load_b64 s[12:13], s[0:1], 0x40
	s_load_b64 s[2:3], s[0:1], 0x8
	;; [unrolled: 1-line block ×3, first 2 shown]
	v_mov_b32_e32 v1, 0
	s_add_nc_u64 s[6:7], s[0:1], 8
	s_add_nc_u64 s[8:9], s[0:1], 48
	s_wait_kmcnt 0x0
	s_bitcmp1_b32 s13, 0
	s_cselect_b32 s3, s7, s3
	s_cselect_b32 s2, s6, s2
	;; [unrolled: 1-line block ×4, first 2 shown]
	s_clause 0x1
	flat_load_b64 v[2:3], v1, s[2:3]
	flat_load_b64 v[4:5], v1, s[4:5]
	s_wait_loadcnt_dscnt 0x101
	v_cmp_eq_f32_e32 vcc_lo, 0, v2
	v_cmp_eq_f32_e64 s2, 0, v3
	s_wait_loadcnt_dscnt 0x0
	v_cmp_eq_f32_e64 s3, 1.0, v4
	v_cmp_eq_f32_e64 s4, 0, v5
	s_and_b32 s2, vcc_lo, s2
	s_and_b32 s3, s3, s4
	s_delay_alu instid0(SALU_CYCLE_1) | instskip(NEXT) | instid1(SALU_CYCLE_1)
	s_and_b32 s2, s2, s3
	s_xor_b32 s2, s2, -1
	s_delay_alu instid0(SALU_CYCLE_1)
	s_and_saveexec_b32 s3, s2
	s_cbranch_execz .LBB226_19
; %bb.1:
	s_load_b64 s[2:3], s[0:1], 0x0
	s_bfe_u32 s4, ttmp6, 0x4000c
	s_and_b32 s5, ttmp6, 15
	s_add_co_i32 s4, s4, 1
	s_getreg_b32 s6, hwreg(HW_REG_IB_STS2, 6, 4)
	s_mul_i32 s4, ttmp9, s4
	v_lshrrev_b32_e32 v1, 6, v0
	s_add_co_i32 s5, s5, s4
	s_cmp_eq_u32 s6, 0
	s_cselect_b32 s4, ttmp9, s5
	s_delay_alu instid0(VALU_DEP_1) | instid1(SALU_CYCLE_1)
	v_lshl_or_b32 v6, s4, 1, v1
	s_wait_kmcnt 0x0
	s_delay_alu instid0(VALU_DEP_1)
	v_cmp_gt_i32_e32 vcc_lo, s2, v6
	s_and_b32 exec_lo, exec_lo, vcc_lo
	s_cbranch_execz .LBB226_19
; %bb.2:
	s_load_b256 s[4:11], s[0:1], 0x10
	v_ashrrev_i32_e32 v7, 31, v6
	s_cmp_lg_u32 s3, 0
	s_wait_kmcnt 0x0
	s_delay_alu instid0(VALU_DEP_1)
	v_lshl_add_u64 v[8:9], v[6:7], 2, s[4:5]
	v_and_b32_e32 v7, 63, v0
	global_load_b64 v[8:9], v[8:9], off
	s_wait_loadcnt 0x0
	v_subrev_nc_u32_e32 v0, s12, v8
	v_subrev_nc_u32_e32 v12, s12, v9
	s_delay_alu instid0(VALU_DEP_2) | instskip(NEXT) | instid1(VALU_DEP_1)
	v_add_nc_u32_e32 v13, v0, v7
	v_cmp_lt_i32_e64 s2, v13, v12
	s_cbranch_scc0 .LBB226_8
; %bb.3:
	v_mov_b32_e32 v9, 0
	s_delay_alu instid0(VALU_DEP_1)
	v_dual_mov_b32 v8, v9 :: v_dual_mov_b32 v1, v9
	v_mov_b32_e32 v0, v9
	s_and_saveexec_b32 s3, s2
	s_cbranch_execz .LBB226_7
; %bb.4:
	v_dual_mov_b32 v11, 0 :: v_dual_lshlrev_b32 v10, 5, v13
	v_mov_b32_e32 v14, v13
	s_mov_b32 s4, 0
	s_delay_alu instid0(VALU_DEP_2)
	v_dual_mov_b32 v0, v11 :: v_dual_mov_b32 v1, v11
	v_dual_mov_b32 v8, v11 :: v_dual_mov_b32 v9, v11
.LBB226_5:                              ; =>This Inner Loop Header: Depth=1
	global_load_b32 v15, v14, s[6:7] scale_offset
	v_lshl_add_u64 v[96:97], v[10:11], 3, s[8:9]
	s_clause 0x3
	global_load_b128 v[16:19], v[96:97], off offset:48
	global_load_b128 v[20:23], v[96:97], off offset:32
	;; [unrolled: 1-line block ×3, first 2 shown]
	global_load_b128 v[28:31], v[96:97], off
	s_wait_xcnt 0x4
	v_add_nc_u32_e32 v14, 64, v14
	v_add_nc_u32_e32 v10, 0x800, v10
	s_delay_alu instid0(VALU_DEP_2)
	v_cmp_ge_i32_e32 vcc_lo, v14, v12
	s_or_b32 s4, vcc_lo, s4
	s_wait_loadcnt 0x4
	v_subrev_nc_u32_e32 v15, s12, v15
	s_wait_loadcnt 0x2
	v_dual_mov_b32 v33, v11 :: v_dual_mov_b32 v101, v22
	s_delay_alu instid0(VALU_DEP_2) | instskip(SKIP_3) | instid1(VALU_DEP_3)
	v_lshlrev_b32_e32 v32, 4, v15
	s_wait_loadcnt 0x0
	v_xor_b32_e32 v92, 0x80000000, v31
	v_xor_b32_e32 v100, 0x80000000, v23
	v_lshl_add_u64 v[98:99], v[32:33], 3, s[10:11]
	s_clause 0x1
	global_load_b128 v[32:35], v[98:99], off
	global_load_b128 v[36:39], v[98:99], off offset:16
	s_clause 0x1
	global_load_b128 v[40:43], v[96:97], off offset:64
	global_load_b128 v[44:47], v[96:97], off offset:80
	;; [unrolled: 1-line block ×5, first 2 shown]
	s_clause 0x2
	global_load_b128 v[60:63], v[96:97], off offset:112
	global_load_b128 v[64:67], v[96:97], off offset:128
	;; [unrolled: 1-line block ×4, first 2 shown]
	s_clause 0x1
	global_load_b128 v[76:79], v[96:97], off offset:160
	global_load_b128 v[80:83], v[96:97], off offset:176
	;; [unrolled: 1-line block ×4, first 2 shown]
	v_mov_b32_e32 v93, v30
	s_wait_loadcnt 0xe
	v_pk_fma_f32 v[8:9], v[28:29], v[32:33], v[8:9] op_sel_hi:[1,0,1]
	v_pk_fma_f32 v[0:1], v[30:31], v[32:33], v[0:1] op_sel_hi:[1,0,1]
	s_delay_alu instid0(VALU_DEP_2)
	v_pk_fma_f32 v[8:9], v[28:29], v[32:33], v[8:9] op_sel:[1,1,0] op_sel_hi:[0,1,1] neg_lo:[1,0,0]
	global_load_b128 v[28:31], v[98:99], off offset:96
	v_pk_fma_f32 v[0:1], v[92:93], v[32:33], v[0:1] op_sel:[0,1,0]
	global_load_b128 v[92:95], v[96:97], off offset:208
	v_mov_b32_e32 v32, v35
	v_pk_fma_f32 v[8:9], v[24:25], v[34:35], v[8:9] op_sel_hi:[1,0,1]
	v_pk_fma_f32 v[0:1], v[26:27], v[34:35], v[0:1] op_sel_hi:[1,0,1]
	v_xor_b32_e32 v34, 0x80000000, v27
	v_mov_b32_e32 v35, v26
	s_delay_alu instid0(VALU_DEP_4)
	v_pk_fma_f32 v[8:9], v[24:25], v[32:33], v[8:9] op_sel:[1,0,0] op_sel_hi:[0,0,1] neg_lo:[1,0,0]
	global_load_b128 v[24:27], v[96:97], off offset:224
	v_pk_fma_f32 v[0:1], v[34:35], v[32:33], v[0:1] op_sel_hi:[1,0,1]
	global_load_b128 v[32:35], v[98:99], off offset:112
	s_wait_loadcnt 0x11
	v_pk_fma_f32 v[8:9], v[20:21], v[36:37], v[8:9] op_sel_hi:[1,0,1]
	v_pk_fma_f32 v[0:1], v[22:23], v[36:37], v[0:1] op_sel_hi:[1,0,1]
	s_delay_alu instid0(VALU_DEP_2)
	v_pk_fma_f32 v[8:9], v[20:21], v[36:37], v[8:9] op_sel:[1,1,0] op_sel_hi:[0,1,1] neg_lo:[1,0,0]
	global_load_b128 v[20:23], v[96:97], off offset:240
	s_wait_xcnt 0x0
	v_mov_b32_e32 v96, v39
	v_pk_fma_f32 v[0:1], v[100:101], v[36:37], v[0:1] op_sel:[0,1,0]
	v_xor_b32_e32 v36, 0x80000000, v19
	v_mov_b32_e32 v37, v18
	v_pk_fma_f32 v[8:9], v[16:17], v[38:39], v[8:9] op_sel_hi:[1,0,1]
	s_delay_alu instid0(VALU_DEP_4) | instskip(SKIP_2) | instid1(VALU_DEP_3)
	v_pk_fma_f32 v[0:1], v[18:19], v[38:39], v[0:1] op_sel_hi:[1,0,1]
	s_wait_loadcnt 0xf
	v_mov_b32_e32 v18, v51
	v_pk_fma_f32 v[8:9], v[16:17], v[96:97], v[8:9] op_sel:[1,0,0] op_sel_hi:[0,0,1] neg_lo:[1,0,0]
	v_xor_b32_e32 v16, 0x80000000, v43
	v_pk_fma_f32 v[0:1], v[36:37], v[96:97], v[0:1] op_sel_hi:[1,0,1]
	v_mov_b32_e32 v17, v42
	s_delay_alu instid0(VALU_DEP_4) | instskip(NEXT) | instid1(VALU_DEP_3)
	v_pk_fma_f32 v[8:9], v[40:41], v[48:49], v[8:9] op_sel_hi:[1,0,1]
	v_pk_fma_f32 v[0:1], v[42:43], v[48:49], v[0:1] op_sel_hi:[1,0,1]
	s_delay_alu instid0(VALU_DEP_2) | instskip(NEXT) | instid1(VALU_DEP_2)
	v_pk_fma_f32 v[8:9], v[40:41], v[48:49], v[8:9] op_sel:[1,1,0] op_sel_hi:[0,1,1] neg_lo:[1,0,0]
	v_pk_fma_f32 v[0:1], v[16:17], v[48:49], v[0:1] op_sel:[0,1,0]
	v_xor_b32_e32 v16, 0x80000000, v47
	v_mov_b32_e32 v17, v46
	s_delay_alu instid0(VALU_DEP_4) | instskip(NEXT) | instid1(VALU_DEP_4)
	v_pk_fma_f32 v[8:9], v[44:45], v[50:51], v[8:9] op_sel_hi:[1,0,1]
	v_pk_fma_f32 v[0:1], v[46:47], v[50:51], v[0:1] op_sel_hi:[1,0,1]
	s_delay_alu instid0(VALU_DEP_2) | instskip(NEXT) | instid1(VALU_DEP_2)
	v_pk_fma_f32 v[8:9], v[44:45], v[18:19], v[8:9] op_sel:[1,0,0] op_sel_hi:[0,0,1] neg_lo:[1,0,0]
	v_pk_fma_f32 v[0:1], v[16:17], v[18:19], v[0:1] op_sel_hi:[1,0,1]
	s_wait_loadcnt 0xe
	v_xor_b32_e32 v16, 0x80000000, v55
	v_mov_b32_e32 v17, v54
	s_wait_loadcnt 0xd
	v_pk_fma_f32 v[8:9], v[52:53], v[56:57], v[8:9] op_sel_hi:[1,0,1]
	v_mov_b32_e32 v18, v59
	v_pk_fma_f32 v[0:1], v[54:55], v[56:57], v[0:1] op_sel_hi:[1,0,1]
	s_delay_alu instid0(VALU_DEP_3) | instskip(NEXT) | instid1(VALU_DEP_2)
	v_pk_fma_f32 v[8:9], v[52:53], v[56:57], v[8:9] op_sel:[1,1,0] op_sel_hi:[0,1,1] neg_lo:[1,0,0]
	v_pk_fma_f32 v[0:1], v[16:17], v[56:57], v[0:1] op_sel:[0,1,0]
	s_wait_loadcnt 0xc
	v_xor_b32_e32 v16, 0x80000000, v63
	v_mov_b32_e32 v17, v62
	v_pk_fma_f32 v[8:9], v[60:61], v[58:59], v[8:9] op_sel_hi:[1,0,1]
	v_pk_fma_f32 v[0:1], v[62:63], v[58:59], v[0:1] op_sel_hi:[1,0,1]
	s_delay_alu instid0(VALU_DEP_2) | instskip(NEXT) | instid1(VALU_DEP_2)
	v_pk_fma_f32 v[8:9], v[60:61], v[18:19], v[8:9] op_sel:[1,0,0] op_sel_hi:[0,0,1] neg_lo:[1,0,0]
	v_pk_fma_f32 v[0:1], v[16:17], v[18:19], v[0:1] op_sel_hi:[1,0,1]
	s_wait_loadcnt 0xb
	v_xor_b32_e32 v16, 0x80000000, v67
	v_mov_b32_e32 v17, v66
	s_wait_loadcnt 0x9
	v_pk_fma_f32 v[8:9], v[64:65], v[72:73], v[8:9] op_sel_hi:[1,0,1]
	v_mov_b32_e32 v18, v75
	v_pk_fma_f32 v[0:1], v[66:67], v[72:73], v[0:1] op_sel_hi:[1,0,1]
	s_delay_alu instid0(VALU_DEP_3) | instskip(NEXT) | instid1(VALU_DEP_2)
	v_pk_fma_f32 v[8:9], v[64:65], v[72:73], v[8:9] op_sel:[1,1,0] op_sel_hi:[0,1,1] neg_lo:[1,0,0]
	v_pk_fma_f32 v[0:1], v[16:17], v[72:73], v[0:1] op_sel:[0,1,0]
	v_xor_b32_e32 v16, 0x80000000, v71
	v_mov_b32_e32 v17, v70
	s_delay_alu instid0(VALU_DEP_4) | instskip(NEXT) | instid1(VALU_DEP_4)
	v_pk_fma_f32 v[8:9], v[68:69], v[74:75], v[8:9] op_sel_hi:[1,0,1]
	v_pk_fma_f32 v[0:1], v[70:71], v[74:75], v[0:1] op_sel_hi:[1,0,1]
	s_delay_alu instid0(VALU_DEP_2) | instskip(NEXT) | instid1(VALU_DEP_2)
	v_pk_fma_f32 v[8:9], v[68:69], v[18:19], v[8:9] op_sel:[1,0,0] op_sel_hi:[0,0,1] neg_lo:[1,0,0]
	v_pk_fma_f32 v[0:1], v[16:17], v[18:19], v[0:1] op_sel_hi:[1,0,1]
	s_wait_loadcnt 0x8
	v_xor_b32_e32 v16, 0x80000000, v79
	v_mov_b32_e32 v17, v78
	s_wait_loadcnt 0x6
	v_pk_fma_f32 v[8:9], v[76:77], v[84:85], v[8:9] op_sel_hi:[1,0,1]
	v_mov_b32_e32 v18, v87
	v_pk_fma_f32 v[0:1], v[78:79], v[84:85], v[0:1] op_sel_hi:[1,0,1]
	s_delay_alu instid0(VALU_DEP_3) | instskip(NEXT) | instid1(VALU_DEP_2)
	v_pk_fma_f32 v[8:9], v[76:77], v[84:85], v[8:9] op_sel:[1,1,0] op_sel_hi:[0,1,1] neg_lo:[1,0,0]
	v_pk_fma_f32 v[0:1], v[16:17], v[84:85], v[0:1] op_sel:[0,1,0]
	v_xor_b32_e32 v16, 0x80000000, v83
	v_mov_b32_e32 v17, v82
	s_delay_alu instid0(VALU_DEP_4) | instskip(NEXT) | instid1(VALU_DEP_4)
	v_pk_fma_f32 v[8:9], v[80:81], v[86:87], v[8:9] op_sel_hi:[1,0,1]
	v_pk_fma_f32 v[0:1], v[82:83], v[86:87], v[0:1] op_sel_hi:[1,0,1]
	s_delay_alu instid0(VALU_DEP_2) | instskip(NEXT) | instid1(VALU_DEP_2)
	v_pk_fma_f32 v[8:9], v[80:81], v[18:19], v[8:9] op_sel:[1,0,0] op_sel_hi:[0,0,1] neg_lo:[1,0,0]
	v_pk_fma_f32 v[0:1], v[16:17], v[18:19], v[0:1] op_sel_hi:[1,0,1]
	s_wait_loadcnt 0x5
	v_xor_b32_e32 v16, 0x80000000, v91
	v_mov_b32_e32 v17, v90
	s_wait_loadcnt 0x4
	v_pk_fma_f32 v[8:9], v[88:89], v[28:29], v[8:9] op_sel_hi:[1,0,1]
	v_pk_fma_f32 v[0:1], v[90:91], v[28:29], v[0:1] op_sel_hi:[1,0,1]
	v_mov_b32_e32 v18, v31
	s_delay_alu instid0(VALU_DEP_3) | instskip(NEXT) | instid1(VALU_DEP_3)
	v_pk_fma_f32 v[8:9], v[88:89], v[28:29], v[8:9] op_sel:[1,1,0] op_sel_hi:[0,1,1] neg_lo:[1,0,0]
	v_pk_fma_f32 v[0:1], v[16:17], v[28:29], v[0:1] op_sel:[0,1,0]
	s_wait_loadcnt 0x3
	v_xor_b32_e32 v16, 0x80000000, v95
	v_mov_b32_e32 v17, v94
	v_pk_fma_f32 v[8:9], v[92:93], v[30:31], v[8:9] op_sel_hi:[1,0,1]
	v_pk_fma_f32 v[0:1], v[94:95], v[30:31], v[0:1] op_sel_hi:[1,0,1]
	s_delay_alu instid0(VALU_DEP_2) | instskip(NEXT) | instid1(VALU_DEP_2)
	v_pk_fma_f32 v[8:9], v[92:93], v[18:19], v[8:9] op_sel:[1,0,0] op_sel_hi:[0,0,1] neg_lo:[1,0,0]
	v_pk_fma_f32 v[0:1], v[16:17], v[18:19], v[0:1] op_sel_hi:[1,0,1]
	s_wait_loadcnt 0x2
	v_xor_b32_e32 v16, 0x80000000, v27
	s_wait_loadcnt 0x1
	v_dual_mov_b32 v17, v26 :: v_dual_mov_b32 v18, v35
	v_pk_fma_f32 v[8:9], v[24:25], v[32:33], v[8:9] op_sel_hi:[1,0,1]
	v_pk_fma_f32 v[0:1], v[26:27], v[32:33], v[0:1] op_sel_hi:[1,0,1]
	s_delay_alu instid0(VALU_DEP_2) | instskip(NEXT) | instid1(VALU_DEP_2)
	v_pk_fma_f32 v[8:9], v[24:25], v[32:33], v[8:9] op_sel:[1,1,0] op_sel_hi:[0,1,1] neg_lo:[1,0,0]
	v_pk_fma_f32 v[0:1], v[16:17], v[32:33], v[0:1] op_sel:[0,1,0]
	s_wait_loadcnt 0x0
	v_xor_b32_e32 v16, 0x80000000, v23
	v_mov_b32_e32 v17, v22
	v_pk_fma_f32 v[8:9], v[20:21], v[34:35], v[8:9] op_sel_hi:[1,0,1]
	v_pk_fma_f32 v[0:1], v[22:23], v[34:35], v[0:1] op_sel_hi:[1,0,1]
	s_delay_alu instid0(VALU_DEP_2) | instskip(NEXT) | instid1(VALU_DEP_2)
	v_pk_fma_f32 v[8:9], v[20:21], v[18:19], v[8:9] op_sel:[1,0,0] op_sel_hi:[0,0,1] neg_lo:[1,0,0]
	v_pk_fma_f32 v[0:1], v[16:17], v[18:19], v[0:1] op_sel_hi:[1,0,1]
	s_and_not1_b32 exec_lo, exec_lo, s4
	s_cbranch_execnz .LBB226_5
; %bb.6:
	s_or_b32 exec_lo, exec_lo, s4
.LBB226_7:
	s_delay_alu instid0(SALU_CYCLE_1)
	s_or_b32 exec_lo, exec_lo, s3
	s_cbranch_execz .LBB226_9
	s_branch .LBB226_14
.LBB226_8:
                                        ; implicit-def: $vgpr9
                                        ; implicit-def: $vgpr1
.LBB226_9:
	v_mov_b32_e32 v9, 0
	s_delay_alu instid0(VALU_DEP_1)
	v_dual_mov_b32 v8, v9 :: v_dual_mov_b32 v1, v9
	v_mov_b32_e32 v0, v9
	s_and_saveexec_b32 s3, s2
	s_cbranch_execz .LBB226_13
; %bb.10:
	v_dual_mov_b32 v11, 0 :: v_dual_lshlrev_b32 v10, 5, v13
	s_mov_b32 s2, 0
	s_delay_alu instid0(VALU_DEP_1)
	v_dual_mov_b32 v0, v11 :: v_dual_mov_b32 v1, v11
	v_dual_mov_b32 v8, v11 :: v_dual_mov_b32 v9, v11
.LBB226_11:                             ; =>This Inner Loop Header: Depth=1
	global_load_b32 v66, v13, s[6:7] scale_offset
	v_lshl_add_u64 v[74:75], v[10:11], 3, s[8:9]
	v_add_nc_u32_e32 v10, 0x800, v10
	s_clause 0xc
	global_load_b128 v[14:17], v[74:75], off
	global_load_b128 v[18:21], v[74:75], off offset:128
	global_load_b128 v[22:25], v[74:75], off offset:144
	;; [unrolled: 1-line block ×12, first 2 shown]
	s_wait_xcnt 0xd
	v_add_nc_u32_e32 v13, 64, v13
	s_delay_alu instid0(VALU_DEP_1)
	v_cmp_ge_i32_e32 vcc_lo, v13, v12
	s_or_b32 s2, vcc_lo, s2
	s_wait_loadcnt 0xc
	v_xor_b32_e32 v76, 0x80000000, v17
	s_wait_loadcnt 0xb
	v_dual_mov_b32 v77, v16 :: v_dual_mov_b32 v79, v20
	v_xor_b32_e32 v78, 0x80000000, v21
	s_wait_loadcnt 0x9
	v_xor_b32_e32 v82, 0x80000000, v29
	v_dual_mov_b32 v83, v28 :: v_dual_mov_b32 v85, v24
	v_subrev_nc_u32_e32 v66, s12, v66
	v_mov_b32_e32 v67, v11
	v_xor_b32_e32 v84, 0x80000000, v25
	s_delay_alu instid0(VALU_DEP_3) | instskip(NEXT) | instid1(VALU_DEP_1)
	v_lshlrev_b32_e32 v66, 4, v66
	v_lshl_add_u64 v[80:81], v[66:67], 3, s[10:11]
	s_clause 0x1
	global_load_b128 v[66:69], v[80:81], off
	global_load_b128 v[70:73], v[80:81], off offset:16
	s_wait_loadcnt 0x1
	v_pk_fma_f32 v[8:9], v[14:15], v[66:67], v[8:9] op_sel_hi:[1,0,1]
	v_pk_fma_f32 v[0:1], v[18:19], v[66:67], v[0:1] op_sel_hi:[1,0,1]
	s_delay_alu instid0(VALU_DEP_2) | instskip(NEXT) | instid1(VALU_DEP_2)
	v_pk_fma_f32 v[8:9], v[14:15], v[66:67], v[8:9] op_sel:[1,1,0] op_sel_hi:[0,1,1] neg_lo:[1,0,0]
	v_pk_fma_f32 v[0:1], v[18:19], v[66:67], v[0:1] op_sel:[1,1,0] op_sel_hi:[0,1,1] neg_lo:[1,0,0]
	v_mov_b32_e32 v66, v69
	s_delay_alu instid0(VALU_DEP_3)
	v_pk_fma_f32 v[8:9], v[16:17], v[68:69], v[8:9] op_sel_hi:[1,0,1]
	global_load_b128 v[14:17], v[80:81], off offset:32
	v_pk_fma_f32 v[0:1], v[20:21], v[68:69], v[0:1] op_sel_hi:[1,0,1]
	global_load_b128 v[18:21], v[80:81], off offset:48
	v_pk_fma_f32 v[8:9], v[76:77], v[66:67], v[8:9] op_sel_hi:[1,0,1]
	s_wait_loadcnt 0x2
	v_mov_b32_e32 v76, v73
	v_pk_fma_f32 v[0:1], v[78:79], v[66:67], v[0:1] op_sel_hi:[1,0,1]
	global_load_b128 v[66:69], v[80:81], off offset:80
	v_xor_b32_e32 v78, 0x80000000, v37
	v_pk_fma_f32 v[8:9], v[26:27], v[70:71], v[8:9] op_sel_hi:[1,0,1]
	v_mov_b32_e32 v79, v36
	v_pk_fma_f32 v[0:1], v[22:23], v[70:71], v[0:1] op_sel_hi:[1,0,1]
	s_delay_alu instid0(VALU_DEP_3) | instskip(NEXT) | instid1(VALU_DEP_2)
	v_pk_fma_f32 v[8:9], v[26:27], v[70:71], v[8:9] op_sel:[1,1,0] op_sel_hi:[0,1,1] neg_lo:[1,0,0]
	v_pk_fma_f32 v[0:1], v[22:23], v[70:71], v[0:1] op_sel:[1,1,0] op_sel_hi:[0,1,1] neg_lo:[1,0,0]
	s_delay_alu instid0(VALU_DEP_2)
	v_pk_fma_f32 v[8:9], v[28:29], v[72:73], v[8:9] op_sel_hi:[1,0,1]
	global_load_b128 v[26:29], v[80:81], off offset:64
	v_pk_fma_f32 v[0:1], v[24:25], v[72:73], v[0:1] op_sel_hi:[1,0,1]
	s_clause 0x1
	global_load_b128 v[22:25], v[74:75], off offset:96
	global_load_b128 v[70:73], v[74:75], off offset:240
	v_pk_fma_f32 v[8:9], v[82:83], v[76:77], v[8:9] op_sel_hi:[1,0,1]
	v_xor_b32_e32 v82, 0x80000000, v45
	v_pk_fma_f32 v[0:1], v[84:85], v[76:77], v[0:1] op_sel_hi:[1,0,1]
	global_load_b128 v[74:77], v[74:75], off offset:224
	v_mov_b32_e32 v83, v44
	s_wait_loadcnt 0x6
	v_pk_fma_f32 v[8:9], v[34:35], v[14:15], v[8:9] op_sel_hi:[1,0,1]
	v_pk_fma_f32 v[0:1], v[42:43], v[14:15], v[0:1] op_sel_hi:[1,0,1]
	s_delay_alu instid0(VALU_DEP_2) | instskip(NEXT) | instid1(VALU_DEP_2)
	v_pk_fma_f32 v[8:9], v[34:35], v[14:15], v[8:9] op_sel:[1,1,0] op_sel_hi:[0,1,1] neg_lo:[1,0,0]
	v_pk_fma_f32 v[0:1], v[42:43], v[14:15], v[0:1] op_sel:[1,1,0] op_sel_hi:[0,1,1] neg_lo:[1,0,0]
	v_mov_b32_e32 v14, v17
	s_delay_alu instid0(VALU_DEP_3) | instskip(NEXT) | instid1(VALU_DEP_3)
	v_pk_fma_f32 v[8:9], v[36:37], v[16:17], v[8:9] op_sel_hi:[1,0,1]
	v_pk_fma_f32 v[0:1], v[44:45], v[16:17], v[0:1] op_sel_hi:[1,0,1]
	s_clause 0x1
	global_load_b128 v[34:37], v[80:81], off offset:96
	global_load_b128 v[42:45], v[80:81], off offset:112
	v_xor_b32_e32 v16, 0x80000000, v41
	v_mov_b32_e32 v17, v40
	v_pk_fma_f32 v[8:9], v[78:79], v[14:15], v[8:9] op_sel_hi:[1,0,1]
	v_pk_fma_f32 v[0:1], v[82:83], v[14:15], v[0:1] op_sel_hi:[1,0,1]
	v_xor_b32_e32 v14, 0x80000000, v33
	v_mov_b32_e32 v15, v32
	s_wait_loadcnt 0x7
	v_pk_fma_f32 v[8:9], v[30:31], v[18:19], v[8:9] op_sel_hi:[1,0,1]
	v_pk_fma_f32 v[0:1], v[38:39], v[18:19], v[0:1] op_sel_hi:[1,0,1]
	s_delay_alu instid0(VALU_DEP_2) | instskip(NEXT) | instid1(VALU_DEP_2)
	v_pk_fma_f32 v[8:9], v[30:31], v[18:19], v[8:9] op_sel:[1,1,0] op_sel_hi:[0,1,1] neg_lo:[1,0,0]
	v_pk_fma_f32 v[0:1], v[38:39], v[18:19], v[0:1] op_sel:[1,1,0] op_sel_hi:[0,1,1] neg_lo:[1,0,0]
	v_mov_b32_e32 v18, v21
	s_delay_alu instid0(VALU_DEP_3) | instskip(NEXT) | instid1(VALU_DEP_3)
	v_pk_fma_f32 v[8:9], v[32:33], v[20:21], v[8:9] op_sel_hi:[1,0,1]
	v_pk_fma_f32 v[0:1], v[40:41], v[20:21], v[0:1] op_sel_hi:[1,0,1]
	s_delay_alu instid0(VALU_DEP_2) | instskip(NEXT) | instid1(VALU_DEP_2)
	v_pk_fma_f32 v[8:9], v[14:15], v[18:19], v[8:9] op_sel_hi:[1,0,1]
	v_pk_fma_f32 v[0:1], v[16:17], v[18:19], v[0:1] op_sel_hi:[1,0,1]
	v_xor_b32_e32 v14, 0x80000000, v53
	v_dual_mov_b32 v15, v52 :: v_dual_mov_b32 v17, v60
	s_wait_loadcnt 0x5
	v_pk_fma_f32 v[8:9], v[50:51], v[26:27], v[8:9] op_sel_hi:[1,0,1]
	v_pk_fma_f32 v[0:1], v[58:59], v[26:27], v[0:1] op_sel_hi:[1,0,1]
	v_xor_b32_e32 v16, 0x80000000, v61
	v_mov_b32_e32 v18, v29
	s_delay_alu instid0(VALU_DEP_4) | instskip(NEXT) | instid1(VALU_DEP_4)
	v_pk_fma_f32 v[8:9], v[50:51], v[26:27], v[8:9] op_sel:[1,1,0] op_sel_hi:[0,1,1] neg_lo:[1,0,0]
	v_pk_fma_f32 v[0:1], v[58:59], v[26:27], v[0:1] op_sel:[1,1,0] op_sel_hi:[0,1,1] neg_lo:[1,0,0]
	s_delay_alu instid0(VALU_DEP_2) | instskip(NEXT) | instid1(VALU_DEP_2)
	v_pk_fma_f32 v[8:9], v[52:53], v[28:29], v[8:9] op_sel_hi:[1,0,1]
	v_pk_fma_f32 v[0:1], v[60:61], v[28:29], v[0:1] op_sel_hi:[1,0,1]
	s_delay_alu instid0(VALU_DEP_2) | instskip(SKIP_1) | instid1(VALU_DEP_3)
	v_pk_fma_f32 v[8:9], v[14:15], v[18:19], v[8:9] op_sel_hi:[1,0,1]
	v_mov_b32_e32 v15, v48
	v_pk_fma_f32 v[0:1], v[16:17], v[18:19], v[0:1] op_sel_hi:[1,0,1]
	v_xor_b32_e32 v14, 0x80000000, v49
	v_xor_b32_e32 v16, 0x80000000, v57
	v_pk_fma_f32 v[8:9], v[46:47], v[66:67], v[8:9] op_sel_hi:[1,0,1]
	v_dual_mov_b32 v17, v56 :: v_dual_mov_b32 v18, v69
	v_pk_fma_f32 v[0:1], v[54:55], v[66:67], v[0:1] op_sel_hi:[1,0,1]
	s_delay_alu instid0(VALU_DEP_3) | instskip(NEXT) | instid1(VALU_DEP_2)
	v_pk_fma_f32 v[8:9], v[46:47], v[66:67], v[8:9] op_sel:[1,1,0] op_sel_hi:[0,1,1] neg_lo:[1,0,0]
	v_pk_fma_f32 v[0:1], v[54:55], v[66:67], v[0:1] op_sel:[1,1,0] op_sel_hi:[0,1,1] neg_lo:[1,0,0]
	s_delay_alu instid0(VALU_DEP_2) | instskip(NEXT) | instid1(VALU_DEP_2)
	v_pk_fma_f32 v[8:9], v[48:49], v[68:69], v[8:9] op_sel_hi:[1,0,1]
	v_pk_fma_f32 v[0:1], v[56:57], v[68:69], v[0:1] op_sel_hi:[1,0,1]
	s_delay_alu instid0(VALU_DEP_2)
	v_pk_fma_f32 v[8:9], v[14:15], v[18:19], v[8:9] op_sel_hi:[1,0,1]
	s_wait_loadcnt 0x4
	v_xor_b32_e32 v14, 0x80000000, v25
	v_mov_b32_e32 v15, v24
	v_pk_fma_f32 v[0:1], v[16:17], v[18:19], v[0:1] op_sel_hi:[1,0,1]
	s_wait_loadcnt 0x2
	v_xor_b32_e32 v16, 0x80000000, v77
	v_mov_b32_e32 v17, v76
	s_wait_loadcnt 0x1
	v_pk_fma_f32 v[8:9], v[22:23], v[34:35], v[8:9] op_sel_hi:[1,0,1]
	v_pk_fma_f32 v[0:1], v[74:75], v[34:35], v[0:1] op_sel_hi:[1,0,1]
	v_mov_b32_e32 v18, v37
	s_delay_alu instid0(VALU_DEP_3) | instskip(NEXT) | instid1(VALU_DEP_3)
	v_pk_fma_f32 v[8:9], v[22:23], v[34:35], v[8:9] op_sel:[1,1,0] op_sel_hi:[0,1,1] neg_lo:[1,0,0]
	v_pk_fma_f32 v[0:1], v[74:75], v[34:35], v[0:1] op_sel:[1,1,0] op_sel_hi:[0,1,1] neg_lo:[1,0,0]
	s_delay_alu instid0(VALU_DEP_2) | instskip(NEXT) | instid1(VALU_DEP_2)
	v_pk_fma_f32 v[8:9], v[24:25], v[36:37], v[8:9] op_sel_hi:[1,0,1]
	v_pk_fma_f32 v[0:1], v[76:77], v[36:37], v[0:1] op_sel_hi:[1,0,1]
	s_delay_alu instid0(VALU_DEP_2) | instskip(NEXT) | instid1(VALU_DEP_2)
	v_pk_fma_f32 v[8:9], v[14:15], v[18:19], v[8:9] op_sel_hi:[1,0,1]
	v_pk_fma_f32 v[0:1], v[16:17], v[18:19], v[0:1] op_sel_hi:[1,0,1]
	v_xor_b32_e32 v14, 0x80000000, v65
	v_dual_mov_b32 v15, v64 :: v_dual_mov_b32 v17, v72
	s_wait_loadcnt 0x0
	v_pk_fma_f32 v[8:9], v[62:63], v[42:43], v[8:9] op_sel_hi:[1,0,1]
	v_pk_fma_f32 v[0:1], v[70:71], v[42:43], v[0:1] op_sel_hi:[1,0,1]
	v_xor_b32_e32 v16, 0x80000000, v73
	v_mov_b32_e32 v18, v45
	s_delay_alu instid0(VALU_DEP_4) | instskip(NEXT) | instid1(VALU_DEP_4)
	v_pk_fma_f32 v[8:9], v[62:63], v[42:43], v[8:9] op_sel:[1,1,0] op_sel_hi:[0,1,1] neg_lo:[1,0,0]
	v_pk_fma_f32 v[0:1], v[70:71], v[42:43], v[0:1] op_sel:[1,1,0] op_sel_hi:[0,1,1] neg_lo:[1,0,0]
	s_delay_alu instid0(VALU_DEP_2) | instskip(NEXT) | instid1(VALU_DEP_2)
	v_pk_fma_f32 v[8:9], v[64:65], v[44:45], v[8:9] op_sel_hi:[1,0,1]
	v_pk_fma_f32 v[0:1], v[72:73], v[44:45], v[0:1] op_sel_hi:[1,0,1]
	s_delay_alu instid0(VALU_DEP_2) | instskip(NEXT) | instid1(VALU_DEP_2)
	v_pk_fma_f32 v[8:9], v[14:15], v[18:19], v[8:9] op_sel_hi:[1,0,1]
	v_pk_fma_f32 v[0:1], v[16:17], v[18:19], v[0:1] op_sel_hi:[1,0,1]
	s_and_not1_b32 exec_lo, exec_lo, s2
	s_cbranch_execnz .LBB226_11
; %bb.12:
	s_or_b32 exec_lo, exec_lo, s2
.LBB226_13:
	s_delay_alu instid0(SALU_CYCLE_1)
	s_or_b32 exec_lo, exec_lo, s3
.LBB226_14:
	v_mbcnt_lo_u32_b32 v10, -1, 0
	s_delay_alu instid0(VALU_DEP_1) | instskip(SKIP_1) | instid1(VALU_DEP_1)
	v_xor_b32_e32 v15, 16, v10
	v_or_b32_e32 v11, 32, v10
	v_cmp_gt_i32_e32 vcc_lo, 32, v11
	v_cndmask_b32_e32 v11, v10, v11, vcc_lo
	s_delay_alu instid0(VALU_DEP_1)
	v_lshlrev_b32_e32 v11, 2, v11
	ds_bpermute_b32 v13, v11, v9
	s_wait_dscnt 0x0
	v_add_f32_e32 v9, v9, v13
	ds_bpermute_b32 v12, v11, v8
	ds_bpermute_b32 v14, v11, v0
	;; [unrolled: 1-line block ×3, first 2 shown]
	s_wait_dscnt 0x2
	v_add_f32_e32 v8, v8, v12
	s_wait_dscnt 0x0
	v_dual_add_f32 v0, v0, v14 :: v_dual_add_f32 v1, v1, v11
	v_cmp_gt_i32_e32 vcc_lo, 32, v15
	v_cndmask_b32_e32 v15, v10, v15, vcc_lo
	s_delay_alu instid0(VALU_DEP_1)
	v_lshlrev_b32_e32 v15, 2, v15
	ds_bpermute_b32 v11, v15, v8
	ds_bpermute_b32 v12, v15, v9
	ds_bpermute_b32 v13, v15, v0
	ds_bpermute_b32 v14, v15, v1
	s_wait_dscnt 0x3
	v_dual_add_f32 v8, v8, v11 :: v_dual_bitop2_b32 v15, 8, v10 bitop3:0x14
	s_delay_alu instid0(VALU_DEP_1)
	v_cmp_gt_i32_e32 vcc_lo, 32, v15
	s_wait_dscnt 0x2
	v_add_f32_e32 v9, v9, v12
	s_wait_dscnt 0x0
	v_dual_add_f32 v1, v1, v14 :: v_dual_add_f32 v0, v0, v13
	v_cndmask_b32_e32 v15, v10, v15, vcc_lo
	s_delay_alu instid0(VALU_DEP_1)
	v_lshlrev_b32_e32 v15, 2, v15
	ds_bpermute_b32 v11, v15, v8
	ds_bpermute_b32 v12, v15, v9
	ds_bpermute_b32 v13, v15, v0
	ds_bpermute_b32 v14, v15, v1
	s_wait_dscnt 0x3
	v_dual_add_f32 v8, v8, v11 :: v_dual_bitop2_b32 v15, 4, v10 bitop3:0x14
	s_delay_alu instid0(VALU_DEP_1) | instskip(SKIP_4) | instid1(VALU_DEP_2)
	v_cmp_gt_i32_e32 vcc_lo, 32, v15
	s_wait_dscnt 0x2
	v_dual_add_f32 v9, v9, v12 :: v_dual_cndmask_b32 v15, v10, v15, vcc_lo
	s_wait_dscnt 0x0
	v_dual_add_f32 v0, v0, v13 :: v_dual_add_f32 v1, v1, v14
	v_lshlrev_b32_e32 v15, 2, v15
	ds_bpermute_b32 v11, v15, v8
	ds_bpermute_b32 v12, v15, v9
	;; [unrolled: 1-line block ×4, first 2 shown]
	s_wait_dscnt 0x3
	v_dual_add_f32 v8, v8, v11 :: v_dual_bitop2_b32 v15, 2, v10 bitop3:0x14
	s_delay_alu instid0(VALU_DEP_1) | instskip(SKIP_4) | instid1(VALU_DEP_1)
	v_cmp_gt_i32_e32 vcc_lo, 32, v15
	s_wait_dscnt 0x1
	v_dual_add_f32 v9, v9, v12 :: v_dual_add_f32 v11, v0, v13
	s_wait_dscnt 0x0
	v_dual_add_f32 v12, v1, v14 :: v_dual_cndmask_b32 v15, v10, v15
	v_lshlrev_b32_e32 v15, 2, v15
	ds_bpermute_b32 v0, v15, v8
	ds_bpermute_b32 v1, v15, v9
	;; [unrolled: 1-line block ×4, first 2 shown]
	s_wait_dscnt 0x3
	v_dual_add_f32 v0, v8, v0 :: v_dual_bitop2_b32 v15, 1, v10 bitop3:0x14
	s_delay_alu instid0(VALU_DEP_1)
	v_cmp_gt_i32_e32 vcc_lo, 32, v15
	s_wait_dscnt 0x2
	v_dual_add_f32 v8, v9, v1 :: v_dual_cndmask_b32 v10, v10, v15, vcc_lo
	s_wait_dscnt 0x0
	v_dual_add_f32 v1, v11, v13 :: v_dual_add_f32 v9, v12, v14
	v_cmp_eq_u32_e32 vcc_lo, 63, v7
	s_delay_alu instid0(VALU_DEP_3)
	v_lshlrev_b32_e32 v15, 2, v10
	ds_bpermute_b32 v12, v15, v0
	ds_bpermute_b32 v13, v15, v8
	;; [unrolled: 1-line block ×4, first 2 shown]
	s_and_b32 exec_lo, exec_lo, vcc_lo
	s_cbranch_execz .LBB226_19
; %bb.15:
	s_load_b64 s[2:3], s[0:1], 0x38
	v_cmp_eq_f32_e32 vcc_lo, 0, v4
	s_wait_xcnt 0x0
	v_cmp_eq_f32_e64 s0, 0, v5
	s_wait_dscnt 0x3
	v_add_f32_e32 v0, v0, v12
	s_wait_dscnt 0x1
	v_dual_add_f32 v12, v8, v13 :: v_dual_add_f32 v8, v1, v10
	s_wait_dscnt 0x0
	v_add_f32_e32 v10, v9, v11
	s_and_b32 s0, vcc_lo, s0
	s_delay_alu instid0(SALU_CYCLE_1) | instskip(NEXT) | instid1(SALU_CYCLE_1)
	s_and_saveexec_b32 s1, s0
	s_xor_b32 s0, exec_lo, s1
	s_cbranch_execz .LBB226_17
; %bb.16:
	v_xor_b32_e32 v4, 0x80000000, v3
	v_dual_mov_b32 v5, v2 :: v_dual_lshlrev_b32 v6, 1, v6
	s_delay_alu instid0(VALU_DEP_1) | instskip(NEXT) | instid1(VALU_DEP_2)
	v_ashrrev_i32_e32 v7, 31, v6
	v_pk_mul_f32 v[12:13], v[12:13], v[4:5] op_sel_hi:[0,1]
	v_pk_mul_f32 v[4:5], v[10:11], v[4:5] op_sel_hi:[0,1]
                                        ; implicit-def: $vgpr10
	s_wait_kmcnt 0x0
	s_delay_alu instid0(VALU_DEP_3) | instskip(NEXT) | instid1(VALU_DEP_3)
	v_lshl_add_u64 v[6:7], v[6:7], 3, s[2:3]
	v_pk_fma_f32 v[0:1], v[2:3], v[0:1], v[12:13] op_sel_hi:[1,0,1]
	s_delay_alu instid0(VALU_DEP_3)
	v_pk_fma_f32 v[2:3], v[2:3], v[8:9], v[4:5] op_sel_hi:[1,0,1]
                                        ; implicit-def: $vgpr4_vgpr5
                                        ; implicit-def: $vgpr12
                                        ; implicit-def: $vgpr8
	global_store_b128 v[6:7], v[0:3], off
                                        ; implicit-def: $vgpr6
                                        ; implicit-def: $vgpr2_vgpr3
                                        ; implicit-def: $vgpr0
.LBB226_17:
	s_wait_xcnt 0x0
	s_and_not1_saveexec_b32 s0, s0
	s_cbranch_execz .LBB226_19
; %bb.18:
	v_dual_mov_b32 v19, v2 :: v_dual_lshlrev_b32 v6, 1, v6
	v_xor_b32_e32 v18, 0x80000000, v3
	s_delay_alu instid0(VALU_DEP_2) | instskip(NEXT) | instid1(VALU_DEP_2)
	v_ashrrev_i32_e32 v7, 31, v6
	v_pk_mul_f32 v[12:13], v[12:13], v[18:19] op_sel_hi:[0,1]
	v_pk_mul_f32 v[10:11], v[10:11], v[18:19] op_sel_hi:[0,1]
	s_delay_alu instid0(VALU_DEP_2) | instskip(NEXT) | instid1(VALU_DEP_2)
	v_pk_fma_f32 v[0:1], v[2:3], v[0:1], v[12:13] op_sel_hi:[1,0,1]
	v_pk_fma_f32 v[2:3], v[2:3], v[8:9], v[10:11] op_sel_hi:[1,0,1]
	v_mov_b32_e32 v9, v4
	s_wait_kmcnt 0x0
	v_lshl_add_u64 v[6:7], v[6:7], 3, s[2:3]
	v_xor_b32_e32 v8, 0x80000000, v5
	global_load_b128 v[14:17], v[6:7], off
	s_wait_loadcnt 0x0
	v_pk_fma_f32 v[0:1], v[4:5], v[14:15], v[0:1] op_sel_hi:[1,0,1]
	v_pk_fma_f32 v[2:3], v[4:5], v[16:17], v[2:3] op_sel_hi:[1,0,1]
	v_mov_b32_e32 v4, v17
	s_delay_alu instid0(VALU_DEP_3) | instskip(NEXT) | instid1(VALU_DEP_2)
	v_pk_fma_f32 v[0:1], v[8:9], v[14:15], v[0:1] op_sel:[0,1,0]
	v_pk_fma_f32 v[2:3], v[8:9], v[4:5], v[2:3] op_sel_hi:[1,0,1]
	global_store_b128 v[6:7], v[0:3], off
.LBB226_19:
	s_sendmsg sendmsg(MSG_DEALLOC_VGPRS)
	s_endpgm
	.section	.rodata,"a",@progbits
	.p2align	6, 0x0
	.amdhsa_kernel _ZN9rocsparseL19gebsrmvn_2xn_kernelILj128ELj16ELj64E21rocsparse_complex_numIfEEEvi20rocsparse_direction_NS_24const_host_device_scalarIT2_EEPKiS8_PKS5_SA_S6_PS5_21rocsparse_index_base_b
		.amdhsa_group_segment_fixed_size 0
		.amdhsa_private_segment_fixed_size 0
		.amdhsa_kernarg_size 72
		.amdhsa_user_sgpr_count 2
		.amdhsa_user_sgpr_dispatch_ptr 0
		.amdhsa_user_sgpr_queue_ptr 0
		.amdhsa_user_sgpr_kernarg_segment_ptr 1
		.amdhsa_user_sgpr_dispatch_id 0
		.amdhsa_user_sgpr_kernarg_preload_length 0
		.amdhsa_user_sgpr_kernarg_preload_offset 0
		.amdhsa_user_sgpr_private_segment_size 0
		.amdhsa_wavefront_size32 1
		.amdhsa_uses_dynamic_stack 0
		.amdhsa_enable_private_segment 0
		.amdhsa_system_sgpr_workgroup_id_x 1
		.amdhsa_system_sgpr_workgroup_id_y 0
		.amdhsa_system_sgpr_workgroup_id_z 0
		.amdhsa_system_sgpr_workgroup_info 0
		.amdhsa_system_vgpr_workitem_id 0
		.amdhsa_next_free_vgpr 102
		.amdhsa_next_free_sgpr 14
		.amdhsa_named_barrier_count 0
		.amdhsa_reserve_vcc 1
		.amdhsa_float_round_mode_32 0
		.amdhsa_float_round_mode_16_64 0
		.amdhsa_float_denorm_mode_32 3
		.amdhsa_float_denorm_mode_16_64 3
		.amdhsa_fp16_overflow 0
		.amdhsa_memory_ordered 1
		.amdhsa_forward_progress 1
		.amdhsa_inst_pref_size 31
		.amdhsa_round_robin_scheduling 0
		.amdhsa_exception_fp_ieee_invalid_op 0
		.amdhsa_exception_fp_denorm_src 0
		.amdhsa_exception_fp_ieee_div_zero 0
		.amdhsa_exception_fp_ieee_overflow 0
		.amdhsa_exception_fp_ieee_underflow 0
		.amdhsa_exception_fp_ieee_inexact 0
		.amdhsa_exception_int_div_zero 0
	.end_amdhsa_kernel
	.section	.text._ZN9rocsparseL19gebsrmvn_2xn_kernelILj128ELj16ELj64E21rocsparse_complex_numIfEEEvi20rocsparse_direction_NS_24const_host_device_scalarIT2_EEPKiS8_PKS5_SA_S6_PS5_21rocsparse_index_base_b,"axG",@progbits,_ZN9rocsparseL19gebsrmvn_2xn_kernelILj128ELj16ELj64E21rocsparse_complex_numIfEEEvi20rocsparse_direction_NS_24const_host_device_scalarIT2_EEPKiS8_PKS5_SA_S6_PS5_21rocsparse_index_base_b,comdat
.Lfunc_end226:
	.size	_ZN9rocsparseL19gebsrmvn_2xn_kernelILj128ELj16ELj64E21rocsparse_complex_numIfEEEvi20rocsparse_direction_NS_24const_host_device_scalarIT2_EEPKiS8_PKS5_SA_S6_PS5_21rocsparse_index_base_b, .Lfunc_end226-_ZN9rocsparseL19gebsrmvn_2xn_kernelILj128ELj16ELj64E21rocsparse_complex_numIfEEEvi20rocsparse_direction_NS_24const_host_device_scalarIT2_EEPKiS8_PKS5_SA_S6_PS5_21rocsparse_index_base_b
                                        ; -- End function
	.set _ZN9rocsparseL19gebsrmvn_2xn_kernelILj128ELj16ELj64E21rocsparse_complex_numIfEEEvi20rocsparse_direction_NS_24const_host_device_scalarIT2_EEPKiS8_PKS5_SA_S6_PS5_21rocsparse_index_base_b.num_vgpr, 102
	.set _ZN9rocsparseL19gebsrmvn_2xn_kernelILj128ELj16ELj64E21rocsparse_complex_numIfEEEvi20rocsparse_direction_NS_24const_host_device_scalarIT2_EEPKiS8_PKS5_SA_S6_PS5_21rocsparse_index_base_b.num_agpr, 0
	.set _ZN9rocsparseL19gebsrmvn_2xn_kernelILj128ELj16ELj64E21rocsparse_complex_numIfEEEvi20rocsparse_direction_NS_24const_host_device_scalarIT2_EEPKiS8_PKS5_SA_S6_PS5_21rocsparse_index_base_b.numbered_sgpr, 14
	.set _ZN9rocsparseL19gebsrmvn_2xn_kernelILj128ELj16ELj64E21rocsparse_complex_numIfEEEvi20rocsparse_direction_NS_24const_host_device_scalarIT2_EEPKiS8_PKS5_SA_S6_PS5_21rocsparse_index_base_b.num_named_barrier, 0
	.set _ZN9rocsparseL19gebsrmvn_2xn_kernelILj128ELj16ELj64E21rocsparse_complex_numIfEEEvi20rocsparse_direction_NS_24const_host_device_scalarIT2_EEPKiS8_PKS5_SA_S6_PS5_21rocsparse_index_base_b.private_seg_size, 0
	.set _ZN9rocsparseL19gebsrmvn_2xn_kernelILj128ELj16ELj64E21rocsparse_complex_numIfEEEvi20rocsparse_direction_NS_24const_host_device_scalarIT2_EEPKiS8_PKS5_SA_S6_PS5_21rocsparse_index_base_b.uses_vcc, 1
	.set _ZN9rocsparseL19gebsrmvn_2xn_kernelILj128ELj16ELj64E21rocsparse_complex_numIfEEEvi20rocsparse_direction_NS_24const_host_device_scalarIT2_EEPKiS8_PKS5_SA_S6_PS5_21rocsparse_index_base_b.uses_flat_scratch, 1
	.set _ZN9rocsparseL19gebsrmvn_2xn_kernelILj128ELj16ELj64E21rocsparse_complex_numIfEEEvi20rocsparse_direction_NS_24const_host_device_scalarIT2_EEPKiS8_PKS5_SA_S6_PS5_21rocsparse_index_base_b.has_dyn_sized_stack, 0
	.set _ZN9rocsparseL19gebsrmvn_2xn_kernelILj128ELj16ELj64E21rocsparse_complex_numIfEEEvi20rocsparse_direction_NS_24const_host_device_scalarIT2_EEPKiS8_PKS5_SA_S6_PS5_21rocsparse_index_base_b.has_recursion, 0
	.set _ZN9rocsparseL19gebsrmvn_2xn_kernelILj128ELj16ELj64E21rocsparse_complex_numIfEEEvi20rocsparse_direction_NS_24const_host_device_scalarIT2_EEPKiS8_PKS5_SA_S6_PS5_21rocsparse_index_base_b.has_indirect_call, 0
	.section	.AMDGPU.csdata,"",@progbits
; Kernel info:
; codeLenInByte = 3884
; TotalNumSgprs: 16
; NumVgprs: 102
; ScratchSize: 0
; MemoryBound: 0
; FloatMode: 240
; IeeeMode: 1
; LDSByteSize: 0 bytes/workgroup (compile time only)
; SGPRBlocks: 0
; VGPRBlocks: 6
; NumSGPRsForWavesPerEU: 16
; NumVGPRsForWavesPerEU: 102
; NamedBarCnt: 0
; Occupancy: 9
; WaveLimiterHint : 1
; COMPUTE_PGM_RSRC2:SCRATCH_EN: 0
; COMPUTE_PGM_RSRC2:USER_SGPR: 2
; COMPUTE_PGM_RSRC2:TRAP_HANDLER: 0
; COMPUTE_PGM_RSRC2:TGID_X_EN: 1
; COMPUTE_PGM_RSRC2:TGID_Y_EN: 0
; COMPUTE_PGM_RSRC2:TGID_Z_EN: 0
; COMPUTE_PGM_RSRC2:TIDIG_COMP_CNT: 0
	.section	.text._ZN9rocsparseL23gebsrmvn_general_kernelILj32ELj32E21rocsparse_complex_numIfEEEvi20rocsparse_direction_NS_24const_host_device_scalarIT1_EEPKiS8_PKS5_iiSA_S6_PS5_21rocsparse_index_base_b,"axG",@progbits,_ZN9rocsparseL23gebsrmvn_general_kernelILj32ELj32E21rocsparse_complex_numIfEEEvi20rocsparse_direction_NS_24const_host_device_scalarIT1_EEPKiS8_PKS5_iiSA_S6_PS5_21rocsparse_index_base_b,comdat
	.globl	_ZN9rocsparseL23gebsrmvn_general_kernelILj32ELj32E21rocsparse_complex_numIfEEEvi20rocsparse_direction_NS_24const_host_device_scalarIT1_EEPKiS8_PKS5_iiSA_S6_PS5_21rocsparse_index_base_b ; -- Begin function _ZN9rocsparseL23gebsrmvn_general_kernelILj32ELj32E21rocsparse_complex_numIfEEEvi20rocsparse_direction_NS_24const_host_device_scalarIT1_EEPKiS8_PKS5_iiSA_S6_PS5_21rocsparse_index_base_b
	.p2align	8
	.type	_ZN9rocsparseL23gebsrmvn_general_kernelILj32ELj32E21rocsparse_complex_numIfEEEvi20rocsparse_direction_NS_24const_host_device_scalarIT1_EEPKiS8_PKS5_iiSA_S6_PS5_21rocsparse_index_base_b,@function
_ZN9rocsparseL23gebsrmvn_general_kernelILj32ELj32E21rocsparse_complex_numIfEEEvi20rocsparse_direction_NS_24const_host_device_scalarIT1_EEPKiS8_PKS5_iiSA_S6_PS5_21rocsparse_index_base_b: ; @_ZN9rocsparseL23gebsrmvn_general_kernelILj32ELj32E21rocsparse_complex_numIfEEEvi20rocsparse_direction_NS_24const_host_device_scalarIT1_EEPKiS8_PKS5_iiSA_S6_PS5_21rocsparse_index_base_b
; %bb.0:
	s_clause 0x2
	s_load_b64 s[8:9], s[0:1], 0x48
	s_load_b64 s[2:3], s[0:1], 0x8
	;; [unrolled: 1-line block ×3, first 2 shown]
	v_mov_b32_e32 v1, 0
	s_add_nc_u64 s[6:7], s[0:1], 8
	s_add_nc_u64 s[10:11], s[0:1], 56
	s_wait_kmcnt 0x0
	s_bitcmp1_b32 s9, 0
	s_cselect_b32 s3, s7, s3
	s_cselect_b32 s2, s6, s2
	;; [unrolled: 1-line block ×4, first 2 shown]
	s_clause 0x1
	flat_load_b64 v[2:3], v1, s[2:3]
	flat_load_b64 v[4:5], v1, s[4:5]
	s_wait_loadcnt_dscnt 0x101
	v_cmp_eq_f32_e32 vcc_lo, 0, v2
	v_cmp_eq_f32_e64 s2, 0, v3
	s_wait_loadcnt_dscnt 0x0
	v_cmp_eq_f32_e64 s3, 1.0, v4
	v_cmp_eq_f32_e64 s4, 0, v5
	s_and_b32 s2, vcc_lo, s2
	s_and_b32 s3, s3, s4
	s_delay_alu instid0(SALU_CYCLE_1) | instskip(NEXT) | instid1(SALU_CYCLE_1)
	s_and_b32 s2, s2, s3
	s_xor_b32 s2, s2, -1
	s_delay_alu instid0(SALU_CYCLE_1)
	s_and_saveexec_b32 s3, s2
	s_cbranch_execz .LBB227_20
; %bb.1:
	s_load_b64 s[10:11], s[0:1], 0x28
	s_wait_kmcnt 0x0
	s_cmp_gt_i32 s10, 0
	s_cselect_b32 s2, -1, 0
	s_delay_alu instid0(SALU_CYCLE_1)
	s_and_b32 exec_lo, exec_lo, s2
	s_cbranch_execz .LBB227_20
; %bb.2:
	s_clause 0x1
	s_load_b128 s[4:7], s[0:1], 0x10
	s_load_b32 s20, s[0:1], 0x4
	s_bfe_u32 s2, ttmp6, 0x4000c
	v_mbcnt_lo_u32_b32 v6, -1, 0
	s_add_co_i32 s2, s2, 1
	s_and_b32 s3, ttmp6, 15
	s_mul_i32 s2, ttmp9, s2
	s_getreg_b32 s9, hwreg(HW_REG_IB_STS2, 6, 4)
	s_add_co_i32 s3, s3, s2
	s_cmp_eq_u32 s9, 0
	v_dual_mov_b32 v1, 0 :: v_dual_bitop2_b32 v7, 16, v6 bitop3:0x14
	s_cselect_b32 s22, ttmp9, s3
	s_clause 0x2
	s_load_b64 s[12:13], s[0:1], 0x20
	s_load_b64 s[14:15], s[0:1], 0x30
	;; [unrolled: 1-line block ×3, first 2 shown]
	s_ashr_i32 s23, s22, 31
	s_mov_b32 s9, 0
	s_wait_xcnt 0x0
	s_lshl_b64 s[0:1], s[22:23], 2
	v_cmp_gt_i32_e32 vcc_lo, 32, v7
	v_xor_b32_e32 v8, 8, v6
	s_mul_i32 s21, s10, s22
	s_wait_kmcnt 0x0
	s_add_nc_u64 s[2:3], s[4:5], s[0:1]
	v_cmp_gt_i32_e64 s0, s11, v0
	s_load_b64 s[18:19], s[2:3], 0x0
	v_cndmask_b32_e32 v7, v6, v7, vcc_lo
	v_cmp_gt_i32_e32 vcc_lo, 32, v8
	v_xor_b32_e32 v9, 4, v6
	v_xor_b32_e32 v11, 1, v6
	s_wait_xcnt 0x0
	v_cmp_eq_f32_e64 s2, 0, v5
	v_dual_cndmask_b32 v8, v6, v8 :: v_dual_lshlrev_b32 v13, 2, v7
	v_cmp_gt_i32_e32 vcc_lo, 32, v9
	v_xor_b32_e32 v10, 2, v6
	v_cmp_eq_u32_e64 s1, 31, v0
	s_mul_i32 s22, s11, s10
	v_mov_b32_e32 v7, v2
	v_cndmask_b32_e32 v9, v6, v9, vcc_lo
	v_cmp_gt_i32_e32 vcc_lo, 32, v10
	v_lshlrev_b32_e32 v14, 2, v8
	v_xor_b32_e32 v8, 0x80000000, v5
	s_delay_alu instid0(VALU_DEP_4)
	v_dual_cndmask_b32 v10, v6, v10 :: v_dual_lshlrev_b32 v15, 2, v9
	v_cmp_gt_i32_e32 vcc_lo, 32, v11
	s_wait_kmcnt 0x0
	s_sub_co_i32 s4, s18, s8
	s_sub_co_i32 s5, s19, s8
	s_mul_i32 s3, s10, s4
	s_cmp_lt_i32 s18, s19
	v_cndmask_b32_e32 v6, v6, v11, vcc_lo
	v_cmp_eq_f32_e32 vcc_lo, 0, v4
	s_mul_i32 s3, s11, s3
	v_dual_mov_b32 v9, v4 :: v_dual_lshlrev_b32 v16, 2, v10
	s_delay_alu instid0(VALU_DEP_3)
	v_lshlrev_b32_e32 v17, 2, v6
	v_xor_b32_e32 v6, 0x80000000, v3
	v_mov_b32_e32 v18, s3
	s_cselect_b32 s18, -1, 0
	s_cmp_lg_u32 s20, 0
	s_cselect_b32 s19, -1, 0
	s_and_b32 s20, vcc_lo, s2
	s_branch .LBB227_4
.LBB227_3:                              ;   in Loop: Header=BB227_4 Depth=1
	s_wait_xcnt 0x0
	s_or_b32 exec_lo, exec_lo, s2
	v_dual_add_nc_u32 v1, 1, v1 :: v_dual_add_nc_u32 v18, s11, v18
	s_delay_alu instid0(VALU_DEP_1) | instskip(SKIP_1) | instid1(SALU_CYCLE_1)
	v_cmp_le_i32_e32 vcc_lo, s10, v1
	s_or_b32 s9, vcc_lo, s9
	s_and_not1_b32 exec_lo, exec_lo, s9
	s_cbranch_execz .LBB227_20
.LBB227_4:                              ; =>This Loop Header: Depth=1
                                        ;     Child Loop BB227_8 Depth 2
                                        ;       Child Loop BB227_11 Depth 3
	v_mov_b64_e32 v[10:11], 0
	s_and_not1_b32 vcc_lo, exec_lo, s18
	s_cbranch_vccnz .LBB227_15
; %bb.5:                                ;   in Loop: Header=BB227_4 Depth=1
	s_wait_dscnt 0x1
	v_mov_b32_e32 v12, v18
	s_mov_b32 s2, s4
	s_branch .LBB227_8
.LBB227_6:                              ;   in Loop: Header=BB227_8 Depth=2
	s_or_b32 exec_lo, exec_lo, s24
.LBB227_7:                              ;   in Loop: Header=BB227_8 Depth=2
	s_delay_alu instid0(SALU_CYCLE_1) | instskip(SKIP_2) | instid1(SALU_CYCLE_1)
	s_or_b32 exec_lo, exec_lo, s23
	v_add_nc_u32_e32 v12, s22, v12
	s_add_co_i32 s2, s2, 1
	s_cmp_ge_i32 s2, s5
	s_cbranch_scc1 .LBB227_15
.LBB227_8:                              ;   Parent Loop BB227_4 Depth=1
                                        ; =>  This Loop Header: Depth=2
                                        ;       Child Loop BB227_11 Depth 3
	s_and_saveexec_b32 s23, s0
	s_cbranch_execz .LBB227_7
; %bb.9:                                ;   in Loop: Header=BB227_8 Depth=2
	s_ashr_i32 s3, s2, 31
	s_wait_dscnt 0x0
	v_mov_b32_e32 v19, v0
	s_lshl_b64 s[24:25], s[2:3], 2
	s_delay_alu instid0(SALU_CYCLE_1)
	s_add_nc_u64 s[24:25], s[6:7], s[24:25]
	s_load_b32 s3, s[24:25], 0x0
	s_wait_xcnt 0x0
	s_mov_b32 s24, 0
	s_wait_kmcnt 0x0
	s_sub_co_i32 s25, s3, s8
	s_mul_i32 s3, s2, s11
	s_mul_i32 s25, s25, s11
	s_branch .LBB227_11
.LBB227_10:                             ;   in Loop: Header=BB227_11 Depth=3
	v_dual_add_nc_u32 v21, s25, v19 :: v_dual_add_nc_u32 v19, 32, v19
	global_load_b64 v[22:23], v21, s[14:15] scale_offset
	global_load_b64 v[24:25], v20, s[12:13] scale_offset
	v_cmp_le_i32_e32 vcc_lo, s11, v19
	s_or_b32 s24, vcc_lo, s24
	s_wait_loadcnt 0x0
	v_pk_fma_f32 v[10:11], v[24:25], v[22:23], v[10:11] op_sel_hi:[1,0,1]
	s_delay_alu instid0(VALU_DEP_1)
	v_pk_fma_f32 v[10:11], v[24:25], v[22:23], v[10:11] op_sel:[1,1,0] op_sel_hi:[0,1,1] neg_lo:[1,0,0]
	s_wait_xcnt 0x0
	s_and_not1_b32 exec_lo, exec_lo, s24
	s_cbranch_execz .LBB227_6
.LBB227_11:                             ;   Parent Loop BB227_4 Depth=1
                                        ;     Parent Loop BB227_8 Depth=2
                                        ; =>    This Inner Loop Header: Depth=3
	s_and_b32 vcc_lo, exec_lo, s19
	s_cbranch_vccz .LBB227_13
; %bb.12:                               ;   in Loop: Header=BB227_11 Depth=3
	v_add_nc_u32_e32 v20, s3, v19
	s_delay_alu instid0(VALU_DEP_1)
	v_mad_u32 v20, v20, s10, v1
	s_cbranch_execnz .LBB227_10
	s_branch .LBB227_14
.LBB227_13:                             ;   in Loop: Header=BB227_11 Depth=3
                                        ; implicit-def: $vgpr20
.LBB227_14:                             ;   in Loop: Header=BB227_11 Depth=3
	v_add_nc_u32_e32 v20, v12, v19
	s_branch .LBB227_10
.LBB227_15:                             ;   in Loop: Header=BB227_4 Depth=1
	s_wait_dscnt 0x1
	ds_bpermute_b32 v12, v13, v10
	s_wait_dscnt 0x1
	ds_bpermute_b32 v19, v13, v11
	s_wait_dscnt 0x0
	v_dual_add_f32 v10, v10, v12 :: v_dual_add_f32 v11, v11, v19
	ds_bpermute_b32 v12, v14, v10
	ds_bpermute_b32 v19, v14, v11
	s_wait_dscnt 0x0
	v_dual_add_f32 v10, v10, v12 :: v_dual_add_f32 v11, v11, v19
	ds_bpermute_b32 v12, v15, v10
	ds_bpermute_b32 v19, v15, v11
	s_wait_dscnt 0x0
	v_dual_add_f32 v10, v10, v12 :: v_dual_add_f32 v11, v11, v19
	ds_bpermute_b32 v12, v16, v10
	ds_bpermute_b32 v19, v16, v11
	s_wait_dscnt 0x0
	v_dual_add_f32 v10, v10, v12 :: v_dual_add_f32 v11, v11, v19
	ds_bpermute_b32 v12, v17, v10
	ds_bpermute_b32 v19, v17, v11
	s_and_saveexec_b32 s2, s1
	s_cbranch_execz .LBB227_3
; %bb.16:                               ;   in Loop: Header=BB227_4 Depth=1
	s_wait_dscnt 0x0
	v_dual_add_f32 v10, v10, v12 :: v_dual_add_f32 v12, v11, v19
	v_add_nc_u32_e32 v11, s21, v1
	s_and_saveexec_b32 s3, s20
	s_delay_alu instid0(SALU_CYCLE_1)
	s_xor_b32 s3, exec_lo, s3
	s_cbranch_execz .LBB227_18
; %bb.17:                               ;   in Loop: Header=BB227_4 Depth=1
	v_pk_mul_f32 v[20:21], v[12:13], v[6:7] op_sel_hi:[0,1]
                                        ; implicit-def: $vgpr12
	s_delay_alu instid0(VALU_DEP_1)
	v_pk_fma_f32 v[20:21], v[2:3], v[10:11], v[20:21] op_sel_hi:[1,0,1]
                                        ; implicit-def: $vgpr10
	global_store_b64 v11, v[20:21], s[16:17] scale_offset
                                        ; implicit-def: $vgpr11
.LBB227_18:                             ;   in Loop: Header=BB227_4 Depth=1
	s_wait_xcnt 0x0
	s_and_not1_saveexec_b32 s3, s3
	s_cbranch_execz .LBB227_3
; %bb.19:                               ;   in Loop: Header=BB227_4 Depth=1
	global_load_b64 v[20:21], v11, s[16:17] scale_offset
	v_pk_mul_f32 v[22:23], v[12:13], v[6:7] op_sel_hi:[0,1]
	s_delay_alu instid0(VALU_DEP_1) | instskip(SKIP_1) | instid1(VALU_DEP_1)
	v_pk_fma_f32 v[22:23], v[2:3], v[10:11], v[22:23] op_sel_hi:[1,0,1]
	s_wait_loadcnt 0x0
	v_pk_fma_f32 v[22:23], v[4:5], v[20:21], v[22:23] op_sel_hi:[1,0,1]
	s_delay_alu instid0(VALU_DEP_1)
	v_pk_fma_f32 v[20:21], v[8:9], v[20:21], v[22:23] op_sel:[0,1,0]
	global_store_b64 v11, v[20:21], s[16:17] scale_offset
	s_branch .LBB227_3
.LBB227_20:
	s_endpgm
	.section	.rodata,"a",@progbits
	.p2align	6, 0x0
	.amdhsa_kernel _ZN9rocsparseL23gebsrmvn_general_kernelILj32ELj32E21rocsparse_complex_numIfEEEvi20rocsparse_direction_NS_24const_host_device_scalarIT1_EEPKiS8_PKS5_iiSA_S6_PS5_21rocsparse_index_base_b
		.amdhsa_group_segment_fixed_size 0
		.amdhsa_private_segment_fixed_size 0
		.amdhsa_kernarg_size 80
		.amdhsa_user_sgpr_count 2
		.amdhsa_user_sgpr_dispatch_ptr 0
		.amdhsa_user_sgpr_queue_ptr 0
		.amdhsa_user_sgpr_kernarg_segment_ptr 1
		.amdhsa_user_sgpr_dispatch_id 0
		.amdhsa_user_sgpr_kernarg_preload_length 0
		.amdhsa_user_sgpr_kernarg_preload_offset 0
		.amdhsa_user_sgpr_private_segment_size 0
		.amdhsa_wavefront_size32 1
		.amdhsa_uses_dynamic_stack 0
		.amdhsa_enable_private_segment 0
		.amdhsa_system_sgpr_workgroup_id_x 1
		.amdhsa_system_sgpr_workgroup_id_y 0
		.amdhsa_system_sgpr_workgroup_id_z 0
		.amdhsa_system_sgpr_workgroup_info 0
		.amdhsa_system_vgpr_workitem_id 0
		.amdhsa_next_free_vgpr 26
		.amdhsa_next_free_sgpr 26
		.amdhsa_named_barrier_count 0
		.amdhsa_reserve_vcc 1
		.amdhsa_float_round_mode_32 0
		.amdhsa_float_round_mode_16_64 0
		.amdhsa_float_denorm_mode_32 3
		.amdhsa_float_denorm_mode_16_64 3
		.amdhsa_fp16_overflow 0
		.amdhsa_memory_ordered 1
		.amdhsa_forward_progress 1
		.amdhsa_inst_pref_size 9
		.amdhsa_round_robin_scheduling 0
		.amdhsa_exception_fp_ieee_invalid_op 0
		.amdhsa_exception_fp_denorm_src 0
		.amdhsa_exception_fp_ieee_div_zero 0
		.amdhsa_exception_fp_ieee_overflow 0
		.amdhsa_exception_fp_ieee_underflow 0
		.amdhsa_exception_fp_ieee_inexact 0
		.amdhsa_exception_int_div_zero 0
	.end_amdhsa_kernel
	.section	.text._ZN9rocsparseL23gebsrmvn_general_kernelILj32ELj32E21rocsparse_complex_numIfEEEvi20rocsparse_direction_NS_24const_host_device_scalarIT1_EEPKiS8_PKS5_iiSA_S6_PS5_21rocsparse_index_base_b,"axG",@progbits,_ZN9rocsparseL23gebsrmvn_general_kernelILj32ELj32E21rocsparse_complex_numIfEEEvi20rocsparse_direction_NS_24const_host_device_scalarIT1_EEPKiS8_PKS5_iiSA_S6_PS5_21rocsparse_index_base_b,comdat
.Lfunc_end227:
	.size	_ZN9rocsparseL23gebsrmvn_general_kernelILj32ELj32E21rocsparse_complex_numIfEEEvi20rocsparse_direction_NS_24const_host_device_scalarIT1_EEPKiS8_PKS5_iiSA_S6_PS5_21rocsparse_index_base_b, .Lfunc_end227-_ZN9rocsparseL23gebsrmvn_general_kernelILj32ELj32E21rocsparse_complex_numIfEEEvi20rocsparse_direction_NS_24const_host_device_scalarIT1_EEPKiS8_PKS5_iiSA_S6_PS5_21rocsparse_index_base_b
                                        ; -- End function
	.set _ZN9rocsparseL23gebsrmvn_general_kernelILj32ELj32E21rocsparse_complex_numIfEEEvi20rocsparse_direction_NS_24const_host_device_scalarIT1_EEPKiS8_PKS5_iiSA_S6_PS5_21rocsparse_index_base_b.num_vgpr, 26
	.set _ZN9rocsparseL23gebsrmvn_general_kernelILj32ELj32E21rocsparse_complex_numIfEEEvi20rocsparse_direction_NS_24const_host_device_scalarIT1_EEPKiS8_PKS5_iiSA_S6_PS5_21rocsparse_index_base_b.num_agpr, 0
	.set _ZN9rocsparseL23gebsrmvn_general_kernelILj32ELj32E21rocsparse_complex_numIfEEEvi20rocsparse_direction_NS_24const_host_device_scalarIT1_EEPKiS8_PKS5_iiSA_S6_PS5_21rocsparse_index_base_b.numbered_sgpr, 26
	.set _ZN9rocsparseL23gebsrmvn_general_kernelILj32ELj32E21rocsparse_complex_numIfEEEvi20rocsparse_direction_NS_24const_host_device_scalarIT1_EEPKiS8_PKS5_iiSA_S6_PS5_21rocsparse_index_base_b.num_named_barrier, 0
	.set _ZN9rocsparseL23gebsrmvn_general_kernelILj32ELj32E21rocsparse_complex_numIfEEEvi20rocsparse_direction_NS_24const_host_device_scalarIT1_EEPKiS8_PKS5_iiSA_S6_PS5_21rocsparse_index_base_b.private_seg_size, 0
	.set _ZN9rocsparseL23gebsrmvn_general_kernelILj32ELj32E21rocsparse_complex_numIfEEEvi20rocsparse_direction_NS_24const_host_device_scalarIT1_EEPKiS8_PKS5_iiSA_S6_PS5_21rocsparse_index_base_b.uses_vcc, 1
	.set _ZN9rocsparseL23gebsrmvn_general_kernelILj32ELj32E21rocsparse_complex_numIfEEEvi20rocsparse_direction_NS_24const_host_device_scalarIT1_EEPKiS8_PKS5_iiSA_S6_PS5_21rocsparse_index_base_b.uses_flat_scratch, 1
	.set _ZN9rocsparseL23gebsrmvn_general_kernelILj32ELj32E21rocsparse_complex_numIfEEEvi20rocsparse_direction_NS_24const_host_device_scalarIT1_EEPKiS8_PKS5_iiSA_S6_PS5_21rocsparse_index_base_b.has_dyn_sized_stack, 0
	.set _ZN9rocsparseL23gebsrmvn_general_kernelILj32ELj32E21rocsparse_complex_numIfEEEvi20rocsparse_direction_NS_24const_host_device_scalarIT1_EEPKiS8_PKS5_iiSA_S6_PS5_21rocsparse_index_base_b.has_recursion, 0
	.set _ZN9rocsparseL23gebsrmvn_general_kernelILj32ELj32E21rocsparse_complex_numIfEEEvi20rocsparse_direction_NS_24const_host_device_scalarIT1_EEPKiS8_PKS5_iiSA_S6_PS5_21rocsparse_index_base_b.has_indirect_call, 0
	.section	.AMDGPU.csdata,"",@progbits
; Kernel info:
; codeLenInByte = 1108
; TotalNumSgprs: 28
; NumVgprs: 26
; ScratchSize: 0
; MemoryBound: 0
; FloatMode: 240
; IeeeMode: 1
; LDSByteSize: 0 bytes/workgroup (compile time only)
; SGPRBlocks: 0
; VGPRBlocks: 1
; NumSGPRsForWavesPerEU: 28
; NumVGPRsForWavesPerEU: 26
; NamedBarCnt: 0
; Occupancy: 16
; WaveLimiterHint : 1
; COMPUTE_PGM_RSRC2:SCRATCH_EN: 0
; COMPUTE_PGM_RSRC2:USER_SGPR: 2
; COMPUTE_PGM_RSRC2:TRAP_HANDLER: 0
; COMPUTE_PGM_RSRC2:TGID_X_EN: 1
; COMPUTE_PGM_RSRC2:TGID_Y_EN: 0
; COMPUTE_PGM_RSRC2:TGID_Z_EN: 0
; COMPUTE_PGM_RSRC2:TIDIG_COMP_CNT: 0
	.section	.text._ZN9rocsparseL19gebsrmvn_2xn_kernelILj128ELj1ELj4E21rocsparse_complex_numIdEEEvi20rocsparse_direction_NS_24const_host_device_scalarIT2_EEPKiS8_PKS5_SA_S6_PS5_21rocsparse_index_base_b,"axG",@progbits,_ZN9rocsparseL19gebsrmvn_2xn_kernelILj128ELj1ELj4E21rocsparse_complex_numIdEEEvi20rocsparse_direction_NS_24const_host_device_scalarIT2_EEPKiS8_PKS5_SA_S6_PS5_21rocsparse_index_base_b,comdat
	.globl	_ZN9rocsparseL19gebsrmvn_2xn_kernelILj128ELj1ELj4E21rocsparse_complex_numIdEEEvi20rocsparse_direction_NS_24const_host_device_scalarIT2_EEPKiS8_PKS5_SA_S6_PS5_21rocsparse_index_base_b ; -- Begin function _ZN9rocsparseL19gebsrmvn_2xn_kernelILj128ELj1ELj4E21rocsparse_complex_numIdEEEvi20rocsparse_direction_NS_24const_host_device_scalarIT2_EEPKiS8_PKS5_SA_S6_PS5_21rocsparse_index_base_b
	.p2align	8
	.type	_ZN9rocsparseL19gebsrmvn_2xn_kernelILj128ELj1ELj4E21rocsparse_complex_numIdEEEvi20rocsparse_direction_NS_24const_host_device_scalarIT2_EEPKiS8_PKS5_SA_S6_PS5_21rocsparse_index_base_b,@function
_ZN9rocsparseL19gebsrmvn_2xn_kernelILj128ELj1ELj4E21rocsparse_complex_numIdEEEvi20rocsparse_direction_NS_24const_host_device_scalarIT2_EEPKiS8_PKS5_SA_S6_PS5_21rocsparse_index_base_b: ; @_ZN9rocsparseL19gebsrmvn_2xn_kernelILj128ELj1ELj4E21rocsparse_complex_numIdEEEvi20rocsparse_direction_NS_24const_host_device_scalarIT2_EEPKiS8_PKS5_SA_S6_PS5_21rocsparse_index_base_b
; %bb.0:
	s_clause 0x1
	s_load_b64 s[12:13], s[0:1], 0x50
	s_load_b64 s[2:3], s[0:1], 0x8
	v_mov_b32_e32 v1, 0
	s_add_nc_u64 s[4:5], s[0:1], 8
	s_load_b64 s[6:7], s[0:1], 0x38
	s_wait_kmcnt 0x0
	s_bitcmp1_b32 s13, 0
	s_cselect_b32 s3, s5, s3
	s_cselect_b32 s2, s4, s2
	flat_load_b128 v[2:5], v1, s[2:3]
	s_wait_xcnt 0x0
	s_add_nc_u64 s[2:3], s[0:1], 56
	s_delay_alu instid0(SALU_CYCLE_1)
	s_cselect_b32 s3, s3, s7
	s_cselect_b32 s2, s2, s6
	flat_load_b128 v[6:9], v1, s[2:3]
	s_wait_loadcnt_dscnt 0x101
	v_cmp_eq_f64_e32 vcc_lo, 0, v[2:3]
	s_wait_xcnt 0x0
	v_cmp_eq_f64_e64 s2, 0, v[4:5]
	s_and_b32 s4, vcc_lo, s2
	s_mov_b32 s2, -1
	s_and_saveexec_b32 s3, s4
	s_cbranch_execz .LBB228_2
; %bb.1:
	s_wait_loadcnt_dscnt 0x0
	v_cmp_neq_f64_e32 vcc_lo, 1.0, v[6:7]
	v_cmp_neq_f64_e64 s2, 0, v[8:9]
	s_or_b32 s2, vcc_lo, s2
	s_delay_alu instid0(SALU_CYCLE_1)
	s_or_not1_b32 s2, s2, exec_lo
.LBB228_2:
	s_or_b32 exec_lo, exec_lo, s3
	s_and_saveexec_b32 s3, s2
	s_cbranch_execz .LBB228_21
; %bb.3:
	s_load_b64 s[2:3], s[0:1], 0x0
	s_bfe_u32 s4, ttmp6, 0x4000c
	s_and_b32 s5, ttmp6, 15
	s_add_co_i32 s4, s4, 1
	s_getreg_b32 s6, hwreg(HW_REG_IB_STS2, 6, 4)
	s_mul_i32 s4, ttmp9, s4
	v_lshrrev_b32_e32 v1, 2, v0
	s_add_co_i32 s5, s5, s4
	s_cmp_eq_u32 s6, 0
	s_cselect_b32 s4, ttmp9, s5
	s_delay_alu instid0(VALU_DEP_1) | instid1(SALU_CYCLE_1)
	v_lshl_or_b32 v10, s4, 5, v1
	s_wait_kmcnt 0x0
	s_delay_alu instid0(VALU_DEP_1)
	v_cmp_gt_i32_e32 vcc_lo, s2, v10
	s_and_b32 exec_lo, exec_lo, vcc_lo
	s_cbranch_execz .LBB228_21
; %bb.4:
	s_load_b256 s[4:11], s[0:1], 0x18
	v_ashrrev_i32_e32 v11, 31, v10
	s_cmp_lg_u32 s3, 0
	s_wait_kmcnt 0x0
	s_delay_alu instid0(VALU_DEP_1)
	v_lshl_add_u64 v[12:13], v[10:11], 2, s[4:5]
	v_and_b32_e32 v11, 3, v0
	global_load_b64 v[12:13], v[12:13], off
	s_wait_loadcnt 0x0
	v_subrev_nc_u32_e32 v0, s12, v12
	v_subrev_nc_u32_e32 v18, s12, v13
	s_delay_alu instid0(VALU_DEP_2) | instskip(NEXT) | instid1(VALU_DEP_1)
	v_add_nc_u32_e32 v19, v0, v11
	v_cmp_lt_i32_e64 s2, v19, v18
	s_cbranch_scc0 .LBB228_10
; %bb.5:
	v_mov_b64_e32 v[0:1], 0
	v_mov_b64_e32 v[12:13], 0
	;; [unrolled: 1-line block ×4, first 2 shown]
	s_and_saveexec_b32 s3, s2
	s_cbranch_execz .LBB228_9
; %bb.6:
	v_mov_b64_e32 v[0:1], 0
	v_mov_b64_e32 v[12:13], 0
	v_mov_b64_e32 v[14:15], 0
	v_mov_b64_e32 v[16:17], 0
	v_dual_mov_b32 v21, v19 :: v_dual_lshlrev_b32 v20, 1, v19
	s_mov_b32 s4, 0
.LBB228_7:                              ; =>This Inner Loop Header: Depth=1
	global_load_b32 v26, v21, s[6:7] scale_offset
	global_load_b128 v[22:25], v20, s[8:9] offset:16 scale_offset
	s_wait_xcnt 0x1
	v_add_nc_u32_e32 v21, 4, v21
	s_wait_loadcnt 0x1
	v_subrev_nc_u32_e32 v34, s12, v26
	global_load_b128 v[26:29], v20, s[8:9] scale_offset
	global_load_b128 v[30:33], v34, s[10:11] scale_offset
	s_wait_xcnt 0x1
	v_add_nc_u32_e32 v20, 8, v20
	v_cmp_ge_i32_e32 vcc_lo, v21, v18
	s_or_b32 s4, vcc_lo, s4
	s_wait_loadcnt 0x0
	v_fmac_f64_e32 v[12:13], v[26:27], v[30:31]
	v_fmac_f64_e32 v[0:1], v[28:29], v[30:31]
	;; [unrolled: 1-line block ×4, first 2 shown]
	s_delay_alu instid0(VALU_DEP_4) | instskip(NEXT) | instid1(VALU_DEP_4)
	v_fma_f64 v[12:13], -v[28:29], v[32:33], v[12:13]
	v_fmac_f64_e32 v[0:1], v[26:27], v[32:33]
	s_delay_alu instid0(VALU_DEP_4) | instskip(NEXT) | instid1(VALU_DEP_4)
	v_fma_f64 v[14:15], -v[24:25], v[32:33], v[14:15]
	v_fmac_f64_e32 v[16:17], v[22:23], v[32:33]
	s_and_not1_b32 exec_lo, exec_lo, s4
	s_cbranch_execnz .LBB228_7
; %bb.8:
	s_or_b32 exec_lo, exec_lo, s4
.LBB228_9:
	s_delay_alu instid0(SALU_CYCLE_1)
	s_or_b32 exec_lo, exec_lo, s3
	s_cbranch_execz .LBB228_11
	s_branch .LBB228_16
.LBB228_10:
                                        ; implicit-def: $vgpr0_vgpr1
                                        ; implicit-def: $vgpr12_vgpr13
                                        ; implicit-def: $vgpr14_vgpr15
                                        ; implicit-def: $vgpr16_vgpr17
.LBB228_11:
	v_mov_b64_e32 v[0:1], 0
	v_mov_b64_e32 v[12:13], 0
	;; [unrolled: 1-line block ×4, first 2 shown]
	s_and_saveexec_b32 s3, s2
	s_cbranch_execz .LBB228_15
; %bb.12:
	v_mov_b64_e32 v[0:1], 0
	v_mov_b64_e32 v[12:13], 0
	v_mov_b64_e32 v[14:15], 0
	v_mov_b64_e32 v[16:17], 0
	v_lshlrev_b32_e32 v20, 1, v19
	s_mov_b32 s2, 0
.LBB228_13:                             ; =>This Inner Loop Header: Depth=1
	global_load_b32 v21, v19, s[6:7] scale_offset
	global_load_b128 v[22:25], v20, s[8:9] offset:16 scale_offset
	s_wait_xcnt 0x1
	v_add_nc_u32_e32 v19, 4, v19
	s_delay_alu instid0(VALU_DEP_1)
	v_cmp_ge_i32_e32 vcc_lo, v19, v18
	s_or_b32 s2, vcc_lo, s2
	s_wait_loadcnt 0x1
	v_subrev_nc_u32_e32 v21, s12, v21
	global_load_b128 v[26:29], v20, s[8:9] scale_offset
	global_load_b128 v[30:33], v21, s[10:11] scale_offset
	s_wait_xcnt 0x1
	v_add_nc_u32_e32 v20, 8, v20
	s_wait_loadcnt 0x0
	v_fmac_f64_e32 v[12:13], v[26:27], v[30:31]
	v_fmac_f64_e32 v[0:1], v[28:29], v[30:31]
	;; [unrolled: 1-line block ×4, first 2 shown]
	s_delay_alu instid0(VALU_DEP_4) | instskip(NEXT) | instid1(VALU_DEP_4)
	v_fma_f64 v[12:13], -v[28:29], v[32:33], v[12:13]
	v_fmac_f64_e32 v[0:1], v[26:27], v[32:33]
	s_delay_alu instid0(VALU_DEP_4) | instskip(NEXT) | instid1(VALU_DEP_4)
	v_fma_f64 v[14:15], -v[24:25], v[32:33], v[14:15]
	v_fmac_f64_e32 v[16:17], v[22:23], v[32:33]
	s_and_not1_b32 exec_lo, exec_lo, s2
	s_cbranch_execnz .LBB228_13
; %bb.14:
	s_or_b32 exec_lo, exec_lo, s2
.LBB228_15:
	s_delay_alu instid0(SALU_CYCLE_1)
	s_or_b32 exec_lo, exec_lo, s3
.LBB228_16:
	v_mbcnt_lo_u32_b32 v28, -1, 0
	s_delay_alu instid0(VALU_DEP_1) | instskip(NEXT) | instid1(VALU_DEP_1)
	v_xor_b32_e32 v18, 2, v28
	v_cmp_gt_i32_e32 vcc_lo, 32, v18
	v_cndmask_b32_e32 v18, v28, v18, vcc_lo
	s_delay_alu instid0(VALU_DEP_1)
	v_lshlrev_b32_e32 v20, 2, v18
	ds_bpermute_b32 v18, v20, v12
	ds_bpermute_b32 v19, v20, v13
	;; [unrolled: 1-line block ×8, first 2 shown]
	s_wait_dscnt 0x6
	v_add_f64_e32 v[20:21], v[12:13], v[18:19]
	s_wait_dscnt 0x4
	v_dual_add_f64 v[18:19], v[0:1], v[22:23] :: v_dual_bitop2_b32 v0, 1, v28 bitop3:0x14
	s_wait_dscnt 0x2
	v_add_f64_e32 v[12:13], v[14:15], v[24:25]
	s_wait_dscnt 0x0
	v_add_f64_e32 v[14:15], v[16:17], v[26:27]
	v_cmp_gt_i32_e32 vcc_lo, 32, v0
	v_cndmask_b32_e32 v0, v28, v0, vcc_lo
	v_cmp_eq_u32_e32 vcc_lo, 3, v11
	s_delay_alu instid0(VALU_DEP_2)
	v_lshlrev_b32_e32 v25, 2, v0
	ds_bpermute_b32 v0, v25, v20
	ds_bpermute_b32 v1, v25, v21
	;; [unrolled: 1-line block ×8, first 2 shown]
	s_and_b32 exec_lo, exec_lo, vcc_lo
	s_cbranch_execz .LBB228_21
; %bb.17:
	v_cmp_eq_f64_e32 vcc_lo, 0, v[6:7]
	v_cmp_eq_f64_e64 s2, 0, v[8:9]
	s_wait_dscnt 0x6
	v_add_f64_e32 v[0:1], v[20:21], v[0:1]
	s_wait_dscnt 0x4
	v_add_f64_e32 v[16:17], v[18:19], v[16:17]
	;; [unrolled: 2-line block ×4, first 2 shown]
	s_load_b64 s[0:1], s[0:1], 0x48
	s_and_b32 s2, vcc_lo, s2
	s_delay_alu instid0(SALU_CYCLE_1) | instskip(NEXT) | instid1(SALU_CYCLE_1)
	s_and_saveexec_b32 s3, s2
	s_xor_b32 s2, exec_lo, s3
	s_cbranch_execz .LBB228_19
; %bb.18:
	s_delay_alu instid0(VALU_DEP_3) | instskip(SKIP_1) | instid1(VALU_DEP_3)
	v_mul_f64_e64 v[6:7], v[16:17], -v[4:5]
	v_mul_f64_e32 v[8:9], v[2:3], v[16:17]
	v_mul_f64_e64 v[16:17], v[14:15], -v[4:5]
	v_mul_f64_e32 v[18:19], v[2:3], v[14:15]
                                        ; implicit-def: $vgpr14_vgpr15
	s_delay_alu instid0(VALU_DEP_4) | instskip(NEXT) | instid1(VALU_DEP_4)
	v_fmac_f64_e32 v[6:7], v[2:3], v[0:1]
	v_fmac_f64_e32 v[8:9], v[4:5], v[0:1]
	s_delay_alu instid0(VALU_DEP_4) | instskip(NEXT) | instid1(VALU_DEP_4)
	v_fmac_f64_e32 v[16:17], v[2:3], v[12:13]
	v_fmac_f64_e32 v[18:19], v[4:5], v[12:13]
	v_lshlrev_b32_e32 v0, 1, v10
                                        ; implicit-def: $vgpr10
                                        ; implicit-def: $vgpr12_vgpr13
                                        ; implicit-def: $vgpr4_vgpr5
	s_wait_kmcnt 0x0
	s_clause 0x1
	global_store_b128 v0, v[6:9], s[0:1] scale_offset
	global_store_b128 v0, v[16:19], s[0:1] offset:16 scale_offset
                                        ; implicit-def: $vgpr0_vgpr1
                                        ; implicit-def: $vgpr16_vgpr17
                                        ; implicit-def: $vgpr8_vgpr9
.LBB228_19:
	s_wait_xcnt 0x0
	s_and_not1_saveexec_b32 s2, s2
	s_cbranch_execz .LBB228_21
; %bb.20:
	s_delay_alu instid0(VALU_DEP_3) | instskip(SKIP_1) | instid1(VALU_DEP_3)
	v_dual_mul_f64 v[26:27], v[16:17], -v[4:5] :: v_dual_lshlrev_b32 v30, 1, v10
	v_mul_f64_e32 v[16:17], v[2:3], v[16:17]
	v_mul_f64_e64 v[28:29], v[14:15], -v[4:5]
	v_mul_f64_e32 v[10:11], v[2:3], v[14:15]
	s_wait_kmcnt 0x0
	s_clause 0x1
	global_load_b128 v[18:21], v30, s[0:1] scale_offset
	global_load_b128 v[22:25], v30, s[0:1] offset:16 scale_offset
	v_fmac_f64_e32 v[26:27], v[2:3], v[0:1]
	v_fmac_f64_e32 v[16:17], v[4:5], v[0:1]
	v_fmac_f64_e32 v[28:29], v[2:3], v[12:13]
	v_fmac_f64_e32 v[10:11], v[4:5], v[12:13]
	s_wait_loadcnt 0x1
	s_delay_alu instid0(VALU_DEP_4) | instskip(NEXT) | instid1(VALU_DEP_4)
	v_fmac_f64_e32 v[26:27], v[6:7], v[18:19]
	v_fmac_f64_e32 v[16:17], v[8:9], v[18:19]
	s_wait_loadcnt 0x0
	s_delay_alu instid0(VALU_DEP_4) | instskip(NEXT) | instid1(VALU_DEP_4)
	v_fmac_f64_e32 v[28:29], v[6:7], v[22:23]
	v_fmac_f64_e32 v[10:11], v[8:9], v[22:23]
	s_delay_alu instid0(VALU_DEP_4) | instskip(NEXT) | instid1(VALU_DEP_4)
	v_fma_f64 v[14:15], -v[8:9], v[20:21], v[26:27]
	v_fmac_f64_e32 v[16:17], v[6:7], v[20:21]
	s_delay_alu instid0(VALU_DEP_4) | instskip(NEXT) | instid1(VALU_DEP_4)
	v_fma_f64 v[8:9], -v[8:9], v[24:25], v[28:29]
	v_fmac_f64_e32 v[10:11], v[6:7], v[24:25]
	s_clause 0x1
	global_store_b128 v30, v[14:17], s[0:1] scale_offset
	global_store_b128 v30, v[8:11], s[0:1] offset:16 scale_offset
.LBB228_21:
	s_endpgm
	.section	.rodata,"a",@progbits
	.p2align	6, 0x0
	.amdhsa_kernel _ZN9rocsparseL19gebsrmvn_2xn_kernelILj128ELj1ELj4E21rocsparse_complex_numIdEEEvi20rocsparse_direction_NS_24const_host_device_scalarIT2_EEPKiS8_PKS5_SA_S6_PS5_21rocsparse_index_base_b
		.amdhsa_group_segment_fixed_size 0
		.amdhsa_private_segment_fixed_size 0
		.amdhsa_kernarg_size 88
		.amdhsa_user_sgpr_count 2
		.amdhsa_user_sgpr_dispatch_ptr 0
		.amdhsa_user_sgpr_queue_ptr 0
		.amdhsa_user_sgpr_kernarg_segment_ptr 1
		.amdhsa_user_sgpr_dispatch_id 0
		.amdhsa_user_sgpr_kernarg_preload_length 0
		.amdhsa_user_sgpr_kernarg_preload_offset 0
		.amdhsa_user_sgpr_private_segment_size 0
		.amdhsa_wavefront_size32 1
		.amdhsa_uses_dynamic_stack 0
		.amdhsa_enable_private_segment 0
		.amdhsa_system_sgpr_workgroup_id_x 1
		.amdhsa_system_sgpr_workgroup_id_y 0
		.amdhsa_system_sgpr_workgroup_id_z 0
		.amdhsa_system_sgpr_workgroup_info 0
		.amdhsa_system_vgpr_workitem_id 0
		.amdhsa_next_free_vgpr 35
		.amdhsa_next_free_sgpr 14
		.amdhsa_named_barrier_count 0
		.amdhsa_reserve_vcc 1
		.amdhsa_float_round_mode_32 0
		.amdhsa_float_round_mode_16_64 0
		.amdhsa_float_denorm_mode_32 3
		.amdhsa_float_denorm_mode_16_64 3
		.amdhsa_fp16_overflow 0
		.amdhsa_memory_ordered 1
		.amdhsa_forward_progress 1
		.amdhsa_inst_pref_size 11
		.amdhsa_round_robin_scheduling 0
		.amdhsa_exception_fp_ieee_invalid_op 0
		.amdhsa_exception_fp_denorm_src 0
		.amdhsa_exception_fp_ieee_div_zero 0
		.amdhsa_exception_fp_ieee_overflow 0
		.amdhsa_exception_fp_ieee_underflow 0
		.amdhsa_exception_fp_ieee_inexact 0
		.amdhsa_exception_int_div_zero 0
	.end_amdhsa_kernel
	.section	.text._ZN9rocsparseL19gebsrmvn_2xn_kernelILj128ELj1ELj4E21rocsparse_complex_numIdEEEvi20rocsparse_direction_NS_24const_host_device_scalarIT2_EEPKiS8_PKS5_SA_S6_PS5_21rocsparse_index_base_b,"axG",@progbits,_ZN9rocsparseL19gebsrmvn_2xn_kernelILj128ELj1ELj4E21rocsparse_complex_numIdEEEvi20rocsparse_direction_NS_24const_host_device_scalarIT2_EEPKiS8_PKS5_SA_S6_PS5_21rocsparse_index_base_b,comdat
.Lfunc_end228:
	.size	_ZN9rocsparseL19gebsrmvn_2xn_kernelILj128ELj1ELj4E21rocsparse_complex_numIdEEEvi20rocsparse_direction_NS_24const_host_device_scalarIT2_EEPKiS8_PKS5_SA_S6_PS5_21rocsparse_index_base_b, .Lfunc_end228-_ZN9rocsparseL19gebsrmvn_2xn_kernelILj128ELj1ELj4E21rocsparse_complex_numIdEEEvi20rocsparse_direction_NS_24const_host_device_scalarIT2_EEPKiS8_PKS5_SA_S6_PS5_21rocsparse_index_base_b
                                        ; -- End function
	.set _ZN9rocsparseL19gebsrmvn_2xn_kernelILj128ELj1ELj4E21rocsparse_complex_numIdEEEvi20rocsparse_direction_NS_24const_host_device_scalarIT2_EEPKiS8_PKS5_SA_S6_PS5_21rocsparse_index_base_b.num_vgpr, 35
	.set _ZN9rocsparseL19gebsrmvn_2xn_kernelILj128ELj1ELj4E21rocsparse_complex_numIdEEEvi20rocsparse_direction_NS_24const_host_device_scalarIT2_EEPKiS8_PKS5_SA_S6_PS5_21rocsparse_index_base_b.num_agpr, 0
	.set _ZN9rocsparseL19gebsrmvn_2xn_kernelILj128ELj1ELj4E21rocsparse_complex_numIdEEEvi20rocsparse_direction_NS_24const_host_device_scalarIT2_EEPKiS8_PKS5_SA_S6_PS5_21rocsparse_index_base_b.numbered_sgpr, 14
	.set _ZN9rocsparseL19gebsrmvn_2xn_kernelILj128ELj1ELj4E21rocsparse_complex_numIdEEEvi20rocsparse_direction_NS_24const_host_device_scalarIT2_EEPKiS8_PKS5_SA_S6_PS5_21rocsparse_index_base_b.num_named_barrier, 0
	.set _ZN9rocsparseL19gebsrmvn_2xn_kernelILj128ELj1ELj4E21rocsparse_complex_numIdEEEvi20rocsparse_direction_NS_24const_host_device_scalarIT2_EEPKiS8_PKS5_SA_S6_PS5_21rocsparse_index_base_b.private_seg_size, 0
	.set _ZN9rocsparseL19gebsrmvn_2xn_kernelILj128ELj1ELj4E21rocsparse_complex_numIdEEEvi20rocsparse_direction_NS_24const_host_device_scalarIT2_EEPKiS8_PKS5_SA_S6_PS5_21rocsparse_index_base_b.uses_vcc, 1
	.set _ZN9rocsparseL19gebsrmvn_2xn_kernelILj128ELj1ELj4E21rocsparse_complex_numIdEEEvi20rocsparse_direction_NS_24const_host_device_scalarIT2_EEPKiS8_PKS5_SA_S6_PS5_21rocsparse_index_base_b.uses_flat_scratch, 0
	.set _ZN9rocsparseL19gebsrmvn_2xn_kernelILj128ELj1ELj4E21rocsparse_complex_numIdEEEvi20rocsparse_direction_NS_24const_host_device_scalarIT2_EEPKiS8_PKS5_SA_S6_PS5_21rocsparse_index_base_b.has_dyn_sized_stack, 0
	.set _ZN9rocsparseL19gebsrmvn_2xn_kernelILj128ELj1ELj4E21rocsparse_complex_numIdEEEvi20rocsparse_direction_NS_24const_host_device_scalarIT2_EEPKiS8_PKS5_SA_S6_PS5_21rocsparse_index_base_b.has_recursion, 0
	.set _ZN9rocsparseL19gebsrmvn_2xn_kernelILj128ELj1ELj4E21rocsparse_complex_numIdEEEvi20rocsparse_direction_NS_24const_host_device_scalarIT2_EEPKiS8_PKS5_SA_S6_PS5_21rocsparse_index_base_b.has_indirect_call, 0
	.section	.AMDGPU.csdata,"",@progbits
; Kernel info:
; codeLenInByte = 1324
; TotalNumSgprs: 16
; NumVgprs: 35
; ScratchSize: 0
; MemoryBound: 0
; FloatMode: 240
; IeeeMode: 1
; LDSByteSize: 0 bytes/workgroup (compile time only)
; SGPRBlocks: 0
; VGPRBlocks: 2
; NumSGPRsForWavesPerEU: 16
; NumVGPRsForWavesPerEU: 35
; NamedBarCnt: 0
; Occupancy: 16
; WaveLimiterHint : 1
; COMPUTE_PGM_RSRC2:SCRATCH_EN: 0
; COMPUTE_PGM_RSRC2:USER_SGPR: 2
; COMPUTE_PGM_RSRC2:TRAP_HANDLER: 0
; COMPUTE_PGM_RSRC2:TGID_X_EN: 1
; COMPUTE_PGM_RSRC2:TGID_Y_EN: 0
; COMPUTE_PGM_RSRC2:TGID_Z_EN: 0
; COMPUTE_PGM_RSRC2:TIDIG_COMP_CNT: 0
	.section	.text._ZN9rocsparseL19gebsrmvn_2xn_kernelILj128ELj1ELj8E21rocsparse_complex_numIdEEEvi20rocsparse_direction_NS_24const_host_device_scalarIT2_EEPKiS8_PKS5_SA_S6_PS5_21rocsparse_index_base_b,"axG",@progbits,_ZN9rocsparseL19gebsrmvn_2xn_kernelILj128ELj1ELj8E21rocsparse_complex_numIdEEEvi20rocsparse_direction_NS_24const_host_device_scalarIT2_EEPKiS8_PKS5_SA_S6_PS5_21rocsparse_index_base_b,comdat
	.globl	_ZN9rocsparseL19gebsrmvn_2xn_kernelILj128ELj1ELj8E21rocsparse_complex_numIdEEEvi20rocsparse_direction_NS_24const_host_device_scalarIT2_EEPKiS8_PKS5_SA_S6_PS5_21rocsparse_index_base_b ; -- Begin function _ZN9rocsparseL19gebsrmvn_2xn_kernelILj128ELj1ELj8E21rocsparse_complex_numIdEEEvi20rocsparse_direction_NS_24const_host_device_scalarIT2_EEPKiS8_PKS5_SA_S6_PS5_21rocsparse_index_base_b
	.p2align	8
	.type	_ZN9rocsparseL19gebsrmvn_2xn_kernelILj128ELj1ELj8E21rocsparse_complex_numIdEEEvi20rocsparse_direction_NS_24const_host_device_scalarIT2_EEPKiS8_PKS5_SA_S6_PS5_21rocsparse_index_base_b,@function
_ZN9rocsparseL19gebsrmvn_2xn_kernelILj128ELj1ELj8E21rocsparse_complex_numIdEEEvi20rocsparse_direction_NS_24const_host_device_scalarIT2_EEPKiS8_PKS5_SA_S6_PS5_21rocsparse_index_base_b: ; @_ZN9rocsparseL19gebsrmvn_2xn_kernelILj128ELj1ELj8E21rocsparse_complex_numIdEEEvi20rocsparse_direction_NS_24const_host_device_scalarIT2_EEPKiS8_PKS5_SA_S6_PS5_21rocsparse_index_base_b
; %bb.0:
	s_clause 0x1
	s_load_b64 s[12:13], s[0:1], 0x50
	s_load_b64 s[2:3], s[0:1], 0x8
	v_mov_b32_e32 v1, 0
	s_add_nc_u64 s[4:5], s[0:1], 8
	s_load_b64 s[6:7], s[0:1], 0x38
	s_wait_kmcnt 0x0
	s_bitcmp1_b32 s13, 0
	s_cselect_b32 s3, s5, s3
	s_cselect_b32 s2, s4, s2
	flat_load_b128 v[2:5], v1, s[2:3]
	s_wait_xcnt 0x0
	s_add_nc_u64 s[2:3], s[0:1], 56
	s_delay_alu instid0(SALU_CYCLE_1)
	s_cselect_b32 s3, s3, s7
	s_cselect_b32 s2, s2, s6
	flat_load_b128 v[6:9], v1, s[2:3]
	s_wait_loadcnt_dscnt 0x101
	v_cmp_eq_f64_e32 vcc_lo, 0, v[2:3]
	s_wait_xcnt 0x0
	v_cmp_eq_f64_e64 s2, 0, v[4:5]
	s_and_b32 s4, vcc_lo, s2
	s_mov_b32 s2, -1
	s_and_saveexec_b32 s3, s4
	s_cbranch_execz .LBB229_2
; %bb.1:
	s_wait_loadcnt_dscnt 0x0
	v_cmp_neq_f64_e32 vcc_lo, 1.0, v[6:7]
	v_cmp_neq_f64_e64 s2, 0, v[8:9]
	s_or_b32 s2, vcc_lo, s2
	s_delay_alu instid0(SALU_CYCLE_1)
	s_or_not1_b32 s2, s2, exec_lo
.LBB229_2:
	s_or_b32 exec_lo, exec_lo, s3
	s_and_saveexec_b32 s3, s2
	s_cbranch_execz .LBB229_21
; %bb.3:
	s_load_b64 s[2:3], s[0:1], 0x0
	s_bfe_u32 s4, ttmp6, 0x4000c
	s_and_b32 s5, ttmp6, 15
	s_add_co_i32 s4, s4, 1
	s_getreg_b32 s6, hwreg(HW_REG_IB_STS2, 6, 4)
	s_mul_i32 s4, ttmp9, s4
	v_lshrrev_b32_e32 v1, 3, v0
	s_add_co_i32 s5, s5, s4
	s_cmp_eq_u32 s6, 0
	s_cselect_b32 s4, ttmp9, s5
	s_delay_alu instid0(VALU_DEP_1) | instid1(SALU_CYCLE_1)
	v_lshl_or_b32 v10, s4, 4, v1
	s_wait_kmcnt 0x0
	s_delay_alu instid0(VALU_DEP_1)
	v_cmp_gt_i32_e32 vcc_lo, s2, v10
	s_and_b32 exec_lo, exec_lo, vcc_lo
	s_cbranch_execz .LBB229_21
; %bb.4:
	s_load_b256 s[4:11], s[0:1], 0x18
	v_ashrrev_i32_e32 v11, 31, v10
	s_cmp_lg_u32 s3, 0
	s_wait_kmcnt 0x0
	s_delay_alu instid0(VALU_DEP_1)
	v_lshl_add_u64 v[12:13], v[10:11], 2, s[4:5]
	v_and_b32_e32 v11, 7, v0
	global_load_b64 v[12:13], v[12:13], off
	s_wait_loadcnt 0x0
	v_subrev_nc_u32_e32 v0, s12, v12
	v_subrev_nc_u32_e32 v18, s12, v13
	s_delay_alu instid0(VALU_DEP_2) | instskip(NEXT) | instid1(VALU_DEP_1)
	v_add_nc_u32_e32 v19, v0, v11
	v_cmp_lt_i32_e64 s2, v19, v18
	s_cbranch_scc0 .LBB229_10
; %bb.5:
	v_mov_b64_e32 v[0:1], 0
	v_mov_b64_e32 v[12:13], 0
	;; [unrolled: 1-line block ×4, first 2 shown]
	s_and_saveexec_b32 s3, s2
	s_cbranch_execz .LBB229_9
; %bb.6:
	v_mov_b64_e32 v[0:1], 0
	v_mov_b64_e32 v[12:13], 0
	;; [unrolled: 1-line block ×4, first 2 shown]
	v_dual_mov_b32 v21, v19 :: v_dual_lshlrev_b32 v20, 1, v19
	s_mov_b32 s4, 0
.LBB229_7:                              ; =>This Inner Loop Header: Depth=1
	global_load_b32 v26, v21, s[6:7] scale_offset
	global_load_b128 v[22:25], v20, s[8:9] offset:16 scale_offset
	s_wait_xcnt 0x1
	v_add_nc_u32_e32 v21, 8, v21
	s_wait_loadcnt 0x1
	v_subrev_nc_u32_e32 v34, s12, v26
	global_load_b128 v[26:29], v20, s[8:9] scale_offset
	global_load_b128 v[30:33], v34, s[10:11] scale_offset
	s_wait_xcnt 0x1
	v_add_nc_u32_e32 v20, 16, v20
	v_cmp_ge_i32_e32 vcc_lo, v21, v18
	s_or_b32 s4, vcc_lo, s4
	s_wait_loadcnt 0x0
	v_fmac_f64_e32 v[12:13], v[26:27], v[30:31]
	v_fmac_f64_e32 v[0:1], v[28:29], v[30:31]
	;; [unrolled: 1-line block ×4, first 2 shown]
	s_delay_alu instid0(VALU_DEP_4) | instskip(NEXT) | instid1(VALU_DEP_4)
	v_fma_f64 v[12:13], -v[28:29], v[32:33], v[12:13]
	v_fmac_f64_e32 v[0:1], v[26:27], v[32:33]
	s_delay_alu instid0(VALU_DEP_4) | instskip(NEXT) | instid1(VALU_DEP_4)
	v_fma_f64 v[14:15], -v[24:25], v[32:33], v[14:15]
	v_fmac_f64_e32 v[16:17], v[22:23], v[32:33]
	s_and_not1_b32 exec_lo, exec_lo, s4
	s_cbranch_execnz .LBB229_7
; %bb.8:
	s_or_b32 exec_lo, exec_lo, s4
.LBB229_9:
	s_delay_alu instid0(SALU_CYCLE_1)
	s_or_b32 exec_lo, exec_lo, s3
	s_cbranch_execz .LBB229_11
	s_branch .LBB229_16
.LBB229_10:
                                        ; implicit-def: $vgpr0_vgpr1
                                        ; implicit-def: $vgpr12_vgpr13
                                        ; implicit-def: $vgpr14_vgpr15
                                        ; implicit-def: $vgpr16_vgpr17
.LBB229_11:
	v_mov_b64_e32 v[0:1], 0
	v_mov_b64_e32 v[12:13], 0
	;; [unrolled: 1-line block ×4, first 2 shown]
	s_and_saveexec_b32 s3, s2
	s_cbranch_execz .LBB229_15
; %bb.12:
	v_mov_b64_e32 v[0:1], 0
	v_mov_b64_e32 v[12:13], 0
	;; [unrolled: 1-line block ×4, first 2 shown]
	v_lshlrev_b32_e32 v20, 1, v19
	s_mov_b32 s2, 0
.LBB229_13:                             ; =>This Inner Loop Header: Depth=1
	global_load_b32 v21, v19, s[6:7] scale_offset
	global_load_b128 v[22:25], v20, s[8:9] offset:16 scale_offset
	s_wait_xcnt 0x1
	v_add_nc_u32_e32 v19, 8, v19
	s_delay_alu instid0(VALU_DEP_1)
	v_cmp_ge_i32_e32 vcc_lo, v19, v18
	s_or_b32 s2, vcc_lo, s2
	s_wait_loadcnt 0x1
	v_subrev_nc_u32_e32 v21, s12, v21
	global_load_b128 v[26:29], v20, s[8:9] scale_offset
	global_load_b128 v[30:33], v21, s[10:11] scale_offset
	s_wait_xcnt 0x1
	v_add_nc_u32_e32 v20, 16, v20
	s_wait_loadcnt 0x0
	v_fmac_f64_e32 v[12:13], v[26:27], v[30:31]
	v_fmac_f64_e32 v[0:1], v[28:29], v[30:31]
	;; [unrolled: 1-line block ×4, first 2 shown]
	s_delay_alu instid0(VALU_DEP_4) | instskip(NEXT) | instid1(VALU_DEP_4)
	v_fma_f64 v[12:13], -v[28:29], v[32:33], v[12:13]
	v_fmac_f64_e32 v[0:1], v[26:27], v[32:33]
	s_delay_alu instid0(VALU_DEP_4) | instskip(NEXT) | instid1(VALU_DEP_4)
	v_fma_f64 v[14:15], -v[24:25], v[32:33], v[14:15]
	v_fmac_f64_e32 v[16:17], v[22:23], v[32:33]
	s_and_not1_b32 exec_lo, exec_lo, s2
	s_cbranch_execnz .LBB229_13
; %bb.14:
	s_or_b32 exec_lo, exec_lo, s2
.LBB229_15:
	s_delay_alu instid0(SALU_CYCLE_1)
	s_or_b32 exec_lo, exec_lo, s3
.LBB229_16:
	v_mbcnt_lo_u32_b32 v26, -1, 0
	s_delay_alu instid0(VALU_DEP_1) | instskip(NEXT) | instid1(VALU_DEP_1)
	v_xor_b32_e32 v18, 4, v26
	v_cmp_gt_i32_e32 vcc_lo, 32, v18
	v_cndmask_b32_e32 v18, v26, v18, vcc_lo
	s_delay_alu instid0(VALU_DEP_1)
	v_lshlrev_b32_e32 v25, 2, v18
	ds_bpermute_b32 v18, v25, v12
	ds_bpermute_b32 v19, v25, v13
	;; [unrolled: 1-line block ×4, first 2 shown]
	s_wait_dscnt 0x2
	v_add_f64_e32 v[12:13], v[12:13], v[18:19]
	s_wait_dscnt 0x0
	v_add_f64_e32 v[18:19], v[0:1], v[20:21]
	ds_bpermute_b32 v22, v25, v14
	ds_bpermute_b32 v23, v25, v15
	ds_bpermute_b32 v24, v25, v16
	ds_bpermute_b32 v25, v25, v17
	v_xor_b32_e32 v0, 2, v26
	s_delay_alu instid0(VALU_DEP_1)
	v_cmp_gt_i32_e32 vcc_lo, 32, v0
	v_cndmask_b32_e32 v0, v26, v0, vcc_lo
	s_wait_dscnt 0x2
	v_add_f64_e32 v[14:15], v[14:15], v[22:23]
	s_wait_dscnt 0x0
	v_add_f64_e32 v[20:21], v[16:17], v[24:25]
	v_lshlrev_b32_e32 v25, 2, v0
	ds_bpermute_b32 v0, v25, v12
	ds_bpermute_b32 v1, v25, v13
	;; [unrolled: 1-line block ×4, first 2 shown]
	s_wait_dscnt 0x2
	v_add_f64_e32 v[0:1], v[12:13], v[0:1]
	s_wait_dscnt 0x0
	v_add_f64_e32 v[16:17], v[18:19], v[16:17]
	ds_bpermute_b32 v22, v25, v14
	ds_bpermute_b32 v23, v25, v15
	;; [unrolled: 1-line block ×4, first 2 shown]
	v_xor_b32_e32 v18, 1, v26
	s_delay_alu instid0(VALU_DEP_1)
	v_cmp_gt_i32_e32 vcc_lo, 32, v18
	v_cndmask_b32_e32 v18, v26, v18, vcc_lo
	v_cmp_eq_u32_e32 vcc_lo, 7, v11
	s_wait_dscnt 0x2
	v_add_f64_e32 v[12:13], v[14:15], v[22:23]
	s_wait_dscnt 0x0
	v_dual_add_f64 v[14:15], v[20:21], v[24:25] :: v_dual_lshlrev_b32 v21, 2, v18
	ds_bpermute_b32 v24, v21, v0
	ds_bpermute_b32 v25, v21, v1
	;; [unrolled: 1-line block ×8, first 2 shown]
	s_and_b32 exec_lo, exec_lo, vcc_lo
	s_cbranch_execz .LBB229_21
; %bb.17:
	v_cmp_eq_f64_e32 vcc_lo, 0, v[6:7]
	v_cmp_eq_f64_e64 s2, 0, v[8:9]
	s_wait_dscnt 0x6
	v_add_f64_e32 v[0:1], v[0:1], v[24:25]
	s_wait_dscnt 0x4
	v_add_f64_e32 v[16:17], v[16:17], v[22:23]
	s_wait_dscnt 0x2
	v_add_f64_e32 v[12:13], v[12:13], v[18:19]
	s_wait_dscnt 0x0
	v_add_f64_e32 v[14:15], v[14:15], v[20:21]
	s_load_b64 s[0:1], s[0:1], 0x48
	s_and_b32 s2, vcc_lo, s2
	s_delay_alu instid0(SALU_CYCLE_1) | instskip(NEXT) | instid1(SALU_CYCLE_1)
	s_and_saveexec_b32 s3, s2
	s_xor_b32 s2, exec_lo, s3
	s_cbranch_execz .LBB229_19
; %bb.18:
	s_delay_alu instid0(VALU_DEP_3) | instskip(SKIP_1) | instid1(VALU_DEP_3)
	v_mul_f64_e64 v[6:7], v[16:17], -v[4:5]
	v_mul_f64_e32 v[8:9], v[2:3], v[16:17]
	v_mul_f64_e64 v[16:17], v[14:15], -v[4:5]
	v_mul_f64_e32 v[18:19], v[2:3], v[14:15]
                                        ; implicit-def: $vgpr14_vgpr15
	s_delay_alu instid0(VALU_DEP_4) | instskip(NEXT) | instid1(VALU_DEP_4)
	v_fmac_f64_e32 v[6:7], v[2:3], v[0:1]
	v_fmac_f64_e32 v[8:9], v[4:5], v[0:1]
	s_delay_alu instid0(VALU_DEP_4) | instskip(NEXT) | instid1(VALU_DEP_4)
	v_fmac_f64_e32 v[16:17], v[2:3], v[12:13]
	v_fmac_f64_e32 v[18:19], v[4:5], v[12:13]
	v_lshlrev_b32_e32 v0, 1, v10
                                        ; implicit-def: $vgpr10
                                        ; implicit-def: $vgpr12_vgpr13
                                        ; implicit-def: $vgpr4_vgpr5
	s_wait_kmcnt 0x0
	s_clause 0x1
	global_store_b128 v0, v[6:9], s[0:1] scale_offset
	global_store_b128 v0, v[16:19], s[0:1] offset:16 scale_offset
                                        ; implicit-def: $vgpr0_vgpr1
                                        ; implicit-def: $vgpr16_vgpr17
                                        ; implicit-def: $vgpr8_vgpr9
.LBB229_19:
	s_wait_xcnt 0x0
	s_and_not1_saveexec_b32 s2, s2
	s_cbranch_execz .LBB229_21
; %bb.20:
	s_delay_alu instid0(VALU_DEP_3) | instskip(SKIP_1) | instid1(VALU_DEP_3)
	v_dual_mul_f64 v[26:27], v[16:17], -v[4:5] :: v_dual_lshlrev_b32 v30, 1, v10
	v_mul_f64_e32 v[16:17], v[2:3], v[16:17]
	v_mul_f64_e64 v[28:29], v[14:15], -v[4:5]
	v_mul_f64_e32 v[10:11], v[2:3], v[14:15]
	s_wait_kmcnt 0x0
	s_clause 0x1
	global_load_b128 v[18:21], v30, s[0:1] scale_offset
	global_load_b128 v[22:25], v30, s[0:1] offset:16 scale_offset
	v_fmac_f64_e32 v[26:27], v[2:3], v[0:1]
	v_fmac_f64_e32 v[16:17], v[4:5], v[0:1]
	;; [unrolled: 1-line block ×4, first 2 shown]
	s_wait_loadcnt 0x1
	s_delay_alu instid0(VALU_DEP_4) | instskip(NEXT) | instid1(VALU_DEP_4)
	v_fmac_f64_e32 v[26:27], v[6:7], v[18:19]
	v_fmac_f64_e32 v[16:17], v[8:9], v[18:19]
	s_wait_loadcnt 0x0
	s_delay_alu instid0(VALU_DEP_4) | instskip(NEXT) | instid1(VALU_DEP_4)
	v_fmac_f64_e32 v[28:29], v[6:7], v[22:23]
	v_fmac_f64_e32 v[10:11], v[8:9], v[22:23]
	s_delay_alu instid0(VALU_DEP_4) | instskip(NEXT) | instid1(VALU_DEP_4)
	v_fma_f64 v[14:15], -v[8:9], v[20:21], v[26:27]
	v_fmac_f64_e32 v[16:17], v[6:7], v[20:21]
	s_delay_alu instid0(VALU_DEP_4) | instskip(NEXT) | instid1(VALU_DEP_4)
	v_fma_f64 v[8:9], -v[8:9], v[24:25], v[28:29]
	v_fmac_f64_e32 v[10:11], v[6:7], v[24:25]
	s_clause 0x1
	global_store_b128 v30, v[14:17], s[0:1] scale_offset
	global_store_b128 v30, v[8:11], s[0:1] offset:16 scale_offset
.LBB229_21:
	s_endpgm
	.section	.rodata,"a",@progbits
	.p2align	6, 0x0
	.amdhsa_kernel _ZN9rocsparseL19gebsrmvn_2xn_kernelILj128ELj1ELj8E21rocsparse_complex_numIdEEEvi20rocsparse_direction_NS_24const_host_device_scalarIT2_EEPKiS8_PKS5_SA_S6_PS5_21rocsparse_index_base_b
		.amdhsa_group_segment_fixed_size 0
		.amdhsa_private_segment_fixed_size 0
		.amdhsa_kernarg_size 88
		.amdhsa_user_sgpr_count 2
		.amdhsa_user_sgpr_dispatch_ptr 0
		.amdhsa_user_sgpr_queue_ptr 0
		.amdhsa_user_sgpr_kernarg_segment_ptr 1
		.amdhsa_user_sgpr_dispatch_id 0
		.amdhsa_user_sgpr_kernarg_preload_length 0
		.amdhsa_user_sgpr_kernarg_preload_offset 0
		.amdhsa_user_sgpr_private_segment_size 0
		.amdhsa_wavefront_size32 1
		.amdhsa_uses_dynamic_stack 0
		.amdhsa_enable_private_segment 0
		.amdhsa_system_sgpr_workgroup_id_x 1
		.amdhsa_system_sgpr_workgroup_id_y 0
		.amdhsa_system_sgpr_workgroup_id_z 0
		.amdhsa_system_sgpr_workgroup_info 0
		.amdhsa_system_vgpr_workitem_id 0
		.amdhsa_next_free_vgpr 35
		.amdhsa_next_free_sgpr 14
		.amdhsa_named_barrier_count 0
		.amdhsa_reserve_vcc 1
		.amdhsa_float_round_mode_32 0
		.amdhsa_float_round_mode_16_64 0
		.amdhsa_float_denorm_mode_32 3
		.amdhsa_float_denorm_mode_16_64 3
		.amdhsa_fp16_overflow 0
		.amdhsa_memory_ordered 1
		.amdhsa_forward_progress 1
		.amdhsa_inst_pref_size 12
		.amdhsa_round_robin_scheduling 0
		.amdhsa_exception_fp_ieee_invalid_op 0
		.amdhsa_exception_fp_denorm_src 0
		.amdhsa_exception_fp_ieee_div_zero 0
		.amdhsa_exception_fp_ieee_overflow 0
		.amdhsa_exception_fp_ieee_underflow 0
		.amdhsa_exception_fp_ieee_inexact 0
		.amdhsa_exception_int_div_zero 0
	.end_amdhsa_kernel
	.section	.text._ZN9rocsparseL19gebsrmvn_2xn_kernelILj128ELj1ELj8E21rocsparse_complex_numIdEEEvi20rocsparse_direction_NS_24const_host_device_scalarIT2_EEPKiS8_PKS5_SA_S6_PS5_21rocsparse_index_base_b,"axG",@progbits,_ZN9rocsparseL19gebsrmvn_2xn_kernelILj128ELj1ELj8E21rocsparse_complex_numIdEEEvi20rocsparse_direction_NS_24const_host_device_scalarIT2_EEPKiS8_PKS5_SA_S6_PS5_21rocsparse_index_base_b,comdat
.Lfunc_end229:
	.size	_ZN9rocsparseL19gebsrmvn_2xn_kernelILj128ELj1ELj8E21rocsparse_complex_numIdEEEvi20rocsparse_direction_NS_24const_host_device_scalarIT2_EEPKiS8_PKS5_SA_S6_PS5_21rocsparse_index_base_b, .Lfunc_end229-_ZN9rocsparseL19gebsrmvn_2xn_kernelILj128ELj1ELj8E21rocsparse_complex_numIdEEEvi20rocsparse_direction_NS_24const_host_device_scalarIT2_EEPKiS8_PKS5_SA_S6_PS5_21rocsparse_index_base_b
                                        ; -- End function
	.set _ZN9rocsparseL19gebsrmvn_2xn_kernelILj128ELj1ELj8E21rocsparse_complex_numIdEEEvi20rocsparse_direction_NS_24const_host_device_scalarIT2_EEPKiS8_PKS5_SA_S6_PS5_21rocsparse_index_base_b.num_vgpr, 35
	.set _ZN9rocsparseL19gebsrmvn_2xn_kernelILj128ELj1ELj8E21rocsparse_complex_numIdEEEvi20rocsparse_direction_NS_24const_host_device_scalarIT2_EEPKiS8_PKS5_SA_S6_PS5_21rocsparse_index_base_b.num_agpr, 0
	.set _ZN9rocsparseL19gebsrmvn_2xn_kernelILj128ELj1ELj8E21rocsparse_complex_numIdEEEvi20rocsparse_direction_NS_24const_host_device_scalarIT2_EEPKiS8_PKS5_SA_S6_PS5_21rocsparse_index_base_b.numbered_sgpr, 14
	.set _ZN9rocsparseL19gebsrmvn_2xn_kernelILj128ELj1ELj8E21rocsparse_complex_numIdEEEvi20rocsparse_direction_NS_24const_host_device_scalarIT2_EEPKiS8_PKS5_SA_S6_PS5_21rocsparse_index_base_b.num_named_barrier, 0
	.set _ZN9rocsparseL19gebsrmvn_2xn_kernelILj128ELj1ELj8E21rocsparse_complex_numIdEEEvi20rocsparse_direction_NS_24const_host_device_scalarIT2_EEPKiS8_PKS5_SA_S6_PS5_21rocsparse_index_base_b.private_seg_size, 0
	.set _ZN9rocsparseL19gebsrmvn_2xn_kernelILj128ELj1ELj8E21rocsparse_complex_numIdEEEvi20rocsparse_direction_NS_24const_host_device_scalarIT2_EEPKiS8_PKS5_SA_S6_PS5_21rocsparse_index_base_b.uses_vcc, 1
	.set _ZN9rocsparseL19gebsrmvn_2xn_kernelILj128ELj1ELj8E21rocsparse_complex_numIdEEEvi20rocsparse_direction_NS_24const_host_device_scalarIT2_EEPKiS8_PKS5_SA_S6_PS5_21rocsparse_index_base_b.uses_flat_scratch, 0
	.set _ZN9rocsparseL19gebsrmvn_2xn_kernelILj128ELj1ELj8E21rocsparse_complex_numIdEEEvi20rocsparse_direction_NS_24const_host_device_scalarIT2_EEPKiS8_PKS5_SA_S6_PS5_21rocsparse_index_base_b.has_dyn_sized_stack, 0
	.set _ZN9rocsparseL19gebsrmvn_2xn_kernelILj128ELj1ELj8E21rocsparse_complex_numIdEEEvi20rocsparse_direction_NS_24const_host_device_scalarIT2_EEPKiS8_PKS5_SA_S6_PS5_21rocsparse_index_base_b.has_recursion, 0
	.set _ZN9rocsparseL19gebsrmvn_2xn_kernelILj128ELj1ELj8E21rocsparse_complex_numIdEEEvi20rocsparse_direction_NS_24const_host_device_scalarIT2_EEPKiS8_PKS5_SA_S6_PS5_21rocsparse_index_base_b.has_indirect_call, 0
	.section	.AMDGPU.csdata,"",@progbits
; Kernel info:
; codeLenInByte = 1440
; TotalNumSgprs: 16
; NumVgprs: 35
; ScratchSize: 0
; MemoryBound: 0
; FloatMode: 240
; IeeeMode: 1
; LDSByteSize: 0 bytes/workgroup (compile time only)
; SGPRBlocks: 0
; VGPRBlocks: 2
; NumSGPRsForWavesPerEU: 16
; NumVGPRsForWavesPerEU: 35
; NamedBarCnt: 0
; Occupancy: 16
; WaveLimiterHint : 1
; COMPUTE_PGM_RSRC2:SCRATCH_EN: 0
; COMPUTE_PGM_RSRC2:USER_SGPR: 2
; COMPUTE_PGM_RSRC2:TRAP_HANDLER: 0
; COMPUTE_PGM_RSRC2:TGID_X_EN: 1
; COMPUTE_PGM_RSRC2:TGID_Y_EN: 0
; COMPUTE_PGM_RSRC2:TGID_Z_EN: 0
; COMPUTE_PGM_RSRC2:TIDIG_COMP_CNT: 0
	.section	.text._ZN9rocsparseL19gebsrmvn_2xn_kernelILj128ELj1ELj16E21rocsparse_complex_numIdEEEvi20rocsparse_direction_NS_24const_host_device_scalarIT2_EEPKiS8_PKS5_SA_S6_PS5_21rocsparse_index_base_b,"axG",@progbits,_ZN9rocsparseL19gebsrmvn_2xn_kernelILj128ELj1ELj16E21rocsparse_complex_numIdEEEvi20rocsparse_direction_NS_24const_host_device_scalarIT2_EEPKiS8_PKS5_SA_S6_PS5_21rocsparse_index_base_b,comdat
	.globl	_ZN9rocsparseL19gebsrmvn_2xn_kernelILj128ELj1ELj16E21rocsparse_complex_numIdEEEvi20rocsparse_direction_NS_24const_host_device_scalarIT2_EEPKiS8_PKS5_SA_S6_PS5_21rocsparse_index_base_b ; -- Begin function _ZN9rocsparseL19gebsrmvn_2xn_kernelILj128ELj1ELj16E21rocsparse_complex_numIdEEEvi20rocsparse_direction_NS_24const_host_device_scalarIT2_EEPKiS8_PKS5_SA_S6_PS5_21rocsparse_index_base_b
	.p2align	8
	.type	_ZN9rocsparseL19gebsrmvn_2xn_kernelILj128ELj1ELj16E21rocsparse_complex_numIdEEEvi20rocsparse_direction_NS_24const_host_device_scalarIT2_EEPKiS8_PKS5_SA_S6_PS5_21rocsparse_index_base_b,@function
_ZN9rocsparseL19gebsrmvn_2xn_kernelILj128ELj1ELj16E21rocsparse_complex_numIdEEEvi20rocsparse_direction_NS_24const_host_device_scalarIT2_EEPKiS8_PKS5_SA_S6_PS5_21rocsparse_index_base_b: ; @_ZN9rocsparseL19gebsrmvn_2xn_kernelILj128ELj1ELj16E21rocsparse_complex_numIdEEEvi20rocsparse_direction_NS_24const_host_device_scalarIT2_EEPKiS8_PKS5_SA_S6_PS5_21rocsparse_index_base_b
; %bb.0:
	s_clause 0x1
	s_load_b64 s[12:13], s[0:1], 0x50
	s_load_b64 s[2:3], s[0:1], 0x8
	v_mov_b32_e32 v1, 0
	s_add_nc_u64 s[4:5], s[0:1], 8
	s_load_b64 s[6:7], s[0:1], 0x38
	s_wait_kmcnt 0x0
	s_bitcmp1_b32 s13, 0
	s_cselect_b32 s3, s5, s3
	s_cselect_b32 s2, s4, s2
	flat_load_b128 v[2:5], v1, s[2:3]
	s_wait_xcnt 0x0
	s_add_nc_u64 s[2:3], s[0:1], 56
	s_delay_alu instid0(SALU_CYCLE_1)
	s_cselect_b32 s3, s3, s7
	s_cselect_b32 s2, s2, s6
	flat_load_b128 v[6:9], v1, s[2:3]
	s_wait_loadcnt_dscnt 0x101
	v_cmp_eq_f64_e32 vcc_lo, 0, v[2:3]
	s_wait_xcnt 0x0
	v_cmp_eq_f64_e64 s2, 0, v[4:5]
	s_and_b32 s4, vcc_lo, s2
	s_mov_b32 s2, -1
	s_and_saveexec_b32 s3, s4
	s_cbranch_execz .LBB230_2
; %bb.1:
	s_wait_loadcnt_dscnt 0x0
	v_cmp_neq_f64_e32 vcc_lo, 1.0, v[6:7]
	v_cmp_neq_f64_e64 s2, 0, v[8:9]
	s_or_b32 s2, vcc_lo, s2
	s_delay_alu instid0(SALU_CYCLE_1)
	s_or_not1_b32 s2, s2, exec_lo
.LBB230_2:
	s_or_b32 exec_lo, exec_lo, s3
	s_and_saveexec_b32 s3, s2
	s_cbranch_execz .LBB230_21
; %bb.3:
	s_load_b64 s[2:3], s[0:1], 0x0
	s_bfe_u32 s4, ttmp6, 0x4000c
	s_and_b32 s5, ttmp6, 15
	s_add_co_i32 s4, s4, 1
	s_getreg_b32 s6, hwreg(HW_REG_IB_STS2, 6, 4)
	s_mul_i32 s4, ttmp9, s4
	v_lshrrev_b32_e32 v1, 4, v0
	s_add_co_i32 s5, s5, s4
	s_cmp_eq_u32 s6, 0
	s_cselect_b32 s4, ttmp9, s5
	s_delay_alu instid0(VALU_DEP_1) | instid1(SALU_CYCLE_1)
	v_lshl_or_b32 v10, s4, 3, v1
	s_wait_kmcnt 0x0
	s_delay_alu instid0(VALU_DEP_1)
	v_cmp_gt_i32_e32 vcc_lo, s2, v10
	s_and_b32 exec_lo, exec_lo, vcc_lo
	s_cbranch_execz .LBB230_21
; %bb.4:
	s_load_b256 s[4:11], s[0:1], 0x18
	v_ashrrev_i32_e32 v11, 31, v10
	s_cmp_lg_u32 s3, 0
	s_wait_kmcnt 0x0
	s_delay_alu instid0(VALU_DEP_1)
	v_lshl_add_u64 v[12:13], v[10:11], 2, s[4:5]
	v_and_b32_e32 v11, 15, v0
	global_load_b64 v[12:13], v[12:13], off
	s_wait_loadcnt 0x0
	v_subrev_nc_u32_e32 v0, s12, v12
	v_subrev_nc_u32_e32 v18, s12, v13
	s_delay_alu instid0(VALU_DEP_2) | instskip(NEXT) | instid1(VALU_DEP_1)
	v_add_nc_u32_e32 v19, v0, v11
	v_cmp_lt_i32_e64 s2, v19, v18
	s_cbranch_scc0 .LBB230_10
; %bb.5:
	v_mov_b64_e32 v[0:1], 0
	v_mov_b64_e32 v[12:13], 0
	;; [unrolled: 1-line block ×4, first 2 shown]
	s_and_saveexec_b32 s3, s2
	s_cbranch_execz .LBB230_9
; %bb.6:
	v_mov_b64_e32 v[0:1], 0
	v_mov_b64_e32 v[12:13], 0
	;; [unrolled: 1-line block ×4, first 2 shown]
	v_dual_mov_b32 v21, v19 :: v_dual_lshlrev_b32 v20, 1, v19
	s_mov_b32 s4, 0
.LBB230_7:                              ; =>This Inner Loop Header: Depth=1
	global_load_b32 v26, v21, s[6:7] scale_offset
	global_load_b128 v[22:25], v20, s[8:9] offset:16 scale_offset
	s_wait_xcnt 0x1
	v_add_nc_u32_e32 v21, 16, v21
	s_wait_loadcnt 0x1
	v_subrev_nc_u32_e32 v34, s12, v26
	global_load_b128 v[26:29], v20, s[8:9] scale_offset
	global_load_b128 v[30:33], v34, s[10:11] scale_offset
	s_wait_xcnt 0x1
	v_add_nc_u32_e32 v20, 32, v20
	v_cmp_ge_i32_e32 vcc_lo, v21, v18
	s_or_b32 s4, vcc_lo, s4
	s_wait_loadcnt 0x0
	v_fmac_f64_e32 v[12:13], v[26:27], v[30:31]
	v_fmac_f64_e32 v[0:1], v[28:29], v[30:31]
	;; [unrolled: 1-line block ×4, first 2 shown]
	s_delay_alu instid0(VALU_DEP_4) | instskip(NEXT) | instid1(VALU_DEP_4)
	v_fma_f64 v[12:13], -v[28:29], v[32:33], v[12:13]
	v_fmac_f64_e32 v[0:1], v[26:27], v[32:33]
	s_delay_alu instid0(VALU_DEP_4) | instskip(NEXT) | instid1(VALU_DEP_4)
	v_fma_f64 v[14:15], -v[24:25], v[32:33], v[14:15]
	v_fmac_f64_e32 v[16:17], v[22:23], v[32:33]
	s_and_not1_b32 exec_lo, exec_lo, s4
	s_cbranch_execnz .LBB230_7
; %bb.8:
	s_or_b32 exec_lo, exec_lo, s4
.LBB230_9:
	s_delay_alu instid0(SALU_CYCLE_1)
	s_or_b32 exec_lo, exec_lo, s3
	s_cbranch_execz .LBB230_11
	s_branch .LBB230_16
.LBB230_10:
                                        ; implicit-def: $vgpr0_vgpr1
                                        ; implicit-def: $vgpr12_vgpr13
                                        ; implicit-def: $vgpr14_vgpr15
                                        ; implicit-def: $vgpr16_vgpr17
.LBB230_11:
	v_mov_b64_e32 v[0:1], 0
	v_mov_b64_e32 v[12:13], 0
	;; [unrolled: 1-line block ×4, first 2 shown]
	s_and_saveexec_b32 s3, s2
	s_cbranch_execz .LBB230_15
; %bb.12:
	v_mov_b64_e32 v[0:1], 0
	v_mov_b64_e32 v[12:13], 0
	v_mov_b64_e32 v[14:15], 0
	v_mov_b64_e32 v[16:17], 0
	v_lshlrev_b32_e32 v20, 1, v19
	s_mov_b32 s2, 0
.LBB230_13:                             ; =>This Inner Loop Header: Depth=1
	global_load_b32 v21, v19, s[6:7] scale_offset
	global_load_b128 v[22:25], v20, s[8:9] offset:16 scale_offset
	s_wait_xcnt 0x1
	v_add_nc_u32_e32 v19, 16, v19
	s_delay_alu instid0(VALU_DEP_1)
	v_cmp_ge_i32_e32 vcc_lo, v19, v18
	s_or_b32 s2, vcc_lo, s2
	s_wait_loadcnt 0x1
	v_subrev_nc_u32_e32 v21, s12, v21
	global_load_b128 v[26:29], v20, s[8:9] scale_offset
	global_load_b128 v[30:33], v21, s[10:11] scale_offset
	s_wait_xcnt 0x1
	v_add_nc_u32_e32 v20, 32, v20
	s_wait_loadcnt 0x0
	v_fmac_f64_e32 v[12:13], v[26:27], v[30:31]
	v_fmac_f64_e32 v[0:1], v[28:29], v[30:31]
	;; [unrolled: 1-line block ×4, first 2 shown]
	s_delay_alu instid0(VALU_DEP_4) | instskip(NEXT) | instid1(VALU_DEP_4)
	v_fma_f64 v[12:13], -v[28:29], v[32:33], v[12:13]
	v_fmac_f64_e32 v[0:1], v[26:27], v[32:33]
	s_delay_alu instid0(VALU_DEP_4) | instskip(NEXT) | instid1(VALU_DEP_4)
	v_fma_f64 v[14:15], -v[24:25], v[32:33], v[14:15]
	v_fmac_f64_e32 v[16:17], v[22:23], v[32:33]
	s_and_not1_b32 exec_lo, exec_lo, s2
	s_cbranch_execnz .LBB230_13
; %bb.14:
	s_or_b32 exec_lo, exec_lo, s2
.LBB230_15:
	s_delay_alu instid0(SALU_CYCLE_1)
	s_or_b32 exec_lo, exec_lo, s3
.LBB230_16:
	v_mbcnt_lo_u32_b32 v26, -1, 0
	s_delay_alu instid0(VALU_DEP_1) | instskip(NEXT) | instid1(VALU_DEP_1)
	v_xor_b32_e32 v18, 8, v26
	v_cmp_gt_i32_e32 vcc_lo, 32, v18
	v_cndmask_b32_e32 v18, v26, v18, vcc_lo
	s_delay_alu instid0(VALU_DEP_1)
	v_lshlrev_b32_e32 v25, 2, v18
	ds_bpermute_b32 v18, v25, v12
	ds_bpermute_b32 v19, v25, v13
	s_wait_dscnt 0x0
	v_add_f64_e32 v[12:13], v[12:13], v[18:19]
	v_xor_b32_e32 v18, 4, v26
	s_delay_alu instid0(VALU_DEP_1)
	v_cmp_gt_i32_e32 vcc_lo, 32, v18
	v_cndmask_b32_e32 v18, v26, v18, vcc_lo
	ds_bpermute_b32 v20, v25, v0
	ds_bpermute_b32 v21, v25, v1
	;; [unrolled: 1-line block ×6, first 2 shown]
	s_wait_dscnt 0x4
	v_add_f64_e32 v[0:1], v[0:1], v[20:21]
	s_wait_dscnt 0x0
	v_dual_add_f64 v[16:17], v[16:17], v[24:25] :: v_dual_lshlrev_b32 v25, 2, v18
	ds_bpermute_b32 v18, v25, v12
	ds_bpermute_b32 v19, v25, v13
	s_wait_dscnt 0x0
	v_add_f64_e32 v[12:13], v[12:13], v[18:19]
	ds_bpermute_b32 v20, v25, v0
	ds_bpermute_b32 v21, v25, v1
	s_wait_dscnt 0x0
	v_dual_add_f64 v[18:19], v[0:1], v[20:21] :: v_dual_bitop2_b32 v0, 2, v26 bitop3:0x14
	ds_bpermute_b32 v24, v25, v16
	v_cmp_gt_i32_e32 vcc_lo, 32, v0
	v_cndmask_b32_e32 v0, v26, v0, vcc_lo
	v_add_f64_e32 v[14:15], v[14:15], v[22:23]
	ds_bpermute_b32 v22, v25, v14
	ds_bpermute_b32 v23, v25, v15
	;; [unrolled: 1-line block ×3, first 2 shown]
	s_wait_dscnt 0x0
	v_add_f64_e32 v[20:21], v[16:17], v[24:25]
	v_dual_add_f64 v[14:15], v[14:15], v[22:23] :: v_dual_lshlrev_b32 v25, 2, v0
	ds_bpermute_b32 v0, v25, v12
	ds_bpermute_b32 v1, v25, v13
	;; [unrolled: 1-line block ×4, first 2 shown]
	s_wait_dscnt 0x2
	v_add_f64_e32 v[0:1], v[12:13], v[0:1]
	s_wait_dscnt 0x0
	v_dual_add_f64 v[16:17], v[18:19], v[16:17] :: v_dual_bitop2_b32 v18, 1, v26 bitop3:0x14
	ds_bpermute_b32 v24, v25, v20
	ds_bpermute_b32 v22, v25, v14
	ds_bpermute_b32 v23, v25, v15
	ds_bpermute_b32 v25, v25, v21
	v_cmp_gt_i32_e32 vcc_lo, 32, v18
	v_cndmask_b32_e32 v18, v26, v18, vcc_lo
	v_cmp_eq_u32_e32 vcc_lo, 15, v11
	s_wait_dscnt 0x1
	v_add_f64_e32 v[12:13], v[14:15], v[22:23]
	s_wait_dscnt 0x0
	v_dual_add_f64 v[14:15], v[20:21], v[24:25] :: v_dual_lshlrev_b32 v21, 2, v18
	ds_bpermute_b32 v24, v21, v0
	ds_bpermute_b32 v25, v21, v1
	;; [unrolled: 1-line block ×8, first 2 shown]
	s_and_b32 exec_lo, exec_lo, vcc_lo
	s_cbranch_execz .LBB230_21
; %bb.17:
	v_cmp_eq_f64_e32 vcc_lo, 0, v[6:7]
	v_cmp_eq_f64_e64 s2, 0, v[8:9]
	s_wait_dscnt 0x6
	v_add_f64_e32 v[0:1], v[0:1], v[24:25]
	s_wait_dscnt 0x4
	v_add_f64_e32 v[16:17], v[16:17], v[22:23]
	;; [unrolled: 2-line block ×4, first 2 shown]
	s_load_b64 s[0:1], s[0:1], 0x48
	s_and_b32 s2, vcc_lo, s2
	s_delay_alu instid0(SALU_CYCLE_1) | instskip(NEXT) | instid1(SALU_CYCLE_1)
	s_and_saveexec_b32 s3, s2
	s_xor_b32 s2, exec_lo, s3
	s_cbranch_execz .LBB230_19
; %bb.18:
	s_delay_alu instid0(VALU_DEP_3) | instskip(SKIP_1) | instid1(VALU_DEP_3)
	v_mul_f64_e64 v[6:7], v[16:17], -v[4:5]
	v_mul_f64_e32 v[8:9], v[2:3], v[16:17]
	v_mul_f64_e64 v[16:17], v[14:15], -v[4:5]
	v_mul_f64_e32 v[18:19], v[2:3], v[14:15]
                                        ; implicit-def: $vgpr14_vgpr15
	s_delay_alu instid0(VALU_DEP_4) | instskip(NEXT) | instid1(VALU_DEP_4)
	v_fmac_f64_e32 v[6:7], v[2:3], v[0:1]
	v_fmac_f64_e32 v[8:9], v[4:5], v[0:1]
	s_delay_alu instid0(VALU_DEP_4) | instskip(NEXT) | instid1(VALU_DEP_4)
	v_fmac_f64_e32 v[16:17], v[2:3], v[12:13]
	v_fmac_f64_e32 v[18:19], v[4:5], v[12:13]
	v_lshlrev_b32_e32 v0, 1, v10
                                        ; implicit-def: $vgpr10
                                        ; implicit-def: $vgpr12_vgpr13
                                        ; implicit-def: $vgpr4_vgpr5
	s_wait_kmcnt 0x0
	s_clause 0x1
	global_store_b128 v0, v[6:9], s[0:1] scale_offset
	global_store_b128 v0, v[16:19], s[0:1] offset:16 scale_offset
                                        ; implicit-def: $vgpr0_vgpr1
                                        ; implicit-def: $vgpr16_vgpr17
                                        ; implicit-def: $vgpr8_vgpr9
.LBB230_19:
	s_wait_xcnt 0x0
	s_and_not1_saveexec_b32 s2, s2
	s_cbranch_execz .LBB230_21
; %bb.20:
	s_delay_alu instid0(VALU_DEP_3) | instskip(SKIP_1) | instid1(VALU_DEP_3)
	v_dual_mul_f64 v[26:27], v[16:17], -v[4:5] :: v_dual_lshlrev_b32 v30, 1, v10
	v_mul_f64_e32 v[16:17], v[2:3], v[16:17]
	v_mul_f64_e64 v[28:29], v[14:15], -v[4:5]
	v_mul_f64_e32 v[10:11], v[2:3], v[14:15]
	s_wait_kmcnt 0x0
	s_clause 0x1
	global_load_b128 v[18:21], v30, s[0:1] scale_offset
	global_load_b128 v[22:25], v30, s[0:1] offset:16 scale_offset
	v_fmac_f64_e32 v[26:27], v[2:3], v[0:1]
	v_fmac_f64_e32 v[16:17], v[4:5], v[0:1]
	v_fmac_f64_e32 v[28:29], v[2:3], v[12:13]
	v_fmac_f64_e32 v[10:11], v[4:5], v[12:13]
	s_wait_loadcnt 0x1
	s_delay_alu instid0(VALU_DEP_4) | instskip(NEXT) | instid1(VALU_DEP_4)
	v_fmac_f64_e32 v[26:27], v[6:7], v[18:19]
	v_fmac_f64_e32 v[16:17], v[8:9], v[18:19]
	s_wait_loadcnt 0x0
	s_delay_alu instid0(VALU_DEP_4) | instskip(NEXT) | instid1(VALU_DEP_4)
	v_fmac_f64_e32 v[28:29], v[6:7], v[22:23]
	v_fmac_f64_e32 v[10:11], v[8:9], v[22:23]
	s_delay_alu instid0(VALU_DEP_4) | instskip(NEXT) | instid1(VALU_DEP_4)
	v_fma_f64 v[14:15], -v[8:9], v[20:21], v[26:27]
	v_fmac_f64_e32 v[16:17], v[6:7], v[20:21]
	s_delay_alu instid0(VALU_DEP_4) | instskip(NEXT) | instid1(VALU_DEP_4)
	v_fma_f64 v[8:9], -v[8:9], v[24:25], v[28:29]
	v_fmac_f64_e32 v[10:11], v[6:7], v[24:25]
	s_clause 0x1
	global_store_b128 v30, v[14:17], s[0:1] scale_offset
	global_store_b128 v30, v[8:11], s[0:1] offset:16 scale_offset
.LBB230_21:
	s_endpgm
	.section	.rodata,"a",@progbits
	.p2align	6, 0x0
	.amdhsa_kernel _ZN9rocsparseL19gebsrmvn_2xn_kernelILj128ELj1ELj16E21rocsparse_complex_numIdEEEvi20rocsparse_direction_NS_24const_host_device_scalarIT2_EEPKiS8_PKS5_SA_S6_PS5_21rocsparse_index_base_b
		.amdhsa_group_segment_fixed_size 0
		.amdhsa_private_segment_fixed_size 0
		.amdhsa_kernarg_size 88
		.amdhsa_user_sgpr_count 2
		.amdhsa_user_sgpr_dispatch_ptr 0
		.amdhsa_user_sgpr_queue_ptr 0
		.amdhsa_user_sgpr_kernarg_segment_ptr 1
		.amdhsa_user_sgpr_dispatch_id 0
		.amdhsa_user_sgpr_kernarg_preload_length 0
		.amdhsa_user_sgpr_kernarg_preload_offset 0
		.amdhsa_user_sgpr_private_segment_size 0
		.amdhsa_wavefront_size32 1
		.amdhsa_uses_dynamic_stack 0
		.amdhsa_enable_private_segment 0
		.amdhsa_system_sgpr_workgroup_id_x 1
		.amdhsa_system_sgpr_workgroup_id_y 0
		.amdhsa_system_sgpr_workgroup_id_z 0
		.amdhsa_system_sgpr_workgroup_info 0
		.amdhsa_system_vgpr_workitem_id 0
		.amdhsa_next_free_vgpr 35
		.amdhsa_next_free_sgpr 14
		.amdhsa_named_barrier_count 0
		.amdhsa_reserve_vcc 1
		.amdhsa_float_round_mode_32 0
		.amdhsa_float_round_mode_16_64 0
		.amdhsa_float_denorm_mode_32 3
		.amdhsa_float_denorm_mode_16_64 3
		.amdhsa_fp16_overflow 0
		.amdhsa_memory_ordered 1
		.amdhsa_forward_progress 1
		.amdhsa_inst_pref_size 13
		.amdhsa_round_robin_scheduling 0
		.amdhsa_exception_fp_ieee_invalid_op 0
		.amdhsa_exception_fp_denorm_src 0
		.amdhsa_exception_fp_ieee_div_zero 0
		.amdhsa_exception_fp_ieee_overflow 0
		.amdhsa_exception_fp_ieee_underflow 0
		.amdhsa_exception_fp_ieee_inexact 0
		.amdhsa_exception_int_div_zero 0
	.end_amdhsa_kernel
	.section	.text._ZN9rocsparseL19gebsrmvn_2xn_kernelILj128ELj1ELj16E21rocsparse_complex_numIdEEEvi20rocsparse_direction_NS_24const_host_device_scalarIT2_EEPKiS8_PKS5_SA_S6_PS5_21rocsparse_index_base_b,"axG",@progbits,_ZN9rocsparseL19gebsrmvn_2xn_kernelILj128ELj1ELj16E21rocsparse_complex_numIdEEEvi20rocsparse_direction_NS_24const_host_device_scalarIT2_EEPKiS8_PKS5_SA_S6_PS5_21rocsparse_index_base_b,comdat
.Lfunc_end230:
	.size	_ZN9rocsparseL19gebsrmvn_2xn_kernelILj128ELj1ELj16E21rocsparse_complex_numIdEEEvi20rocsparse_direction_NS_24const_host_device_scalarIT2_EEPKiS8_PKS5_SA_S6_PS5_21rocsparse_index_base_b, .Lfunc_end230-_ZN9rocsparseL19gebsrmvn_2xn_kernelILj128ELj1ELj16E21rocsparse_complex_numIdEEEvi20rocsparse_direction_NS_24const_host_device_scalarIT2_EEPKiS8_PKS5_SA_S6_PS5_21rocsparse_index_base_b
                                        ; -- End function
	.set _ZN9rocsparseL19gebsrmvn_2xn_kernelILj128ELj1ELj16E21rocsparse_complex_numIdEEEvi20rocsparse_direction_NS_24const_host_device_scalarIT2_EEPKiS8_PKS5_SA_S6_PS5_21rocsparse_index_base_b.num_vgpr, 35
	.set _ZN9rocsparseL19gebsrmvn_2xn_kernelILj128ELj1ELj16E21rocsparse_complex_numIdEEEvi20rocsparse_direction_NS_24const_host_device_scalarIT2_EEPKiS8_PKS5_SA_S6_PS5_21rocsparse_index_base_b.num_agpr, 0
	.set _ZN9rocsparseL19gebsrmvn_2xn_kernelILj128ELj1ELj16E21rocsparse_complex_numIdEEEvi20rocsparse_direction_NS_24const_host_device_scalarIT2_EEPKiS8_PKS5_SA_S6_PS5_21rocsparse_index_base_b.numbered_sgpr, 14
	.set _ZN9rocsparseL19gebsrmvn_2xn_kernelILj128ELj1ELj16E21rocsparse_complex_numIdEEEvi20rocsparse_direction_NS_24const_host_device_scalarIT2_EEPKiS8_PKS5_SA_S6_PS5_21rocsparse_index_base_b.num_named_barrier, 0
	.set _ZN9rocsparseL19gebsrmvn_2xn_kernelILj128ELj1ELj16E21rocsparse_complex_numIdEEEvi20rocsparse_direction_NS_24const_host_device_scalarIT2_EEPKiS8_PKS5_SA_S6_PS5_21rocsparse_index_base_b.private_seg_size, 0
	.set _ZN9rocsparseL19gebsrmvn_2xn_kernelILj128ELj1ELj16E21rocsparse_complex_numIdEEEvi20rocsparse_direction_NS_24const_host_device_scalarIT2_EEPKiS8_PKS5_SA_S6_PS5_21rocsparse_index_base_b.uses_vcc, 1
	.set _ZN9rocsparseL19gebsrmvn_2xn_kernelILj128ELj1ELj16E21rocsparse_complex_numIdEEEvi20rocsparse_direction_NS_24const_host_device_scalarIT2_EEPKiS8_PKS5_SA_S6_PS5_21rocsparse_index_base_b.uses_flat_scratch, 0
	.set _ZN9rocsparseL19gebsrmvn_2xn_kernelILj128ELj1ELj16E21rocsparse_complex_numIdEEEvi20rocsparse_direction_NS_24const_host_device_scalarIT2_EEPKiS8_PKS5_SA_S6_PS5_21rocsparse_index_base_b.has_dyn_sized_stack, 0
	.set _ZN9rocsparseL19gebsrmvn_2xn_kernelILj128ELj1ELj16E21rocsparse_complex_numIdEEEvi20rocsparse_direction_NS_24const_host_device_scalarIT2_EEPKiS8_PKS5_SA_S6_PS5_21rocsparse_index_base_b.has_recursion, 0
	.set _ZN9rocsparseL19gebsrmvn_2xn_kernelILj128ELj1ELj16E21rocsparse_complex_numIdEEEvi20rocsparse_direction_NS_24const_host_device_scalarIT2_EEPKiS8_PKS5_SA_S6_PS5_21rocsparse_index_base_b.has_indirect_call, 0
	.section	.AMDGPU.csdata,"",@progbits
; Kernel info:
; codeLenInByte = 1556
; TotalNumSgprs: 16
; NumVgprs: 35
; ScratchSize: 0
; MemoryBound: 0
; FloatMode: 240
; IeeeMode: 1
; LDSByteSize: 0 bytes/workgroup (compile time only)
; SGPRBlocks: 0
; VGPRBlocks: 2
; NumSGPRsForWavesPerEU: 16
; NumVGPRsForWavesPerEU: 35
; NamedBarCnt: 0
; Occupancy: 16
; WaveLimiterHint : 1
; COMPUTE_PGM_RSRC2:SCRATCH_EN: 0
; COMPUTE_PGM_RSRC2:USER_SGPR: 2
; COMPUTE_PGM_RSRC2:TRAP_HANDLER: 0
; COMPUTE_PGM_RSRC2:TGID_X_EN: 1
; COMPUTE_PGM_RSRC2:TGID_Y_EN: 0
; COMPUTE_PGM_RSRC2:TGID_Z_EN: 0
; COMPUTE_PGM_RSRC2:TIDIG_COMP_CNT: 0
	.section	.text._ZN9rocsparseL19gebsrmvn_2xn_kernelILj128ELj1ELj32E21rocsparse_complex_numIdEEEvi20rocsparse_direction_NS_24const_host_device_scalarIT2_EEPKiS8_PKS5_SA_S6_PS5_21rocsparse_index_base_b,"axG",@progbits,_ZN9rocsparseL19gebsrmvn_2xn_kernelILj128ELj1ELj32E21rocsparse_complex_numIdEEEvi20rocsparse_direction_NS_24const_host_device_scalarIT2_EEPKiS8_PKS5_SA_S6_PS5_21rocsparse_index_base_b,comdat
	.globl	_ZN9rocsparseL19gebsrmvn_2xn_kernelILj128ELj1ELj32E21rocsparse_complex_numIdEEEvi20rocsparse_direction_NS_24const_host_device_scalarIT2_EEPKiS8_PKS5_SA_S6_PS5_21rocsparse_index_base_b ; -- Begin function _ZN9rocsparseL19gebsrmvn_2xn_kernelILj128ELj1ELj32E21rocsparse_complex_numIdEEEvi20rocsparse_direction_NS_24const_host_device_scalarIT2_EEPKiS8_PKS5_SA_S6_PS5_21rocsparse_index_base_b
	.p2align	8
	.type	_ZN9rocsparseL19gebsrmvn_2xn_kernelILj128ELj1ELj32E21rocsparse_complex_numIdEEEvi20rocsparse_direction_NS_24const_host_device_scalarIT2_EEPKiS8_PKS5_SA_S6_PS5_21rocsparse_index_base_b,@function
_ZN9rocsparseL19gebsrmvn_2xn_kernelILj128ELj1ELj32E21rocsparse_complex_numIdEEEvi20rocsparse_direction_NS_24const_host_device_scalarIT2_EEPKiS8_PKS5_SA_S6_PS5_21rocsparse_index_base_b: ; @_ZN9rocsparseL19gebsrmvn_2xn_kernelILj128ELj1ELj32E21rocsparse_complex_numIdEEEvi20rocsparse_direction_NS_24const_host_device_scalarIT2_EEPKiS8_PKS5_SA_S6_PS5_21rocsparse_index_base_b
; %bb.0:
	s_clause 0x1
	s_load_b64 s[12:13], s[0:1], 0x50
	s_load_b64 s[2:3], s[0:1], 0x8
	v_mov_b32_e32 v1, 0
	s_add_nc_u64 s[4:5], s[0:1], 8
	s_load_b64 s[6:7], s[0:1], 0x38
	s_wait_kmcnt 0x0
	s_bitcmp1_b32 s13, 0
	s_cselect_b32 s3, s5, s3
	s_cselect_b32 s2, s4, s2
	flat_load_b128 v[2:5], v1, s[2:3]
	s_wait_xcnt 0x0
	s_add_nc_u64 s[2:3], s[0:1], 56
	s_delay_alu instid0(SALU_CYCLE_1)
	s_cselect_b32 s3, s3, s7
	s_cselect_b32 s2, s2, s6
	flat_load_b128 v[6:9], v1, s[2:3]
	s_wait_loadcnt_dscnt 0x101
	v_cmp_eq_f64_e32 vcc_lo, 0, v[2:3]
	s_wait_xcnt 0x0
	v_cmp_eq_f64_e64 s2, 0, v[4:5]
	s_and_b32 s4, vcc_lo, s2
	s_mov_b32 s2, -1
	s_and_saveexec_b32 s3, s4
	s_cbranch_execz .LBB231_2
; %bb.1:
	s_wait_loadcnt_dscnt 0x0
	v_cmp_neq_f64_e32 vcc_lo, 1.0, v[6:7]
	v_cmp_neq_f64_e64 s2, 0, v[8:9]
	s_or_b32 s2, vcc_lo, s2
	s_delay_alu instid0(SALU_CYCLE_1)
	s_or_not1_b32 s2, s2, exec_lo
.LBB231_2:
	s_or_b32 exec_lo, exec_lo, s3
	s_and_saveexec_b32 s3, s2
	s_cbranch_execz .LBB231_21
; %bb.3:
	s_load_b64 s[2:3], s[0:1], 0x0
	s_bfe_u32 s4, ttmp6, 0x4000c
	s_and_b32 s5, ttmp6, 15
	s_add_co_i32 s4, s4, 1
	s_getreg_b32 s6, hwreg(HW_REG_IB_STS2, 6, 4)
	s_mul_i32 s4, ttmp9, s4
	v_lshrrev_b32_e32 v1, 5, v0
	s_add_co_i32 s5, s5, s4
	s_cmp_eq_u32 s6, 0
	s_cselect_b32 s4, ttmp9, s5
	s_delay_alu instid0(VALU_DEP_1) | instid1(SALU_CYCLE_1)
	v_lshl_or_b32 v10, s4, 2, v1
	s_wait_kmcnt 0x0
	s_delay_alu instid0(VALU_DEP_1)
	v_cmp_gt_i32_e32 vcc_lo, s2, v10
	s_and_b32 exec_lo, exec_lo, vcc_lo
	s_cbranch_execz .LBB231_21
; %bb.4:
	s_load_b256 s[4:11], s[0:1], 0x18
	v_ashrrev_i32_e32 v11, 31, v10
	s_cmp_lg_u32 s3, 0
	s_wait_kmcnt 0x0
	s_delay_alu instid0(VALU_DEP_1)
	v_lshl_add_u64 v[12:13], v[10:11], 2, s[4:5]
	v_and_b32_e32 v11, 31, v0
	global_load_b64 v[12:13], v[12:13], off
	s_wait_loadcnt 0x0
	v_subrev_nc_u32_e32 v0, s12, v12
	v_subrev_nc_u32_e32 v18, s12, v13
	s_delay_alu instid0(VALU_DEP_2) | instskip(NEXT) | instid1(VALU_DEP_1)
	v_add_nc_u32_e32 v19, v0, v11
	v_cmp_lt_i32_e64 s2, v19, v18
	s_cbranch_scc0 .LBB231_10
; %bb.5:
	v_mov_b64_e32 v[0:1], 0
	v_mov_b64_e32 v[12:13], 0
	;; [unrolled: 1-line block ×4, first 2 shown]
	s_and_saveexec_b32 s3, s2
	s_cbranch_execz .LBB231_9
; %bb.6:
	v_mov_b64_e32 v[0:1], 0
	v_mov_b64_e32 v[12:13], 0
	;; [unrolled: 1-line block ×4, first 2 shown]
	v_dual_mov_b32 v21, v19 :: v_dual_lshlrev_b32 v20, 1, v19
	s_mov_b32 s4, 0
.LBB231_7:                              ; =>This Inner Loop Header: Depth=1
	global_load_b32 v26, v21, s[6:7] scale_offset
	global_load_b128 v[22:25], v20, s[8:9] offset:16 scale_offset
	s_wait_xcnt 0x1
	v_add_nc_u32_e32 v21, 32, v21
	s_wait_loadcnt 0x1
	v_subrev_nc_u32_e32 v34, s12, v26
	global_load_b128 v[26:29], v20, s[8:9] scale_offset
	global_load_b128 v[30:33], v34, s[10:11] scale_offset
	s_wait_xcnt 0x1
	v_add_nc_u32_e32 v20, 64, v20
	v_cmp_ge_i32_e32 vcc_lo, v21, v18
	s_or_b32 s4, vcc_lo, s4
	s_wait_loadcnt 0x0
	v_fmac_f64_e32 v[12:13], v[26:27], v[30:31]
	v_fmac_f64_e32 v[0:1], v[28:29], v[30:31]
	;; [unrolled: 1-line block ×4, first 2 shown]
	s_delay_alu instid0(VALU_DEP_4) | instskip(NEXT) | instid1(VALU_DEP_4)
	v_fma_f64 v[12:13], -v[28:29], v[32:33], v[12:13]
	v_fmac_f64_e32 v[0:1], v[26:27], v[32:33]
	s_delay_alu instid0(VALU_DEP_4) | instskip(NEXT) | instid1(VALU_DEP_4)
	v_fma_f64 v[14:15], -v[24:25], v[32:33], v[14:15]
	v_fmac_f64_e32 v[16:17], v[22:23], v[32:33]
	s_and_not1_b32 exec_lo, exec_lo, s4
	s_cbranch_execnz .LBB231_7
; %bb.8:
	s_or_b32 exec_lo, exec_lo, s4
.LBB231_9:
	s_delay_alu instid0(SALU_CYCLE_1)
	s_or_b32 exec_lo, exec_lo, s3
	s_cbranch_execz .LBB231_11
	s_branch .LBB231_16
.LBB231_10:
                                        ; implicit-def: $vgpr0_vgpr1
                                        ; implicit-def: $vgpr12_vgpr13
                                        ; implicit-def: $vgpr14_vgpr15
                                        ; implicit-def: $vgpr16_vgpr17
.LBB231_11:
	v_mov_b64_e32 v[0:1], 0
	v_mov_b64_e32 v[12:13], 0
	;; [unrolled: 1-line block ×4, first 2 shown]
	s_and_saveexec_b32 s3, s2
	s_cbranch_execz .LBB231_15
; %bb.12:
	v_mov_b64_e32 v[0:1], 0
	v_mov_b64_e32 v[12:13], 0
	;; [unrolled: 1-line block ×4, first 2 shown]
	v_lshlrev_b32_e32 v20, 1, v19
	s_mov_b32 s2, 0
.LBB231_13:                             ; =>This Inner Loop Header: Depth=1
	global_load_b32 v21, v19, s[6:7] scale_offset
	global_load_b128 v[22:25], v20, s[8:9] offset:16 scale_offset
	s_wait_xcnt 0x1
	v_add_nc_u32_e32 v19, 32, v19
	s_delay_alu instid0(VALU_DEP_1)
	v_cmp_ge_i32_e32 vcc_lo, v19, v18
	s_or_b32 s2, vcc_lo, s2
	s_wait_loadcnt 0x1
	v_subrev_nc_u32_e32 v21, s12, v21
	global_load_b128 v[26:29], v20, s[8:9] scale_offset
	global_load_b128 v[30:33], v21, s[10:11] scale_offset
	s_wait_xcnt 0x1
	v_add_nc_u32_e32 v20, 64, v20
	s_wait_loadcnt 0x0
	v_fmac_f64_e32 v[12:13], v[26:27], v[30:31]
	v_fmac_f64_e32 v[0:1], v[28:29], v[30:31]
	;; [unrolled: 1-line block ×4, first 2 shown]
	s_delay_alu instid0(VALU_DEP_4) | instskip(NEXT) | instid1(VALU_DEP_4)
	v_fma_f64 v[12:13], -v[28:29], v[32:33], v[12:13]
	v_fmac_f64_e32 v[0:1], v[26:27], v[32:33]
	s_delay_alu instid0(VALU_DEP_4) | instskip(NEXT) | instid1(VALU_DEP_4)
	v_fma_f64 v[14:15], -v[24:25], v[32:33], v[14:15]
	v_fmac_f64_e32 v[16:17], v[22:23], v[32:33]
	s_and_not1_b32 exec_lo, exec_lo, s2
	s_cbranch_execnz .LBB231_13
; %bb.14:
	s_or_b32 exec_lo, exec_lo, s2
.LBB231_15:
	s_delay_alu instid0(SALU_CYCLE_1)
	s_or_b32 exec_lo, exec_lo, s3
.LBB231_16:
	v_mbcnt_lo_u32_b32 v26, -1, 0
	s_delay_alu instid0(VALU_DEP_1) | instskip(NEXT) | instid1(VALU_DEP_1)
	v_xor_b32_e32 v18, 16, v26
	v_cmp_gt_i32_e32 vcc_lo, 32, v18
	v_cndmask_b32_e32 v18, v26, v18, vcc_lo
	s_delay_alu instid0(VALU_DEP_1)
	v_lshlrev_b32_e32 v25, 2, v18
	ds_bpermute_b32 v18, v25, v12
	ds_bpermute_b32 v19, v25, v13
	s_wait_dscnt 0x0
	v_add_f64_e32 v[12:13], v[12:13], v[18:19]
	v_xor_b32_e32 v18, 8, v26
	s_delay_alu instid0(VALU_DEP_1)
	v_cmp_gt_i32_e32 vcc_lo, 32, v18
	v_cndmask_b32_e32 v18, v26, v18, vcc_lo
	ds_bpermute_b32 v20, v25, v0
	ds_bpermute_b32 v21, v25, v1
	ds_bpermute_b32 v22, v25, v14
	ds_bpermute_b32 v23, v25, v15
	ds_bpermute_b32 v24, v25, v16
	ds_bpermute_b32 v25, v25, v17
	s_wait_dscnt 0x4
	v_add_f64_e32 v[0:1], v[0:1], v[20:21]
	s_wait_dscnt 0x2
	v_add_f64_e32 v[14:15], v[14:15], v[22:23]
	s_wait_dscnt 0x0
	v_dual_add_f64 v[16:17], v[16:17], v[24:25] :: v_dual_lshlrev_b32 v25, 2, v18
	ds_bpermute_b32 v18, v25, v12
	ds_bpermute_b32 v19, v25, v13
	s_wait_dscnt 0x0
	v_add_f64_e32 v[12:13], v[12:13], v[18:19]
	v_xor_b32_e32 v18, 4, v26
	s_delay_alu instid0(VALU_DEP_1)
	v_cmp_gt_i32_e32 vcc_lo, 32, v18
	v_cndmask_b32_e32 v18, v26, v18, vcc_lo
	ds_bpermute_b32 v20, v25, v0
	ds_bpermute_b32 v21, v25, v1
	;; [unrolled: 1-line block ×6, first 2 shown]
	s_wait_dscnt 0x4
	v_add_f64_e32 v[0:1], v[0:1], v[20:21]
	s_wait_dscnt 0x2
	v_add_f64_e32 v[14:15], v[14:15], v[22:23]
	s_wait_dscnt 0x0
	v_dual_add_f64 v[16:17], v[16:17], v[24:25] :: v_dual_lshlrev_b32 v25, 2, v18
	ds_bpermute_b32 v18, v25, v12
	ds_bpermute_b32 v19, v25, v13
	s_wait_dscnt 0x0
	v_add_f64_e32 v[12:13], v[12:13], v[18:19]
	ds_bpermute_b32 v20, v25, v0
	ds_bpermute_b32 v21, v25, v1
	;; [unrolled: 1-line block ×6, first 2 shown]
	s_wait_dscnt 0x4
	v_dual_add_f64 v[18:19], v[0:1], v[20:21] :: v_dual_bitop2_b32 v0, 2, v26 bitop3:0x14
	s_wait_dscnt 0x2
	v_add_f64_e32 v[14:15], v[14:15], v[22:23]
	s_wait_dscnt 0x0
	v_add_f64_e32 v[20:21], v[16:17], v[24:25]
	v_cmp_gt_i32_e32 vcc_lo, 32, v0
	v_cndmask_b32_e32 v0, v26, v0, vcc_lo
	s_delay_alu instid0(VALU_DEP_1)
	v_lshlrev_b32_e32 v25, 2, v0
	ds_bpermute_b32 v0, v25, v12
	ds_bpermute_b32 v1, v25, v13
	;; [unrolled: 1-line block ×8, first 2 shown]
	s_wait_dscnt 0x6
	v_add_f64_e32 v[0:1], v[12:13], v[0:1]
	s_wait_dscnt 0x4
	v_dual_add_f64 v[16:17], v[18:19], v[16:17] :: v_dual_bitop2_b32 v18, 1, v26 bitop3:0x14
	s_wait_dscnt 0x2
	v_add_f64_e32 v[12:13], v[14:15], v[22:23]
	s_delay_alu instid0(VALU_DEP_2) | instskip(SKIP_3) | instid1(VALU_DEP_2)
	v_cmp_gt_i32_e32 vcc_lo, 32, v18
	s_wait_dscnt 0x0
	v_dual_add_f64 v[14:15], v[20:21], v[24:25] :: v_dual_cndmask_b32 v18, v26, v18, vcc_lo
	v_cmp_eq_u32_e32 vcc_lo, 31, v11
	v_lshlrev_b32_e32 v21, 2, v18
	ds_bpermute_b32 v24, v21, v0
	ds_bpermute_b32 v25, v21, v1
	;; [unrolled: 1-line block ×8, first 2 shown]
	s_and_b32 exec_lo, exec_lo, vcc_lo
	s_cbranch_execz .LBB231_21
; %bb.17:
	v_cmp_eq_f64_e32 vcc_lo, 0, v[6:7]
	v_cmp_eq_f64_e64 s2, 0, v[8:9]
	s_wait_dscnt 0x6
	v_add_f64_e32 v[0:1], v[0:1], v[24:25]
	s_wait_dscnt 0x4
	v_add_f64_e32 v[16:17], v[16:17], v[22:23]
	;; [unrolled: 2-line block ×4, first 2 shown]
	s_load_b64 s[0:1], s[0:1], 0x48
	s_and_b32 s2, vcc_lo, s2
	s_delay_alu instid0(SALU_CYCLE_1) | instskip(NEXT) | instid1(SALU_CYCLE_1)
	s_and_saveexec_b32 s3, s2
	s_xor_b32 s2, exec_lo, s3
	s_cbranch_execz .LBB231_19
; %bb.18:
	s_delay_alu instid0(VALU_DEP_3) | instskip(SKIP_1) | instid1(VALU_DEP_3)
	v_mul_f64_e64 v[6:7], v[16:17], -v[4:5]
	v_mul_f64_e32 v[8:9], v[2:3], v[16:17]
	v_mul_f64_e64 v[16:17], v[14:15], -v[4:5]
	v_mul_f64_e32 v[18:19], v[2:3], v[14:15]
                                        ; implicit-def: $vgpr14_vgpr15
	s_delay_alu instid0(VALU_DEP_4) | instskip(NEXT) | instid1(VALU_DEP_4)
	v_fmac_f64_e32 v[6:7], v[2:3], v[0:1]
	v_fmac_f64_e32 v[8:9], v[4:5], v[0:1]
	s_delay_alu instid0(VALU_DEP_4) | instskip(NEXT) | instid1(VALU_DEP_4)
	v_fmac_f64_e32 v[16:17], v[2:3], v[12:13]
	v_fmac_f64_e32 v[18:19], v[4:5], v[12:13]
	v_lshlrev_b32_e32 v0, 1, v10
                                        ; implicit-def: $vgpr10
                                        ; implicit-def: $vgpr12_vgpr13
                                        ; implicit-def: $vgpr4_vgpr5
	s_wait_kmcnt 0x0
	s_clause 0x1
	global_store_b128 v0, v[6:9], s[0:1] scale_offset
	global_store_b128 v0, v[16:19], s[0:1] offset:16 scale_offset
                                        ; implicit-def: $vgpr0_vgpr1
                                        ; implicit-def: $vgpr16_vgpr17
                                        ; implicit-def: $vgpr8_vgpr9
.LBB231_19:
	s_wait_xcnt 0x0
	s_and_not1_saveexec_b32 s2, s2
	s_cbranch_execz .LBB231_21
; %bb.20:
	s_delay_alu instid0(VALU_DEP_3) | instskip(SKIP_1) | instid1(VALU_DEP_3)
	v_dual_mul_f64 v[26:27], v[16:17], -v[4:5] :: v_dual_lshlrev_b32 v30, 1, v10
	v_mul_f64_e32 v[16:17], v[2:3], v[16:17]
	v_mul_f64_e64 v[28:29], v[14:15], -v[4:5]
	v_mul_f64_e32 v[10:11], v[2:3], v[14:15]
	s_wait_kmcnt 0x0
	s_clause 0x1
	global_load_b128 v[18:21], v30, s[0:1] scale_offset
	global_load_b128 v[22:25], v30, s[0:1] offset:16 scale_offset
	v_fmac_f64_e32 v[26:27], v[2:3], v[0:1]
	v_fmac_f64_e32 v[16:17], v[4:5], v[0:1]
	;; [unrolled: 1-line block ×4, first 2 shown]
	s_wait_loadcnt 0x1
	s_delay_alu instid0(VALU_DEP_4) | instskip(NEXT) | instid1(VALU_DEP_4)
	v_fmac_f64_e32 v[26:27], v[6:7], v[18:19]
	v_fmac_f64_e32 v[16:17], v[8:9], v[18:19]
	s_wait_loadcnt 0x0
	s_delay_alu instid0(VALU_DEP_4) | instskip(NEXT) | instid1(VALU_DEP_4)
	v_fmac_f64_e32 v[28:29], v[6:7], v[22:23]
	v_fmac_f64_e32 v[10:11], v[8:9], v[22:23]
	s_delay_alu instid0(VALU_DEP_4) | instskip(NEXT) | instid1(VALU_DEP_4)
	v_fma_f64 v[14:15], -v[8:9], v[20:21], v[26:27]
	v_fmac_f64_e32 v[16:17], v[6:7], v[20:21]
	s_delay_alu instid0(VALU_DEP_4) | instskip(NEXT) | instid1(VALU_DEP_4)
	v_fma_f64 v[8:9], -v[8:9], v[24:25], v[28:29]
	v_fmac_f64_e32 v[10:11], v[6:7], v[24:25]
	s_clause 0x1
	global_store_b128 v30, v[14:17], s[0:1] scale_offset
	global_store_b128 v30, v[8:11], s[0:1] offset:16 scale_offset
.LBB231_21:
	s_endpgm
	.section	.rodata,"a",@progbits
	.p2align	6, 0x0
	.amdhsa_kernel _ZN9rocsparseL19gebsrmvn_2xn_kernelILj128ELj1ELj32E21rocsparse_complex_numIdEEEvi20rocsparse_direction_NS_24const_host_device_scalarIT2_EEPKiS8_PKS5_SA_S6_PS5_21rocsparse_index_base_b
		.amdhsa_group_segment_fixed_size 0
		.amdhsa_private_segment_fixed_size 0
		.amdhsa_kernarg_size 88
		.amdhsa_user_sgpr_count 2
		.amdhsa_user_sgpr_dispatch_ptr 0
		.amdhsa_user_sgpr_queue_ptr 0
		.amdhsa_user_sgpr_kernarg_segment_ptr 1
		.amdhsa_user_sgpr_dispatch_id 0
		.amdhsa_user_sgpr_kernarg_preload_length 0
		.amdhsa_user_sgpr_kernarg_preload_offset 0
		.amdhsa_user_sgpr_private_segment_size 0
		.amdhsa_wavefront_size32 1
		.amdhsa_uses_dynamic_stack 0
		.amdhsa_enable_private_segment 0
		.amdhsa_system_sgpr_workgroup_id_x 1
		.amdhsa_system_sgpr_workgroup_id_y 0
		.amdhsa_system_sgpr_workgroup_id_z 0
		.amdhsa_system_sgpr_workgroup_info 0
		.amdhsa_system_vgpr_workitem_id 0
		.amdhsa_next_free_vgpr 35
		.amdhsa_next_free_sgpr 14
		.amdhsa_named_barrier_count 0
		.amdhsa_reserve_vcc 1
		.amdhsa_float_round_mode_32 0
		.amdhsa_float_round_mode_16_64 0
		.amdhsa_float_denorm_mode_32 3
		.amdhsa_float_denorm_mode_16_64 3
		.amdhsa_fp16_overflow 0
		.amdhsa_memory_ordered 1
		.amdhsa_forward_progress 1
		.amdhsa_inst_pref_size 14
		.amdhsa_round_robin_scheduling 0
		.amdhsa_exception_fp_ieee_invalid_op 0
		.amdhsa_exception_fp_denorm_src 0
		.amdhsa_exception_fp_ieee_div_zero 0
		.amdhsa_exception_fp_ieee_overflow 0
		.amdhsa_exception_fp_ieee_underflow 0
		.amdhsa_exception_fp_ieee_inexact 0
		.amdhsa_exception_int_div_zero 0
	.end_amdhsa_kernel
	.section	.text._ZN9rocsparseL19gebsrmvn_2xn_kernelILj128ELj1ELj32E21rocsparse_complex_numIdEEEvi20rocsparse_direction_NS_24const_host_device_scalarIT2_EEPKiS8_PKS5_SA_S6_PS5_21rocsparse_index_base_b,"axG",@progbits,_ZN9rocsparseL19gebsrmvn_2xn_kernelILj128ELj1ELj32E21rocsparse_complex_numIdEEEvi20rocsparse_direction_NS_24const_host_device_scalarIT2_EEPKiS8_PKS5_SA_S6_PS5_21rocsparse_index_base_b,comdat
.Lfunc_end231:
	.size	_ZN9rocsparseL19gebsrmvn_2xn_kernelILj128ELj1ELj32E21rocsparse_complex_numIdEEEvi20rocsparse_direction_NS_24const_host_device_scalarIT2_EEPKiS8_PKS5_SA_S6_PS5_21rocsparse_index_base_b, .Lfunc_end231-_ZN9rocsparseL19gebsrmvn_2xn_kernelILj128ELj1ELj32E21rocsparse_complex_numIdEEEvi20rocsparse_direction_NS_24const_host_device_scalarIT2_EEPKiS8_PKS5_SA_S6_PS5_21rocsparse_index_base_b
                                        ; -- End function
	.set _ZN9rocsparseL19gebsrmvn_2xn_kernelILj128ELj1ELj32E21rocsparse_complex_numIdEEEvi20rocsparse_direction_NS_24const_host_device_scalarIT2_EEPKiS8_PKS5_SA_S6_PS5_21rocsparse_index_base_b.num_vgpr, 35
	.set _ZN9rocsparseL19gebsrmvn_2xn_kernelILj128ELj1ELj32E21rocsparse_complex_numIdEEEvi20rocsparse_direction_NS_24const_host_device_scalarIT2_EEPKiS8_PKS5_SA_S6_PS5_21rocsparse_index_base_b.num_agpr, 0
	.set _ZN9rocsparseL19gebsrmvn_2xn_kernelILj128ELj1ELj32E21rocsparse_complex_numIdEEEvi20rocsparse_direction_NS_24const_host_device_scalarIT2_EEPKiS8_PKS5_SA_S6_PS5_21rocsparse_index_base_b.numbered_sgpr, 14
	.set _ZN9rocsparseL19gebsrmvn_2xn_kernelILj128ELj1ELj32E21rocsparse_complex_numIdEEEvi20rocsparse_direction_NS_24const_host_device_scalarIT2_EEPKiS8_PKS5_SA_S6_PS5_21rocsparse_index_base_b.num_named_barrier, 0
	.set _ZN9rocsparseL19gebsrmvn_2xn_kernelILj128ELj1ELj32E21rocsparse_complex_numIdEEEvi20rocsparse_direction_NS_24const_host_device_scalarIT2_EEPKiS8_PKS5_SA_S6_PS5_21rocsparse_index_base_b.private_seg_size, 0
	.set _ZN9rocsparseL19gebsrmvn_2xn_kernelILj128ELj1ELj32E21rocsparse_complex_numIdEEEvi20rocsparse_direction_NS_24const_host_device_scalarIT2_EEPKiS8_PKS5_SA_S6_PS5_21rocsparse_index_base_b.uses_vcc, 1
	.set _ZN9rocsparseL19gebsrmvn_2xn_kernelILj128ELj1ELj32E21rocsparse_complex_numIdEEEvi20rocsparse_direction_NS_24const_host_device_scalarIT2_EEPKiS8_PKS5_SA_S6_PS5_21rocsparse_index_base_b.uses_flat_scratch, 0
	.set _ZN9rocsparseL19gebsrmvn_2xn_kernelILj128ELj1ELj32E21rocsparse_complex_numIdEEEvi20rocsparse_direction_NS_24const_host_device_scalarIT2_EEPKiS8_PKS5_SA_S6_PS5_21rocsparse_index_base_b.has_dyn_sized_stack, 0
	.set _ZN9rocsparseL19gebsrmvn_2xn_kernelILj128ELj1ELj32E21rocsparse_complex_numIdEEEvi20rocsparse_direction_NS_24const_host_device_scalarIT2_EEPKiS8_PKS5_SA_S6_PS5_21rocsparse_index_base_b.has_recursion, 0
	.set _ZN9rocsparseL19gebsrmvn_2xn_kernelILj128ELj1ELj32E21rocsparse_complex_numIdEEEvi20rocsparse_direction_NS_24const_host_device_scalarIT2_EEPKiS8_PKS5_SA_S6_PS5_21rocsparse_index_base_b.has_indirect_call, 0
	.section	.AMDGPU.csdata,"",@progbits
; Kernel info:
; codeLenInByte = 1688
; TotalNumSgprs: 16
; NumVgprs: 35
; ScratchSize: 0
; MemoryBound: 0
; FloatMode: 240
; IeeeMode: 1
; LDSByteSize: 0 bytes/workgroup (compile time only)
; SGPRBlocks: 0
; VGPRBlocks: 2
; NumSGPRsForWavesPerEU: 16
; NumVGPRsForWavesPerEU: 35
; NamedBarCnt: 0
; Occupancy: 16
; WaveLimiterHint : 1
; COMPUTE_PGM_RSRC2:SCRATCH_EN: 0
; COMPUTE_PGM_RSRC2:USER_SGPR: 2
; COMPUTE_PGM_RSRC2:TRAP_HANDLER: 0
; COMPUTE_PGM_RSRC2:TGID_X_EN: 1
; COMPUTE_PGM_RSRC2:TGID_Y_EN: 0
; COMPUTE_PGM_RSRC2:TGID_Z_EN: 0
; COMPUTE_PGM_RSRC2:TIDIG_COMP_CNT: 0
	.section	.text._ZN9rocsparseL19gebsrmvn_2xn_kernelILj128ELj1ELj64E21rocsparse_complex_numIdEEEvi20rocsparse_direction_NS_24const_host_device_scalarIT2_EEPKiS8_PKS5_SA_S6_PS5_21rocsparse_index_base_b,"axG",@progbits,_ZN9rocsparseL19gebsrmvn_2xn_kernelILj128ELj1ELj64E21rocsparse_complex_numIdEEEvi20rocsparse_direction_NS_24const_host_device_scalarIT2_EEPKiS8_PKS5_SA_S6_PS5_21rocsparse_index_base_b,comdat
	.globl	_ZN9rocsparseL19gebsrmvn_2xn_kernelILj128ELj1ELj64E21rocsparse_complex_numIdEEEvi20rocsparse_direction_NS_24const_host_device_scalarIT2_EEPKiS8_PKS5_SA_S6_PS5_21rocsparse_index_base_b ; -- Begin function _ZN9rocsparseL19gebsrmvn_2xn_kernelILj128ELj1ELj64E21rocsparse_complex_numIdEEEvi20rocsparse_direction_NS_24const_host_device_scalarIT2_EEPKiS8_PKS5_SA_S6_PS5_21rocsparse_index_base_b
	.p2align	8
	.type	_ZN9rocsparseL19gebsrmvn_2xn_kernelILj128ELj1ELj64E21rocsparse_complex_numIdEEEvi20rocsparse_direction_NS_24const_host_device_scalarIT2_EEPKiS8_PKS5_SA_S6_PS5_21rocsparse_index_base_b,@function
_ZN9rocsparseL19gebsrmvn_2xn_kernelILj128ELj1ELj64E21rocsparse_complex_numIdEEEvi20rocsparse_direction_NS_24const_host_device_scalarIT2_EEPKiS8_PKS5_SA_S6_PS5_21rocsparse_index_base_b: ; @_ZN9rocsparseL19gebsrmvn_2xn_kernelILj128ELj1ELj64E21rocsparse_complex_numIdEEEvi20rocsparse_direction_NS_24const_host_device_scalarIT2_EEPKiS8_PKS5_SA_S6_PS5_21rocsparse_index_base_b
; %bb.0:
	s_clause 0x1
	s_load_b64 s[12:13], s[0:1], 0x50
	s_load_b64 s[2:3], s[0:1], 0x8
	v_mov_b32_e32 v1, 0
	s_add_nc_u64 s[4:5], s[0:1], 8
	s_load_b64 s[6:7], s[0:1], 0x38
	s_wait_kmcnt 0x0
	s_bitcmp1_b32 s13, 0
	s_cselect_b32 s3, s5, s3
	s_cselect_b32 s2, s4, s2
	flat_load_b128 v[2:5], v1, s[2:3]
	s_wait_xcnt 0x0
	s_add_nc_u64 s[2:3], s[0:1], 56
	s_delay_alu instid0(SALU_CYCLE_1)
	s_cselect_b32 s3, s3, s7
	s_cselect_b32 s2, s2, s6
	flat_load_b128 v[6:9], v1, s[2:3]
	s_wait_loadcnt_dscnt 0x101
	v_cmp_eq_f64_e32 vcc_lo, 0, v[2:3]
	s_wait_xcnt 0x0
	v_cmp_eq_f64_e64 s2, 0, v[4:5]
	s_and_b32 s4, vcc_lo, s2
	s_mov_b32 s2, -1
	s_and_saveexec_b32 s3, s4
	s_cbranch_execz .LBB232_2
; %bb.1:
	s_wait_loadcnt_dscnt 0x0
	v_cmp_neq_f64_e32 vcc_lo, 1.0, v[6:7]
	v_cmp_neq_f64_e64 s2, 0, v[8:9]
	s_or_b32 s2, vcc_lo, s2
	s_delay_alu instid0(SALU_CYCLE_1)
	s_or_not1_b32 s2, s2, exec_lo
.LBB232_2:
	s_or_b32 exec_lo, exec_lo, s3
	s_and_saveexec_b32 s3, s2
	s_cbranch_execz .LBB232_21
; %bb.3:
	s_load_b64 s[2:3], s[0:1], 0x0
	s_bfe_u32 s4, ttmp6, 0x4000c
	s_and_b32 s5, ttmp6, 15
	s_add_co_i32 s4, s4, 1
	s_getreg_b32 s6, hwreg(HW_REG_IB_STS2, 6, 4)
	s_mul_i32 s4, ttmp9, s4
	v_lshrrev_b32_e32 v1, 6, v0
	s_add_co_i32 s5, s5, s4
	s_cmp_eq_u32 s6, 0
	s_cselect_b32 s4, ttmp9, s5
	s_delay_alu instid0(VALU_DEP_1) | instid1(SALU_CYCLE_1)
	v_lshl_or_b32 v10, s4, 1, v1
	s_wait_kmcnt 0x0
	s_delay_alu instid0(VALU_DEP_1)
	v_cmp_gt_i32_e32 vcc_lo, s2, v10
	s_and_b32 exec_lo, exec_lo, vcc_lo
	s_cbranch_execz .LBB232_21
; %bb.4:
	s_load_b256 s[4:11], s[0:1], 0x18
	v_ashrrev_i32_e32 v11, 31, v10
	s_cmp_lg_u32 s3, 0
	s_wait_kmcnt 0x0
	s_delay_alu instid0(VALU_DEP_1)
	v_lshl_add_u64 v[12:13], v[10:11], 2, s[4:5]
	v_and_b32_e32 v11, 63, v0
	global_load_b64 v[12:13], v[12:13], off
	s_wait_loadcnt 0x0
	v_subrev_nc_u32_e32 v0, s12, v12
	v_subrev_nc_u32_e32 v18, s12, v13
	s_delay_alu instid0(VALU_DEP_2) | instskip(NEXT) | instid1(VALU_DEP_1)
	v_add_nc_u32_e32 v19, v0, v11
	v_cmp_lt_i32_e64 s2, v19, v18
	s_cbranch_scc0 .LBB232_10
; %bb.5:
	v_mov_b64_e32 v[0:1], 0
	v_mov_b64_e32 v[12:13], 0
	;; [unrolled: 1-line block ×4, first 2 shown]
	s_and_saveexec_b32 s3, s2
	s_cbranch_execz .LBB232_9
; %bb.6:
	v_mov_b64_e32 v[0:1], 0
	v_mov_b64_e32 v[12:13], 0
	v_mov_b64_e32 v[14:15], 0
	v_mov_b64_e32 v[16:17], 0
	v_dual_mov_b32 v21, v19 :: v_dual_lshlrev_b32 v20, 1, v19
	s_mov_b32 s4, 0
.LBB232_7:                              ; =>This Inner Loop Header: Depth=1
	global_load_b32 v26, v21, s[6:7] scale_offset
	global_load_b128 v[22:25], v20, s[8:9] offset:16 scale_offset
	s_wait_xcnt 0x1
	v_add_nc_u32_e32 v21, 64, v21
	s_delay_alu instid0(VALU_DEP_1)
	v_cmp_ge_i32_e32 vcc_lo, v21, v18
	s_or_b32 s4, vcc_lo, s4
	s_wait_loadcnt 0x1
	v_subrev_nc_u32_e32 v34, s12, v26
	global_load_b128 v[26:29], v20, s[8:9] scale_offset
	global_load_b128 v[30:33], v34, s[10:11] scale_offset
	s_wait_xcnt 0x1
	v_add_nc_u32_e32 v20, 0x80, v20
	s_wait_loadcnt 0x0
	v_fmac_f64_e32 v[12:13], v[26:27], v[30:31]
	v_fmac_f64_e32 v[0:1], v[28:29], v[30:31]
	;; [unrolled: 1-line block ×4, first 2 shown]
	s_delay_alu instid0(VALU_DEP_4) | instskip(NEXT) | instid1(VALU_DEP_4)
	v_fma_f64 v[12:13], -v[28:29], v[32:33], v[12:13]
	v_fmac_f64_e32 v[0:1], v[26:27], v[32:33]
	s_delay_alu instid0(VALU_DEP_4) | instskip(NEXT) | instid1(VALU_DEP_4)
	v_fma_f64 v[14:15], -v[24:25], v[32:33], v[14:15]
	v_fmac_f64_e32 v[16:17], v[22:23], v[32:33]
	s_and_not1_b32 exec_lo, exec_lo, s4
	s_cbranch_execnz .LBB232_7
; %bb.8:
	s_or_b32 exec_lo, exec_lo, s4
.LBB232_9:
	s_delay_alu instid0(SALU_CYCLE_1)
	s_or_b32 exec_lo, exec_lo, s3
	s_cbranch_execz .LBB232_11
	s_branch .LBB232_16
.LBB232_10:
                                        ; implicit-def: $vgpr0_vgpr1
                                        ; implicit-def: $vgpr12_vgpr13
                                        ; implicit-def: $vgpr14_vgpr15
                                        ; implicit-def: $vgpr16_vgpr17
.LBB232_11:
	v_mov_b64_e32 v[0:1], 0
	v_mov_b64_e32 v[12:13], 0
	;; [unrolled: 1-line block ×4, first 2 shown]
	s_and_saveexec_b32 s3, s2
	s_cbranch_execz .LBB232_15
; %bb.12:
	v_mov_b64_e32 v[0:1], 0
	v_mov_b64_e32 v[12:13], 0
	;; [unrolled: 1-line block ×4, first 2 shown]
	v_lshlrev_b32_e32 v20, 1, v19
	s_mov_b32 s2, 0
.LBB232_13:                             ; =>This Inner Loop Header: Depth=1
	global_load_b32 v21, v19, s[6:7] scale_offset
	global_load_b128 v[22:25], v20, s[8:9] offset:16 scale_offset
	s_wait_xcnt 0x1
	v_add_nc_u32_e32 v19, 64, v19
	s_delay_alu instid0(VALU_DEP_1)
	v_cmp_ge_i32_e32 vcc_lo, v19, v18
	s_or_b32 s2, vcc_lo, s2
	s_wait_loadcnt 0x1
	v_subrev_nc_u32_e32 v21, s12, v21
	global_load_b128 v[26:29], v20, s[8:9] scale_offset
	global_load_b128 v[30:33], v21, s[10:11] scale_offset
	s_wait_xcnt 0x1
	v_add_nc_u32_e32 v20, 0x80, v20
	s_wait_loadcnt 0x0
	v_fmac_f64_e32 v[12:13], v[26:27], v[30:31]
	v_fmac_f64_e32 v[0:1], v[28:29], v[30:31]
	;; [unrolled: 1-line block ×4, first 2 shown]
	s_delay_alu instid0(VALU_DEP_4) | instskip(NEXT) | instid1(VALU_DEP_4)
	v_fma_f64 v[12:13], -v[28:29], v[32:33], v[12:13]
	v_fmac_f64_e32 v[0:1], v[26:27], v[32:33]
	s_delay_alu instid0(VALU_DEP_4) | instskip(NEXT) | instid1(VALU_DEP_4)
	v_fma_f64 v[14:15], -v[24:25], v[32:33], v[14:15]
	v_fmac_f64_e32 v[16:17], v[22:23], v[32:33]
	s_and_not1_b32 exec_lo, exec_lo, s2
	s_cbranch_execnz .LBB232_13
; %bb.14:
	s_or_b32 exec_lo, exec_lo, s2
.LBB232_15:
	s_delay_alu instid0(SALU_CYCLE_1)
	s_or_b32 exec_lo, exec_lo, s3
.LBB232_16:
	v_mbcnt_lo_u32_b32 v26, -1, 0
	s_delay_alu instid0(VALU_DEP_1) | instskip(NEXT) | instid1(VALU_DEP_1)
	v_or_b32_e32 v18, 32, v26
	v_cmp_gt_i32_e32 vcc_lo, 32, v18
	v_cndmask_b32_e32 v18, v26, v18, vcc_lo
	s_delay_alu instid0(VALU_DEP_1)
	v_lshlrev_b32_e32 v25, 2, v18
	ds_bpermute_b32 v18, v25, v12
	ds_bpermute_b32 v19, v25, v13
	s_wait_dscnt 0x0
	v_add_f64_e32 v[12:13], v[12:13], v[18:19]
	v_xor_b32_e32 v18, 16, v26
	s_delay_alu instid0(VALU_DEP_1)
	v_cmp_gt_i32_e32 vcc_lo, 32, v18
	v_cndmask_b32_e32 v18, v26, v18, vcc_lo
	ds_bpermute_b32 v20, v25, v0
	ds_bpermute_b32 v21, v25, v1
	;; [unrolled: 1-line block ×6, first 2 shown]
	s_wait_dscnt 0x4
	v_add_f64_e32 v[0:1], v[0:1], v[20:21]
	s_wait_dscnt 0x2
	v_add_f64_e32 v[14:15], v[14:15], v[22:23]
	s_wait_dscnt 0x0
	v_dual_add_f64 v[16:17], v[16:17], v[24:25] :: v_dual_lshlrev_b32 v25, 2, v18
	ds_bpermute_b32 v18, v25, v12
	ds_bpermute_b32 v19, v25, v13
	s_wait_dscnt 0x0
	v_add_f64_e32 v[12:13], v[12:13], v[18:19]
	v_xor_b32_e32 v18, 8, v26
	s_delay_alu instid0(VALU_DEP_1)
	v_cmp_gt_i32_e32 vcc_lo, 32, v18
	v_cndmask_b32_e32 v18, v26, v18, vcc_lo
	ds_bpermute_b32 v20, v25, v0
	ds_bpermute_b32 v21, v25, v1
	ds_bpermute_b32 v22, v25, v14
	ds_bpermute_b32 v23, v25, v15
	ds_bpermute_b32 v24, v25, v16
	ds_bpermute_b32 v25, v25, v17
	s_wait_dscnt 0x4
	v_add_f64_e32 v[0:1], v[0:1], v[20:21]
	s_wait_dscnt 0x2
	v_add_f64_e32 v[14:15], v[14:15], v[22:23]
	s_wait_dscnt 0x0
	v_dual_add_f64 v[16:17], v[16:17], v[24:25] :: v_dual_lshlrev_b32 v25, 2, v18
	ds_bpermute_b32 v18, v25, v12
	ds_bpermute_b32 v19, v25, v13
	s_wait_dscnt 0x0
	v_add_f64_e32 v[12:13], v[12:13], v[18:19]
	ds_bpermute_b32 v20, v25, v0
	ds_bpermute_b32 v21, v25, v1
	;; [unrolled: 1-line block ×6, first 2 shown]
	v_xor_b32_e32 v18, 4, v26
	s_delay_alu instid0(VALU_DEP_1)
	v_cmp_gt_i32_e32 vcc_lo, 32, v18
	s_wait_dscnt 0x4
	v_add_f64_e32 v[0:1], v[0:1], v[20:21]
	s_wait_dscnt 0x2
	v_add_f64_e32 v[14:15], v[14:15], v[22:23]
	s_wait_dscnt 0x0
	v_dual_add_f64 v[16:17], v[16:17], v[24:25] :: v_dual_cndmask_b32 v18, v26, v18, vcc_lo
	s_delay_alu instid0(VALU_DEP_1)
	v_lshlrev_b32_e32 v25, 2, v18
	ds_bpermute_b32 v18, v25, v12
	ds_bpermute_b32 v19, v25, v13
	;; [unrolled: 1-line block ×4, first 2 shown]
	s_wait_dscnt 0x2
	v_add_f64_e32 v[12:13], v[12:13], v[18:19]
	s_wait_dscnt 0x0
	v_add_f64_e32 v[18:19], v[0:1], v[20:21]
	ds_bpermute_b32 v22, v25, v14
	ds_bpermute_b32 v23, v25, v15
	;; [unrolled: 1-line block ×4, first 2 shown]
	v_xor_b32_e32 v0, 2, v26
	s_delay_alu instid0(VALU_DEP_1)
	v_cmp_gt_i32_e32 vcc_lo, 32, v0
	v_cndmask_b32_e32 v0, v26, v0, vcc_lo
	s_wait_dscnt 0x2
	v_add_f64_e32 v[14:15], v[14:15], v[22:23]
	s_wait_dscnt 0x0
	v_add_f64_e32 v[20:21], v[16:17], v[24:25]
	v_lshlrev_b32_e32 v25, 2, v0
	ds_bpermute_b32 v0, v25, v12
	ds_bpermute_b32 v1, v25, v13
	;; [unrolled: 1-line block ×4, first 2 shown]
	s_wait_dscnt 0x2
	v_add_f64_e32 v[0:1], v[12:13], v[0:1]
	s_wait_dscnt 0x0
	v_add_f64_e32 v[16:17], v[18:19], v[16:17]
	ds_bpermute_b32 v22, v25, v14
	ds_bpermute_b32 v23, v25, v15
	;; [unrolled: 1-line block ×4, first 2 shown]
	v_xor_b32_e32 v18, 1, v26
	s_delay_alu instid0(VALU_DEP_1)
	v_cmp_gt_i32_e32 vcc_lo, 32, v18
	v_cndmask_b32_e32 v18, v26, v18, vcc_lo
	v_cmp_eq_u32_e32 vcc_lo, 63, v11
	s_wait_dscnt 0x2
	v_add_f64_e32 v[12:13], v[14:15], v[22:23]
	s_wait_dscnt 0x0
	v_dual_add_f64 v[14:15], v[20:21], v[24:25] :: v_dual_lshlrev_b32 v21, 2, v18
	ds_bpermute_b32 v24, v21, v0
	ds_bpermute_b32 v25, v21, v1
	;; [unrolled: 1-line block ×8, first 2 shown]
	s_and_b32 exec_lo, exec_lo, vcc_lo
	s_cbranch_execz .LBB232_21
; %bb.17:
	v_cmp_eq_f64_e32 vcc_lo, 0, v[6:7]
	v_cmp_eq_f64_e64 s2, 0, v[8:9]
	s_wait_dscnt 0x6
	v_add_f64_e32 v[0:1], v[0:1], v[24:25]
	s_wait_dscnt 0x4
	v_add_f64_e32 v[16:17], v[16:17], v[22:23]
	;; [unrolled: 2-line block ×4, first 2 shown]
	s_load_b64 s[0:1], s[0:1], 0x48
	s_and_b32 s2, vcc_lo, s2
	s_delay_alu instid0(SALU_CYCLE_1) | instskip(NEXT) | instid1(SALU_CYCLE_1)
	s_and_saveexec_b32 s3, s2
	s_xor_b32 s2, exec_lo, s3
	s_cbranch_execz .LBB232_19
; %bb.18:
	s_delay_alu instid0(VALU_DEP_3) | instskip(SKIP_1) | instid1(VALU_DEP_3)
	v_mul_f64_e64 v[6:7], v[16:17], -v[4:5]
	v_mul_f64_e32 v[8:9], v[2:3], v[16:17]
	v_mul_f64_e64 v[16:17], v[14:15], -v[4:5]
	v_mul_f64_e32 v[18:19], v[2:3], v[14:15]
                                        ; implicit-def: $vgpr14_vgpr15
	s_delay_alu instid0(VALU_DEP_4) | instskip(NEXT) | instid1(VALU_DEP_4)
	v_fmac_f64_e32 v[6:7], v[2:3], v[0:1]
	v_fmac_f64_e32 v[8:9], v[4:5], v[0:1]
	s_delay_alu instid0(VALU_DEP_4) | instskip(NEXT) | instid1(VALU_DEP_4)
	v_fmac_f64_e32 v[16:17], v[2:3], v[12:13]
	v_fmac_f64_e32 v[18:19], v[4:5], v[12:13]
	v_lshlrev_b32_e32 v0, 1, v10
                                        ; implicit-def: $vgpr10
                                        ; implicit-def: $vgpr12_vgpr13
                                        ; implicit-def: $vgpr4_vgpr5
	s_wait_kmcnt 0x0
	s_clause 0x1
	global_store_b128 v0, v[6:9], s[0:1] scale_offset
	global_store_b128 v0, v[16:19], s[0:1] offset:16 scale_offset
                                        ; implicit-def: $vgpr0_vgpr1
                                        ; implicit-def: $vgpr16_vgpr17
                                        ; implicit-def: $vgpr8_vgpr9
.LBB232_19:
	s_wait_xcnt 0x0
	s_and_not1_saveexec_b32 s2, s2
	s_cbranch_execz .LBB232_21
; %bb.20:
	s_delay_alu instid0(VALU_DEP_3) | instskip(SKIP_1) | instid1(VALU_DEP_3)
	v_dual_mul_f64 v[26:27], v[16:17], -v[4:5] :: v_dual_lshlrev_b32 v30, 1, v10
	v_mul_f64_e32 v[16:17], v[2:3], v[16:17]
	v_mul_f64_e64 v[28:29], v[14:15], -v[4:5]
	v_mul_f64_e32 v[10:11], v[2:3], v[14:15]
	s_wait_kmcnt 0x0
	s_clause 0x1
	global_load_b128 v[18:21], v30, s[0:1] scale_offset
	global_load_b128 v[22:25], v30, s[0:1] offset:16 scale_offset
	v_fmac_f64_e32 v[26:27], v[2:3], v[0:1]
	v_fmac_f64_e32 v[16:17], v[4:5], v[0:1]
	;; [unrolled: 1-line block ×4, first 2 shown]
	s_wait_loadcnt 0x1
	s_delay_alu instid0(VALU_DEP_4) | instskip(NEXT) | instid1(VALU_DEP_4)
	v_fmac_f64_e32 v[26:27], v[6:7], v[18:19]
	v_fmac_f64_e32 v[16:17], v[8:9], v[18:19]
	s_wait_loadcnt 0x0
	s_delay_alu instid0(VALU_DEP_4) | instskip(NEXT) | instid1(VALU_DEP_4)
	v_fmac_f64_e32 v[28:29], v[6:7], v[22:23]
	v_fmac_f64_e32 v[10:11], v[8:9], v[22:23]
	s_delay_alu instid0(VALU_DEP_4) | instskip(NEXT) | instid1(VALU_DEP_4)
	v_fma_f64 v[14:15], -v[8:9], v[20:21], v[26:27]
	v_fmac_f64_e32 v[16:17], v[6:7], v[20:21]
	s_delay_alu instid0(VALU_DEP_4) | instskip(NEXT) | instid1(VALU_DEP_4)
	v_fma_f64 v[8:9], -v[8:9], v[24:25], v[28:29]
	v_fmac_f64_e32 v[10:11], v[6:7], v[24:25]
	s_clause 0x1
	global_store_b128 v30, v[14:17], s[0:1] scale_offset
	global_store_b128 v30, v[8:11], s[0:1] offset:16 scale_offset
.LBB232_21:
	s_endpgm
	.section	.rodata,"a",@progbits
	.p2align	6, 0x0
	.amdhsa_kernel _ZN9rocsparseL19gebsrmvn_2xn_kernelILj128ELj1ELj64E21rocsparse_complex_numIdEEEvi20rocsparse_direction_NS_24const_host_device_scalarIT2_EEPKiS8_PKS5_SA_S6_PS5_21rocsparse_index_base_b
		.amdhsa_group_segment_fixed_size 0
		.amdhsa_private_segment_fixed_size 0
		.amdhsa_kernarg_size 88
		.amdhsa_user_sgpr_count 2
		.amdhsa_user_sgpr_dispatch_ptr 0
		.amdhsa_user_sgpr_queue_ptr 0
		.amdhsa_user_sgpr_kernarg_segment_ptr 1
		.amdhsa_user_sgpr_dispatch_id 0
		.amdhsa_user_sgpr_kernarg_preload_length 0
		.amdhsa_user_sgpr_kernarg_preload_offset 0
		.amdhsa_user_sgpr_private_segment_size 0
		.amdhsa_wavefront_size32 1
		.amdhsa_uses_dynamic_stack 0
		.amdhsa_enable_private_segment 0
		.amdhsa_system_sgpr_workgroup_id_x 1
		.amdhsa_system_sgpr_workgroup_id_y 0
		.amdhsa_system_sgpr_workgroup_id_z 0
		.amdhsa_system_sgpr_workgroup_info 0
		.amdhsa_system_vgpr_workitem_id 0
		.amdhsa_next_free_vgpr 35
		.amdhsa_next_free_sgpr 14
		.amdhsa_named_barrier_count 0
		.amdhsa_reserve_vcc 1
		.amdhsa_float_round_mode_32 0
		.amdhsa_float_round_mode_16_64 0
		.amdhsa_float_denorm_mode_32 3
		.amdhsa_float_denorm_mode_16_64 3
		.amdhsa_fp16_overflow 0
		.amdhsa_memory_ordered 1
		.amdhsa_forward_progress 1
		.amdhsa_inst_pref_size 15
		.amdhsa_round_robin_scheduling 0
		.amdhsa_exception_fp_ieee_invalid_op 0
		.amdhsa_exception_fp_denorm_src 0
		.amdhsa_exception_fp_ieee_div_zero 0
		.amdhsa_exception_fp_ieee_overflow 0
		.amdhsa_exception_fp_ieee_underflow 0
		.amdhsa_exception_fp_ieee_inexact 0
		.amdhsa_exception_int_div_zero 0
	.end_amdhsa_kernel
	.section	.text._ZN9rocsparseL19gebsrmvn_2xn_kernelILj128ELj1ELj64E21rocsparse_complex_numIdEEEvi20rocsparse_direction_NS_24const_host_device_scalarIT2_EEPKiS8_PKS5_SA_S6_PS5_21rocsparse_index_base_b,"axG",@progbits,_ZN9rocsparseL19gebsrmvn_2xn_kernelILj128ELj1ELj64E21rocsparse_complex_numIdEEEvi20rocsparse_direction_NS_24const_host_device_scalarIT2_EEPKiS8_PKS5_SA_S6_PS5_21rocsparse_index_base_b,comdat
.Lfunc_end232:
	.size	_ZN9rocsparseL19gebsrmvn_2xn_kernelILj128ELj1ELj64E21rocsparse_complex_numIdEEEvi20rocsparse_direction_NS_24const_host_device_scalarIT2_EEPKiS8_PKS5_SA_S6_PS5_21rocsparse_index_base_b, .Lfunc_end232-_ZN9rocsparseL19gebsrmvn_2xn_kernelILj128ELj1ELj64E21rocsparse_complex_numIdEEEvi20rocsparse_direction_NS_24const_host_device_scalarIT2_EEPKiS8_PKS5_SA_S6_PS5_21rocsparse_index_base_b
                                        ; -- End function
	.set _ZN9rocsparseL19gebsrmvn_2xn_kernelILj128ELj1ELj64E21rocsparse_complex_numIdEEEvi20rocsparse_direction_NS_24const_host_device_scalarIT2_EEPKiS8_PKS5_SA_S6_PS5_21rocsparse_index_base_b.num_vgpr, 35
	.set _ZN9rocsparseL19gebsrmvn_2xn_kernelILj128ELj1ELj64E21rocsparse_complex_numIdEEEvi20rocsparse_direction_NS_24const_host_device_scalarIT2_EEPKiS8_PKS5_SA_S6_PS5_21rocsparse_index_base_b.num_agpr, 0
	.set _ZN9rocsparseL19gebsrmvn_2xn_kernelILj128ELj1ELj64E21rocsparse_complex_numIdEEEvi20rocsparse_direction_NS_24const_host_device_scalarIT2_EEPKiS8_PKS5_SA_S6_PS5_21rocsparse_index_base_b.numbered_sgpr, 14
	.set _ZN9rocsparseL19gebsrmvn_2xn_kernelILj128ELj1ELj64E21rocsparse_complex_numIdEEEvi20rocsparse_direction_NS_24const_host_device_scalarIT2_EEPKiS8_PKS5_SA_S6_PS5_21rocsparse_index_base_b.num_named_barrier, 0
	.set _ZN9rocsparseL19gebsrmvn_2xn_kernelILj128ELj1ELj64E21rocsparse_complex_numIdEEEvi20rocsparse_direction_NS_24const_host_device_scalarIT2_EEPKiS8_PKS5_SA_S6_PS5_21rocsparse_index_base_b.private_seg_size, 0
	.set _ZN9rocsparseL19gebsrmvn_2xn_kernelILj128ELj1ELj64E21rocsparse_complex_numIdEEEvi20rocsparse_direction_NS_24const_host_device_scalarIT2_EEPKiS8_PKS5_SA_S6_PS5_21rocsparse_index_base_b.uses_vcc, 1
	.set _ZN9rocsparseL19gebsrmvn_2xn_kernelILj128ELj1ELj64E21rocsparse_complex_numIdEEEvi20rocsparse_direction_NS_24const_host_device_scalarIT2_EEPKiS8_PKS5_SA_S6_PS5_21rocsparse_index_base_b.uses_flat_scratch, 0
	.set _ZN9rocsparseL19gebsrmvn_2xn_kernelILj128ELj1ELj64E21rocsparse_complex_numIdEEEvi20rocsparse_direction_NS_24const_host_device_scalarIT2_EEPKiS8_PKS5_SA_S6_PS5_21rocsparse_index_base_b.has_dyn_sized_stack, 0
	.set _ZN9rocsparseL19gebsrmvn_2xn_kernelILj128ELj1ELj64E21rocsparse_complex_numIdEEEvi20rocsparse_direction_NS_24const_host_device_scalarIT2_EEPKiS8_PKS5_SA_S6_PS5_21rocsparse_index_base_b.has_recursion, 0
	.set _ZN9rocsparseL19gebsrmvn_2xn_kernelILj128ELj1ELj64E21rocsparse_complex_numIdEEEvi20rocsparse_direction_NS_24const_host_device_scalarIT2_EEPKiS8_PKS5_SA_S6_PS5_21rocsparse_index_base_b.has_indirect_call, 0
	.section	.AMDGPU.csdata,"",@progbits
; Kernel info:
; codeLenInByte = 1816
; TotalNumSgprs: 16
; NumVgprs: 35
; ScratchSize: 0
; MemoryBound: 0
; FloatMode: 240
; IeeeMode: 1
; LDSByteSize: 0 bytes/workgroup (compile time only)
; SGPRBlocks: 0
; VGPRBlocks: 2
; NumSGPRsForWavesPerEU: 16
; NumVGPRsForWavesPerEU: 35
; NamedBarCnt: 0
; Occupancy: 16
; WaveLimiterHint : 1
; COMPUTE_PGM_RSRC2:SCRATCH_EN: 0
; COMPUTE_PGM_RSRC2:USER_SGPR: 2
; COMPUTE_PGM_RSRC2:TRAP_HANDLER: 0
; COMPUTE_PGM_RSRC2:TGID_X_EN: 1
; COMPUTE_PGM_RSRC2:TGID_Y_EN: 0
; COMPUTE_PGM_RSRC2:TGID_Z_EN: 0
; COMPUTE_PGM_RSRC2:TIDIG_COMP_CNT: 0
	.section	.text._ZN9rocsparseL19gebsrmvn_2xn_kernelILj128ELj3ELj4E21rocsparse_complex_numIdEEEvi20rocsparse_direction_NS_24const_host_device_scalarIT2_EEPKiS8_PKS5_SA_S6_PS5_21rocsparse_index_base_b,"axG",@progbits,_ZN9rocsparseL19gebsrmvn_2xn_kernelILj128ELj3ELj4E21rocsparse_complex_numIdEEEvi20rocsparse_direction_NS_24const_host_device_scalarIT2_EEPKiS8_PKS5_SA_S6_PS5_21rocsparse_index_base_b,comdat
	.globl	_ZN9rocsparseL19gebsrmvn_2xn_kernelILj128ELj3ELj4E21rocsparse_complex_numIdEEEvi20rocsparse_direction_NS_24const_host_device_scalarIT2_EEPKiS8_PKS5_SA_S6_PS5_21rocsparse_index_base_b ; -- Begin function _ZN9rocsparseL19gebsrmvn_2xn_kernelILj128ELj3ELj4E21rocsparse_complex_numIdEEEvi20rocsparse_direction_NS_24const_host_device_scalarIT2_EEPKiS8_PKS5_SA_S6_PS5_21rocsparse_index_base_b
	.p2align	8
	.type	_ZN9rocsparseL19gebsrmvn_2xn_kernelILj128ELj3ELj4E21rocsparse_complex_numIdEEEvi20rocsparse_direction_NS_24const_host_device_scalarIT2_EEPKiS8_PKS5_SA_S6_PS5_21rocsparse_index_base_b,@function
_ZN9rocsparseL19gebsrmvn_2xn_kernelILj128ELj3ELj4E21rocsparse_complex_numIdEEEvi20rocsparse_direction_NS_24const_host_device_scalarIT2_EEPKiS8_PKS5_SA_S6_PS5_21rocsparse_index_base_b: ; @_ZN9rocsparseL19gebsrmvn_2xn_kernelILj128ELj3ELj4E21rocsparse_complex_numIdEEEvi20rocsparse_direction_NS_24const_host_device_scalarIT2_EEPKiS8_PKS5_SA_S6_PS5_21rocsparse_index_base_b
; %bb.0:
	s_clause 0x1
	s_load_b64 s[12:13], s[0:1], 0x50
	s_load_b64 s[2:3], s[0:1], 0x8
	v_mov_b32_e32 v1, 0
	s_add_nc_u64 s[4:5], s[0:1], 8
	s_load_b64 s[6:7], s[0:1], 0x38
	s_wait_kmcnt 0x0
	s_bitcmp1_b32 s13, 0
	s_cselect_b32 s3, s5, s3
	s_cselect_b32 s2, s4, s2
	flat_load_b128 v[2:5], v1, s[2:3]
	s_wait_xcnt 0x0
	s_add_nc_u64 s[2:3], s[0:1], 56
	s_delay_alu instid0(SALU_CYCLE_1)
	s_cselect_b32 s3, s3, s7
	s_cselect_b32 s2, s2, s6
	flat_load_b128 v[6:9], v1, s[2:3]
	s_wait_loadcnt_dscnt 0x101
	v_cmp_eq_f64_e32 vcc_lo, 0, v[2:3]
	s_wait_xcnt 0x0
	v_cmp_eq_f64_e64 s2, 0, v[4:5]
	s_and_b32 s4, vcc_lo, s2
	s_mov_b32 s2, -1
	s_and_saveexec_b32 s3, s4
	s_cbranch_execz .LBB233_2
; %bb.1:
	s_wait_loadcnt_dscnt 0x0
	v_cmp_neq_f64_e32 vcc_lo, 1.0, v[6:7]
	v_cmp_neq_f64_e64 s2, 0, v[8:9]
	s_or_b32 s2, vcc_lo, s2
	s_delay_alu instid0(SALU_CYCLE_1)
	s_or_not1_b32 s2, s2, exec_lo
.LBB233_2:
	s_or_b32 exec_lo, exec_lo, s3
	s_and_saveexec_b32 s3, s2
	s_cbranch_execz .LBB233_21
; %bb.3:
	s_load_b64 s[2:3], s[0:1], 0x0
	s_bfe_u32 s4, ttmp6, 0x4000c
	s_and_b32 s5, ttmp6, 15
	s_add_co_i32 s4, s4, 1
	s_getreg_b32 s6, hwreg(HW_REG_IB_STS2, 6, 4)
	s_mul_i32 s4, ttmp9, s4
	v_lshrrev_b32_e32 v1, 2, v0
	s_add_co_i32 s5, s5, s4
	s_cmp_eq_u32 s6, 0
	s_cselect_b32 s4, ttmp9, s5
	s_delay_alu instid0(VALU_DEP_1) | instid1(SALU_CYCLE_1)
	v_lshl_or_b32 v10, s4, 5, v1
	s_wait_kmcnt 0x0
	s_delay_alu instid0(VALU_DEP_1)
	v_cmp_gt_i32_e32 vcc_lo, s2, v10
	s_and_b32 exec_lo, exec_lo, vcc_lo
	s_cbranch_execz .LBB233_21
; %bb.4:
	s_load_b256 s[4:11], s[0:1], 0x18
	v_ashrrev_i32_e32 v11, 31, v10
	s_cmp_lg_u32 s3, 0
	s_wait_kmcnt 0x0
	s_delay_alu instid0(VALU_DEP_1)
	v_lshl_add_u64 v[12:13], v[10:11], 2, s[4:5]
	v_and_b32_e32 v11, 3, v0
	global_load_b64 v[12:13], v[12:13], off
	s_wait_loadcnt 0x0
	v_subrev_nc_u32_e32 v0, s12, v12
	v_subrev_nc_u32_e32 v18, s12, v13
	s_delay_alu instid0(VALU_DEP_2) | instskip(NEXT) | instid1(VALU_DEP_1)
	v_add_nc_u32_e32 v19, v0, v11
	v_cmp_lt_i32_e64 s2, v19, v18
	s_cbranch_scc0 .LBB233_10
; %bb.5:
	v_mov_b64_e32 v[0:1], 0
	v_mov_b64_e32 v[14:15], 0
	;; [unrolled: 1-line block ×4, first 2 shown]
	s_and_saveexec_b32 s3, s2
	s_cbranch_execz .LBB233_9
; %bb.6:
	v_mul_lo_u32 v20, v19, 6
	v_mov_b64_e32 v[0:1], 0
	v_mov_b64_e32 v[14:15], 0
	;; [unrolled: 1-line block ×4, first 2 shown]
	v_mov_b32_e32 v21, v19
	s_mov_b32 s4, 0
.LBB233_7:                              ; =>This Inner Loop Header: Depth=1
	global_load_b32 v22, v21, s[6:7] scale_offset
	s_wait_xcnt 0x0
	v_add_nc_u32_e32 v21, 4, v21
	s_wait_loadcnt 0x0
	v_subrev_nc_u32_e32 v26, s12, v22
	global_load_b128 v[22:25], v20, s[8:9] offset:16 scale_offset
	v_lshl_add_u32 v50, v26, 1, v26
	v_dual_add_nc_u32 v46, 2, v20 :: v_dual_add_nc_u32 v58, 4, v20
	global_load_b128 v[26:29], v20, s[8:9] scale_offset
	global_load_b128 v[30:33], v50, s[10:11] scale_offset
	v_add_nc_u32_e32 v47, 1, v50
	global_load_b128 v[34:37], v46, s[8:9] offset:16 scale_offset
	s_wait_xcnt 0x2
	v_dual_add_nc_u32 v59, 2, v50 :: v_dual_add_nc_u32 v20, 24, v20
	global_load_b128 v[38:41], v46, s[8:9] scale_offset
	global_load_b128 v[42:45], v47, s[10:11] scale_offset
	s_clause 0x1
	global_load_b128 v[46:49], v58, s[8:9] offset:16 scale_offset
	global_load_b128 v[50:53], v58, s[8:9] scale_offset
	global_load_b128 v[54:57], v59, s[10:11] scale_offset
	v_cmp_ge_i32_e32 vcc_lo, v21, v18
	s_or_b32 s4, vcc_lo, s4
	s_wait_loadcnt 0x6
	v_fmac_f64_e32 v[14:15], v[26:27], v[30:31]
	v_fmac_f64_e32 v[0:1], v[28:29], v[30:31]
	;; [unrolled: 1-line block ×4, first 2 shown]
	s_delay_alu instid0(VALU_DEP_4) | instskip(NEXT) | instid1(VALU_DEP_4)
	v_fma_f64 v[14:15], -v[28:29], v[32:33], v[14:15]
	v_fmac_f64_e32 v[0:1], v[26:27], v[32:33]
	s_delay_alu instid0(VALU_DEP_4) | instskip(NEXT) | instid1(VALU_DEP_4)
	v_fma_f64 v[16:17], -v[24:25], v[32:33], v[16:17]
	v_fmac_f64_e32 v[12:13], v[22:23], v[32:33]
	s_wait_loadcnt 0x3
	s_delay_alu instid0(VALU_DEP_4) | instskip(NEXT) | instid1(VALU_DEP_4)
	v_fmac_f64_e32 v[14:15], v[38:39], v[42:43]
	v_fmac_f64_e32 v[0:1], v[40:41], v[42:43]
	s_delay_alu instid0(VALU_DEP_4) | instskip(NEXT) | instid1(VALU_DEP_4)
	v_fmac_f64_e32 v[16:17], v[34:35], v[42:43]
	v_fmac_f64_e32 v[12:13], v[36:37], v[42:43]
	s_delay_alu instid0(VALU_DEP_4) | instskip(NEXT) | instid1(VALU_DEP_4)
	v_fma_f64 v[14:15], -v[40:41], v[44:45], v[14:15]
	v_fmac_f64_e32 v[0:1], v[38:39], v[44:45]
	s_delay_alu instid0(VALU_DEP_4) | instskip(NEXT) | instid1(VALU_DEP_4)
	v_fma_f64 v[16:17], -v[36:37], v[44:45], v[16:17]
	v_fmac_f64_e32 v[12:13], v[34:35], v[44:45]
	s_wait_loadcnt 0x0
	s_delay_alu instid0(VALU_DEP_4) | instskip(NEXT) | instid1(VALU_DEP_4)
	v_fmac_f64_e32 v[14:15], v[50:51], v[54:55]
	v_fmac_f64_e32 v[0:1], v[52:53], v[54:55]
	s_delay_alu instid0(VALU_DEP_4) | instskip(NEXT) | instid1(VALU_DEP_4)
	v_fmac_f64_e32 v[16:17], v[46:47], v[54:55]
	v_fmac_f64_e32 v[12:13], v[48:49], v[54:55]
	s_delay_alu instid0(VALU_DEP_4) | instskip(NEXT) | instid1(VALU_DEP_4)
	v_fma_f64 v[14:15], -v[52:53], v[56:57], v[14:15]
	v_fmac_f64_e32 v[0:1], v[50:51], v[56:57]
	s_delay_alu instid0(VALU_DEP_4) | instskip(NEXT) | instid1(VALU_DEP_4)
	v_fma_f64 v[16:17], -v[48:49], v[56:57], v[16:17]
	v_fmac_f64_e32 v[12:13], v[46:47], v[56:57]
	s_and_not1_b32 exec_lo, exec_lo, s4
	s_cbranch_execnz .LBB233_7
; %bb.8:
	s_or_b32 exec_lo, exec_lo, s4
.LBB233_9:
	s_delay_alu instid0(SALU_CYCLE_1)
	s_or_b32 exec_lo, exec_lo, s3
	s_cbranch_execz .LBB233_11
	s_branch .LBB233_16
.LBB233_10:
                                        ; implicit-def: $vgpr0_vgpr1
                                        ; implicit-def: $vgpr14_vgpr15
                                        ; implicit-def: $vgpr16_vgpr17
                                        ; implicit-def: $vgpr12_vgpr13
.LBB233_11:
	v_mov_b64_e32 v[0:1], 0
	v_mov_b64_e32 v[14:15], 0
	;; [unrolled: 1-line block ×4, first 2 shown]
	s_and_saveexec_b32 s3, s2
	s_cbranch_execz .LBB233_15
; %bb.12:
	v_mad_u32 v20, v19, 6, 5
	v_mov_b64_e32 v[0:1], 0
	v_mov_b64_e32 v[14:15], 0
	;; [unrolled: 1-line block ×4, first 2 shown]
	s_mov_b32 s2, 0
.LBB233_13:                             ; =>This Inner Loop Header: Depth=1
	global_load_b32 v21, v19, s[6:7] scale_offset
	v_dual_add_nc_u32 v26, -5, v20 :: v_dual_add_nc_u32 v38, -2, v20
	s_wait_xcnt 0x0
	v_add_nc_u32_e32 v19, 4, v19
	s_clause 0x1
	global_load_b128 v[22:25], v26, s[8:9] offset:16 scale_offset
	global_load_b128 v[26:29], v26, s[8:9] scale_offset
	v_cmp_ge_i32_e32 vcc_lo, v19, v18
	s_or_b32 s2, vcc_lo, s2
	s_wait_loadcnt 0x2
	v_subrev_nc_u32_e32 v21, s12, v21
	s_delay_alu instid0(VALU_DEP_1)
	v_lshl_add_u32 v21, v21, 1, v21
	global_load_b128 v[30:33], v38, s[8:9] scale_offset
	global_load_b128 v[34:37], v21, s[10:11] scale_offset
	v_dual_add_nc_u32 v46, -1, v20 :: v_dual_add_nc_u32 v47, 1, v21
	global_load_b128 v[38:41], v46, s[8:9] scale_offset
	global_load_b128 v[42:45], v47, s[10:11] scale_offset
	s_wait_xcnt 0x2
	v_dual_add_nc_u32 v58, -3, v20 :: v_dual_add_nc_u32 v21, 2, v21
	s_clause 0x1
	global_load_b128 v[46:49], v20, s[8:9] scale_offset
	global_load_b128 v[50:53], v58, s[8:9] scale_offset
	;; [unrolled: 1-line block ×3, first 2 shown]
	s_wait_xcnt 0x2
	v_add_nc_u32_e32 v20, 24, v20
	s_wait_loadcnt 0x5
	v_fmac_f64_e32 v[14:15], v[26:27], v[34:35]
	v_fmac_f64_e32 v[0:1], v[28:29], v[34:35]
	;; [unrolled: 1-line block ×4, first 2 shown]
	s_delay_alu instid0(VALU_DEP_4) | instskip(NEXT) | instid1(VALU_DEP_4)
	v_fma_f64 v[14:15], -v[28:29], v[36:37], v[14:15]
	v_fmac_f64_e32 v[0:1], v[26:27], v[36:37]
	s_delay_alu instid0(VALU_DEP_4) | instskip(NEXT) | instid1(VALU_DEP_4)
	v_fma_f64 v[16:17], -v[32:33], v[36:37], v[16:17]
	v_fmac_f64_e32 v[12:13], v[30:31], v[36:37]
	s_wait_loadcnt 0x3
	s_delay_alu instid0(VALU_DEP_4) | instskip(NEXT) | instid1(VALU_DEP_4)
	v_fmac_f64_e32 v[14:15], v[22:23], v[42:43]
	v_fmac_f64_e32 v[0:1], v[24:25], v[42:43]
	s_delay_alu instid0(VALU_DEP_4) | instskip(NEXT) | instid1(VALU_DEP_4)
	v_fmac_f64_e32 v[16:17], v[38:39], v[42:43]
	v_fmac_f64_e32 v[12:13], v[40:41], v[42:43]
	s_delay_alu instid0(VALU_DEP_4) | instskip(NEXT) | instid1(VALU_DEP_4)
	v_fma_f64 v[14:15], -v[24:25], v[44:45], v[14:15]
	v_fmac_f64_e32 v[0:1], v[22:23], v[44:45]
	s_delay_alu instid0(VALU_DEP_4) | instskip(NEXT) | instid1(VALU_DEP_4)
	v_fma_f64 v[16:17], -v[40:41], v[44:45], v[16:17]
	v_fmac_f64_e32 v[12:13], v[38:39], v[44:45]
	s_wait_loadcnt 0x0
	s_delay_alu instid0(VALU_DEP_4) | instskip(NEXT) | instid1(VALU_DEP_4)
	v_fmac_f64_e32 v[14:15], v[50:51], v[54:55]
	v_fmac_f64_e32 v[0:1], v[52:53], v[54:55]
	s_delay_alu instid0(VALU_DEP_4) | instskip(NEXT) | instid1(VALU_DEP_4)
	v_fmac_f64_e32 v[16:17], v[46:47], v[54:55]
	v_fmac_f64_e32 v[12:13], v[48:49], v[54:55]
	s_delay_alu instid0(VALU_DEP_4) | instskip(NEXT) | instid1(VALU_DEP_4)
	v_fma_f64 v[14:15], -v[52:53], v[56:57], v[14:15]
	v_fmac_f64_e32 v[0:1], v[50:51], v[56:57]
	s_delay_alu instid0(VALU_DEP_4) | instskip(NEXT) | instid1(VALU_DEP_4)
	v_fma_f64 v[16:17], -v[48:49], v[56:57], v[16:17]
	v_fmac_f64_e32 v[12:13], v[46:47], v[56:57]
	s_and_not1_b32 exec_lo, exec_lo, s2
	s_cbranch_execnz .LBB233_13
; %bb.14:
	s_or_b32 exec_lo, exec_lo, s2
.LBB233_15:
	s_delay_alu instid0(SALU_CYCLE_1)
	s_or_b32 exec_lo, exec_lo, s3
.LBB233_16:
	v_mbcnt_lo_u32_b32 v28, -1, 0
	s_delay_alu instid0(VALU_DEP_1) | instskip(NEXT) | instid1(VALU_DEP_1)
	v_xor_b32_e32 v18, 2, v28
	v_cmp_gt_i32_e32 vcc_lo, 32, v18
	v_cndmask_b32_e32 v18, v28, v18, vcc_lo
	s_delay_alu instid0(VALU_DEP_1)
	v_lshlrev_b32_e32 v22, 2, v18
	ds_bpermute_b32 v20, v22, v0
	ds_bpermute_b32 v21, v22, v1
	s_wait_dscnt 0x0
	v_add_f64_e32 v[20:21], v[0:1], v[20:21]
	ds_bpermute_b32 v18, v22, v14
	ds_bpermute_b32 v19, v22, v15
	;; [unrolled: 1-line block ×6, first 2 shown]
	v_xor_b32_e32 v0, 1, v28
	s_delay_alu instid0(VALU_DEP_1)
	v_cmp_gt_i32_e32 vcc_lo, 32, v0
	v_cndmask_b32_e32 v0, v28, v0, vcc_lo
	v_cmp_eq_u32_e32 vcc_lo, 3, v11
	s_wait_dscnt 0x4
	v_add_f64_e32 v[22:23], v[14:15], v[18:19]
	s_wait_dscnt 0x2
	v_add_f64_e32 v[14:15], v[16:17], v[24:25]
	s_wait_dscnt 0x0
	v_dual_add_f64 v[18:19], v[12:13], v[26:27] :: v_dual_lshlrev_b32 v25, 2, v0
	ds_bpermute_b32 v16, v25, v20
	ds_bpermute_b32 v17, v25, v21
	;; [unrolled: 1-line block ×8, first 2 shown]
	s_and_b32 exec_lo, exec_lo, vcc_lo
	s_cbranch_execz .LBB233_21
; %bb.17:
	v_cmp_eq_f64_e32 vcc_lo, 0, v[6:7]
	v_cmp_eq_f64_e64 s2, 0, v[8:9]
	s_wait_dscnt 0x4
	v_add_f64_e32 v[0:1], v[22:23], v[0:1]
	v_add_f64_e32 v[16:17], v[20:21], v[16:17]
	s_wait_dscnt 0x2
	v_add_f64_e32 v[12:13], v[14:15], v[12:13]
	s_wait_dscnt 0x0
	v_add_f64_e32 v[14:15], v[18:19], v[24:25]
	s_load_b64 s[0:1], s[0:1], 0x48
	s_and_b32 s2, vcc_lo, s2
	s_delay_alu instid0(SALU_CYCLE_1) | instskip(NEXT) | instid1(SALU_CYCLE_1)
	s_and_saveexec_b32 s3, s2
	s_xor_b32 s2, exec_lo, s3
	s_cbranch_execz .LBB233_19
; %bb.18:
	s_delay_alu instid0(VALU_DEP_3) | instskip(SKIP_1) | instid1(VALU_DEP_3)
	v_mul_f64_e64 v[6:7], v[16:17], -v[4:5]
	v_mul_f64_e32 v[8:9], v[2:3], v[16:17]
	v_mul_f64_e64 v[16:17], v[14:15], -v[4:5]
	v_mul_f64_e32 v[18:19], v[2:3], v[14:15]
                                        ; implicit-def: $vgpr14_vgpr15
	s_delay_alu instid0(VALU_DEP_4) | instskip(NEXT) | instid1(VALU_DEP_4)
	v_fmac_f64_e32 v[6:7], v[2:3], v[0:1]
	v_fmac_f64_e32 v[8:9], v[4:5], v[0:1]
	s_delay_alu instid0(VALU_DEP_4) | instskip(NEXT) | instid1(VALU_DEP_4)
	v_fmac_f64_e32 v[16:17], v[2:3], v[12:13]
	v_fmac_f64_e32 v[18:19], v[4:5], v[12:13]
	v_lshlrev_b32_e32 v0, 1, v10
                                        ; implicit-def: $vgpr10
                                        ; implicit-def: $vgpr12_vgpr13
                                        ; implicit-def: $vgpr4_vgpr5
	s_wait_kmcnt 0x0
	s_clause 0x1
	global_store_b128 v0, v[6:9], s[0:1] scale_offset
	global_store_b128 v0, v[16:19], s[0:1] offset:16 scale_offset
                                        ; implicit-def: $vgpr0_vgpr1
                                        ; implicit-def: $vgpr16_vgpr17
                                        ; implicit-def: $vgpr8_vgpr9
.LBB233_19:
	s_wait_xcnt 0x0
	s_and_not1_saveexec_b32 s2, s2
	s_cbranch_execz .LBB233_21
; %bb.20:
	s_delay_alu instid0(VALU_DEP_3) | instskip(SKIP_1) | instid1(VALU_DEP_3)
	v_dual_mul_f64 v[26:27], v[16:17], -v[4:5] :: v_dual_lshlrev_b32 v30, 1, v10
	v_mul_f64_e32 v[16:17], v[2:3], v[16:17]
	v_mul_f64_e64 v[28:29], v[14:15], -v[4:5]
	v_mul_f64_e32 v[10:11], v[2:3], v[14:15]
	s_wait_kmcnt 0x0
	s_clause 0x1
	global_load_b128 v[18:21], v30, s[0:1] scale_offset
	global_load_b128 v[22:25], v30, s[0:1] offset:16 scale_offset
	v_fmac_f64_e32 v[26:27], v[2:3], v[0:1]
	v_fmac_f64_e32 v[16:17], v[4:5], v[0:1]
	;; [unrolled: 1-line block ×4, first 2 shown]
	s_wait_loadcnt 0x1
	s_delay_alu instid0(VALU_DEP_4) | instskip(NEXT) | instid1(VALU_DEP_4)
	v_fmac_f64_e32 v[26:27], v[6:7], v[18:19]
	v_fmac_f64_e32 v[16:17], v[8:9], v[18:19]
	s_wait_loadcnt 0x0
	s_delay_alu instid0(VALU_DEP_4) | instskip(NEXT) | instid1(VALU_DEP_4)
	v_fmac_f64_e32 v[28:29], v[6:7], v[22:23]
	v_fmac_f64_e32 v[10:11], v[8:9], v[22:23]
	s_delay_alu instid0(VALU_DEP_4) | instskip(NEXT) | instid1(VALU_DEP_4)
	v_fma_f64 v[14:15], -v[8:9], v[20:21], v[26:27]
	v_fmac_f64_e32 v[16:17], v[6:7], v[20:21]
	s_delay_alu instid0(VALU_DEP_4) | instskip(NEXT) | instid1(VALU_DEP_4)
	v_fma_f64 v[8:9], -v[8:9], v[24:25], v[28:29]
	v_fmac_f64_e32 v[10:11], v[6:7], v[24:25]
	s_clause 0x1
	global_store_b128 v30, v[14:17], s[0:1] scale_offset
	global_store_b128 v30, v[8:11], s[0:1] offset:16 scale_offset
.LBB233_21:
	s_endpgm
	.section	.rodata,"a",@progbits
	.p2align	6, 0x0
	.amdhsa_kernel _ZN9rocsparseL19gebsrmvn_2xn_kernelILj128ELj3ELj4E21rocsparse_complex_numIdEEEvi20rocsparse_direction_NS_24const_host_device_scalarIT2_EEPKiS8_PKS5_SA_S6_PS5_21rocsparse_index_base_b
		.amdhsa_group_segment_fixed_size 0
		.amdhsa_private_segment_fixed_size 0
		.amdhsa_kernarg_size 88
		.amdhsa_user_sgpr_count 2
		.amdhsa_user_sgpr_dispatch_ptr 0
		.amdhsa_user_sgpr_queue_ptr 0
		.amdhsa_user_sgpr_kernarg_segment_ptr 1
		.amdhsa_user_sgpr_dispatch_id 0
		.amdhsa_user_sgpr_kernarg_preload_length 0
		.amdhsa_user_sgpr_kernarg_preload_offset 0
		.amdhsa_user_sgpr_private_segment_size 0
		.amdhsa_wavefront_size32 1
		.amdhsa_uses_dynamic_stack 0
		.amdhsa_enable_private_segment 0
		.amdhsa_system_sgpr_workgroup_id_x 1
		.amdhsa_system_sgpr_workgroup_id_y 0
		.amdhsa_system_sgpr_workgroup_id_z 0
		.amdhsa_system_sgpr_workgroup_info 0
		.amdhsa_system_vgpr_workitem_id 0
		.amdhsa_next_free_vgpr 60
		.amdhsa_next_free_sgpr 14
		.amdhsa_named_barrier_count 0
		.amdhsa_reserve_vcc 1
		.amdhsa_float_round_mode_32 0
		.amdhsa_float_round_mode_16_64 0
		.amdhsa_float_denorm_mode_32 3
		.amdhsa_float_denorm_mode_16_64 3
		.amdhsa_fp16_overflow 0
		.amdhsa_memory_ordered 1
		.amdhsa_forward_progress 1
		.amdhsa_inst_pref_size 15
		.amdhsa_round_robin_scheduling 0
		.amdhsa_exception_fp_ieee_invalid_op 0
		.amdhsa_exception_fp_denorm_src 0
		.amdhsa_exception_fp_ieee_div_zero 0
		.amdhsa_exception_fp_ieee_overflow 0
		.amdhsa_exception_fp_ieee_underflow 0
		.amdhsa_exception_fp_ieee_inexact 0
		.amdhsa_exception_int_div_zero 0
	.end_amdhsa_kernel
	.section	.text._ZN9rocsparseL19gebsrmvn_2xn_kernelILj128ELj3ELj4E21rocsparse_complex_numIdEEEvi20rocsparse_direction_NS_24const_host_device_scalarIT2_EEPKiS8_PKS5_SA_S6_PS5_21rocsparse_index_base_b,"axG",@progbits,_ZN9rocsparseL19gebsrmvn_2xn_kernelILj128ELj3ELj4E21rocsparse_complex_numIdEEEvi20rocsparse_direction_NS_24const_host_device_scalarIT2_EEPKiS8_PKS5_SA_S6_PS5_21rocsparse_index_base_b,comdat
.Lfunc_end233:
	.size	_ZN9rocsparseL19gebsrmvn_2xn_kernelILj128ELj3ELj4E21rocsparse_complex_numIdEEEvi20rocsparse_direction_NS_24const_host_device_scalarIT2_EEPKiS8_PKS5_SA_S6_PS5_21rocsparse_index_base_b, .Lfunc_end233-_ZN9rocsparseL19gebsrmvn_2xn_kernelILj128ELj3ELj4E21rocsparse_complex_numIdEEEvi20rocsparse_direction_NS_24const_host_device_scalarIT2_EEPKiS8_PKS5_SA_S6_PS5_21rocsparse_index_base_b
                                        ; -- End function
	.set _ZN9rocsparseL19gebsrmvn_2xn_kernelILj128ELj3ELj4E21rocsparse_complex_numIdEEEvi20rocsparse_direction_NS_24const_host_device_scalarIT2_EEPKiS8_PKS5_SA_S6_PS5_21rocsparse_index_base_b.num_vgpr, 60
	.set _ZN9rocsparseL19gebsrmvn_2xn_kernelILj128ELj3ELj4E21rocsparse_complex_numIdEEEvi20rocsparse_direction_NS_24const_host_device_scalarIT2_EEPKiS8_PKS5_SA_S6_PS5_21rocsparse_index_base_b.num_agpr, 0
	.set _ZN9rocsparseL19gebsrmvn_2xn_kernelILj128ELj3ELj4E21rocsparse_complex_numIdEEEvi20rocsparse_direction_NS_24const_host_device_scalarIT2_EEPKiS8_PKS5_SA_S6_PS5_21rocsparse_index_base_b.numbered_sgpr, 14
	.set _ZN9rocsparseL19gebsrmvn_2xn_kernelILj128ELj3ELj4E21rocsparse_complex_numIdEEEvi20rocsparse_direction_NS_24const_host_device_scalarIT2_EEPKiS8_PKS5_SA_S6_PS5_21rocsparse_index_base_b.num_named_barrier, 0
	.set _ZN9rocsparseL19gebsrmvn_2xn_kernelILj128ELj3ELj4E21rocsparse_complex_numIdEEEvi20rocsparse_direction_NS_24const_host_device_scalarIT2_EEPKiS8_PKS5_SA_S6_PS5_21rocsparse_index_base_b.private_seg_size, 0
	.set _ZN9rocsparseL19gebsrmvn_2xn_kernelILj128ELj3ELj4E21rocsparse_complex_numIdEEEvi20rocsparse_direction_NS_24const_host_device_scalarIT2_EEPKiS8_PKS5_SA_S6_PS5_21rocsparse_index_base_b.uses_vcc, 1
	.set _ZN9rocsparseL19gebsrmvn_2xn_kernelILj128ELj3ELj4E21rocsparse_complex_numIdEEEvi20rocsparse_direction_NS_24const_host_device_scalarIT2_EEPKiS8_PKS5_SA_S6_PS5_21rocsparse_index_base_b.uses_flat_scratch, 0
	.set _ZN9rocsparseL19gebsrmvn_2xn_kernelILj128ELj3ELj4E21rocsparse_complex_numIdEEEvi20rocsparse_direction_NS_24const_host_device_scalarIT2_EEPKiS8_PKS5_SA_S6_PS5_21rocsparse_index_base_b.has_dyn_sized_stack, 0
	.set _ZN9rocsparseL19gebsrmvn_2xn_kernelILj128ELj3ELj4E21rocsparse_complex_numIdEEEvi20rocsparse_direction_NS_24const_host_device_scalarIT2_EEPKiS8_PKS5_SA_S6_PS5_21rocsparse_index_base_b.has_recursion, 0
	.set _ZN9rocsparseL19gebsrmvn_2xn_kernelILj128ELj3ELj4E21rocsparse_complex_numIdEEEvi20rocsparse_direction_NS_24const_host_device_scalarIT2_EEPKiS8_PKS5_SA_S6_PS5_21rocsparse_index_base_b.has_indirect_call, 0
	.section	.AMDGPU.csdata,"",@progbits
; Kernel info:
; codeLenInByte = 1804
; TotalNumSgprs: 16
; NumVgprs: 60
; ScratchSize: 0
; MemoryBound: 0
; FloatMode: 240
; IeeeMode: 1
; LDSByteSize: 0 bytes/workgroup (compile time only)
; SGPRBlocks: 0
; VGPRBlocks: 3
; NumSGPRsForWavesPerEU: 16
; NumVGPRsForWavesPerEU: 60
; NamedBarCnt: 0
; Occupancy: 16
; WaveLimiterHint : 1
; COMPUTE_PGM_RSRC2:SCRATCH_EN: 0
; COMPUTE_PGM_RSRC2:USER_SGPR: 2
; COMPUTE_PGM_RSRC2:TRAP_HANDLER: 0
; COMPUTE_PGM_RSRC2:TGID_X_EN: 1
; COMPUTE_PGM_RSRC2:TGID_Y_EN: 0
; COMPUTE_PGM_RSRC2:TGID_Z_EN: 0
; COMPUTE_PGM_RSRC2:TIDIG_COMP_CNT: 0
	.section	.text._ZN9rocsparseL19gebsrmvn_2xn_kernelILj128ELj3ELj8E21rocsparse_complex_numIdEEEvi20rocsparse_direction_NS_24const_host_device_scalarIT2_EEPKiS8_PKS5_SA_S6_PS5_21rocsparse_index_base_b,"axG",@progbits,_ZN9rocsparseL19gebsrmvn_2xn_kernelILj128ELj3ELj8E21rocsparse_complex_numIdEEEvi20rocsparse_direction_NS_24const_host_device_scalarIT2_EEPKiS8_PKS5_SA_S6_PS5_21rocsparse_index_base_b,comdat
	.globl	_ZN9rocsparseL19gebsrmvn_2xn_kernelILj128ELj3ELj8E21rocsparse_complex_numIdEEEvi20rocsparse_direction_NS_24const_host_device_scalarIT2_EEPKiS8_PKS5_SA_S6_PS5_21rocsparse_index_base_b ; -- Begin function _ZN9rocsparseL19gebsrmvn_2xn_kernelILj128ELj3ELj8E21rocsparse_complex_numIdEEEvi20rocsparse_direction_NS_24const_host_device_scalarIT2_EEPKiS8_PKS5_SA_S6_PS5_21rocsparse_index_base_b
	.p2align	8
	.type	_ZN9rocsparseL19gebsrmvn_2xn_kernelILj128ELj3ELj8E21rocsparse_complex_numIdEEEvi20rocsparse_direction_NS_24const_host_device_scalarIT2_EEPKiS8_PKS5_SA_S6_PS5_21rocsparse_index_base_b,@function
_ZN9rocsparseL19gebsrmvn_2xn_kernelILj128ELj3ELj8E21rocsparse_complex_numIdEEEvi20rocsparse_direction_NS_24const_host_device_scalarIT2_EEPKiS8_PKS5_SA_S6_PS5_21rocsparse_index_base_b: ; @_ZN9rocsparseL19gebsrmvn_2xn_kernelILj128ELj3ELj8E21rocsparse_complex_numIdEEEvi20rocsparse_direction_NS_24const_host_device_scalarIT2_EEPKiS8_PKS5_SA_S6_PS5_21rocsparse_index_base_b
; %bb.0:
	s_clause 0x1
	s_load_b64 s[12:13], s[0:1], 0x50
	s_load_b64 s[2:3], s[0:1], 0x8
	v_mov_b32_e32 v1, 0
	s_add_nc_u64 s[4:5], s[0:1], 8
	s_load_b64 s[6:7], s[0:1], 0x38
	s_wait_kmcnt 0x0
	s_bitcmp1_b32 s13, 0
	s_cselect_b32 s3, s5, s3
	s_cselect_b32 s2, s4, s2
	flat_load_b128 v[2:5], v1, s[2:3]
	s_wait_xcnt 0x0
	s_add_nc_u64 s[2:3], s[0:1], 56
	s_delay_alu instid0(SALU_CYCLE_1)
	s_cselect_b32 s3, s3, s7
	s_cselect_b32 s2, s2, s6
	flat_load_b128 v[6:9], v1, s[2:3]
	s_wait_loadcnt_dscnt 0x101
	v_cmp_eq_f64_e32 vcc_lo, 0, v[2:3]
	s_wait_xcnt 0x0
	v_cmp_eq_f64_e64 s2, 0, v[4:5]
	s_and_b32 s4, vcc_lo, s2
	s_mov_b32 s2, -1
	s_and_saveexec_b32 s3, s4
	s_cbranch_execz .LBB234_2
; %bb.1:
	s_wait_loadcnt_dscnt 0x0
	v_cmp_neq_f64_e32 vcc_lo, 1.0, v[6:7]
	v_cmp_neq_f64_e64 s2, 0, v[8:9]
	s_or_b32 s2, vcc_lo, s2
	s_delay_alu instid0(SALU_CYCLE_1)
	s_or_not1_b32 s2, s2, exec_lo
.LBB234_2:
	s_or_b32 exec_lo, exec_lo, s3
	s_and_saveexec_b32 s3, s2
	s_cbranch_execz .LBB234_21
; %bb.3:
	s_load_b64 s[2:3], s[0:1], 0x0
	s_bfe_u32 s4, ttmp6, 0x4000c
	s_and_b32 s5, ttmp6, 15
	s_add_co_i32 s4, s4, 1
	s_getreg_b32 s6, hwreg(HW_REG_IB_STS2, 6, 4)
	s_mul_i32 s4, ttmp9, s4
	v_lshrrev_b32_e32 v1, 3, v0
	s_add_co_i32 s5, s5, s4
	s_cmp_eq_u32 s6, 0
	s_cselect_b32 s4, ttmp9, s5
	s_delay_alu instid0(VALU_DEP_1) | instid1(SALU_CYCLE_1)
	v_lshl_or_b32 v10, s4, 4, v1
	s_wait_kmcnt 0x0
	s_delay_alu instid0(VALU_DEP_1)
	v_cmp_gt_i32_e32 vcc_lo, s2, v10
	s_and_b32 exec_lo, exec_lo, vcc_lo
	s_cbranch_execz .LBB234_21
; %bb.4:
	s_load_b256 s[4:11], s[0:1], 0x18
	v_ashrrev_i32_e32 v11, 31, v10
	s_cmp_lg_u32 s3, 0
	s_wait_kmcnt 0x0
	s_delay_alu instid0(VALU_DEP_1)
	v_lshl_add_u64 v[12:13], v[10:11], 2, s[4:5]
	v_and_b32_e32 v11, 7, v0
	global_load_b64 v[12:13], v[12:13], off
	s_wait_loadcnt 0x0
	v_subrev_nc_u32_e32 v0, s12, v12
	v_subrev_nc_u32_e32 v18, s12, v13
	s_delay_alu instid0(VALU_DEP_2) | instskip(NEXT) | instid1(VALU_DEP_1)
	v_add_nc_u32_e32 v19, v0, v11
	v_cmp_lt_i32_e64 s2, v19, v18
	s_cbranch_scc0 .LBB234_10
; %bb.5:
	v_mov_b64_e32 v[0:1], 0
	v_mov_b64_e32 v[14:15], 0
	;; [unrolled: 1-line block ×4, first 2 shown]
	s_and_saveexec_b32 s3, s2
	s_cbranch_execz .LBB234_9
; %bb.6:
	v_mul_lo_u32 v20, v19, 6
	v_mov_b64_e32 v[0:1], 0
	v_mov_b64_e32 v[14:15], 0
	;; [unrolled: 1-line block ×4, first 2 shown]
	v_mov_b32_e32 v21, v19
	s_mov_b32 s4, 0
.LBB234_7:                              ; =>This Inner Loop Header: Depth=1
	global_load_b32 v22, v21, s[6:7] scale_offset
	s_wait_xcnt 0x0
	v_add_nc_u32_e32 v21, 8, v21
	s_wait_loadcnt 0x0
	v_subrev_nc_u32_e32 v26, s12, v22
	global_load_b128 v[22:25], v20, s[8:9] offset:16 scale_offset
	v_lshl_add_u32 v50, v26, 1, v26
	v_dual_add_nc_u32 v46, 2, v20 :: v_dual_add_nc_u32 v58, 4, v20
	global_load_b128 v[26:29], v20, s[8:9] scale_offset
	global_load_b128 v[30:33], v50, s[10:11] scale_offset
	v_add_nc_u32_e32 v47, 1, v50
	global_load_b128 v[34:37], v46, s[8:9] offset:16 scale_offset
	s_wait_xcnt 0x2
	v_dual_add_nc_u32 v59, 2, v50 :: v_dual_add_nc_u32 v20, 48, v20
	global_load_b128 v[38:41], v46, s[8:9] scale_offset
	global_load_b128 v[42:45], v47, s[10:11] scale_offset
	s_clause 0x1
	global_load_b128 v[46:49], v58, s[8:9] offset:16 scale_offset
	global_load_b128 v[50:53], v58, s[8:9] scale_offset
	global_load_b128 v[54:57], v59, s[10:11] scale_offset
	v_cmp_ge_i32_e32 vcc_lo, v21, v18
	s_or_b32 s4, vcc_lo, s4
	s_wait_loadcnt 0x6
	v_fmac_f64_e32 v[14:15], v[26:27], v[30:31]
	v_fmac_f64_e32 v[0:1], v[28:29], v[30:31]
	;; [unrolled: 1-line block ×4, first 2 shown]
	s_delay_alu instid0(VALU_DEP_4) | instskip(NEXT) | instid1(VALU_DEP_4)
	v_fma_f64 v[14:15], -v[28:29], v[32:33], v[14:15]
	v_fmac_f64_e32 v[0:1], v[26:27], v[32:33]
	s_delay_alu instid0(VALU_DEP_4) | instskip(NEXT) | instid1(VALU_DEP_4)
	v_fma_f64 v[16:17], -v[24:25], v[32:33], v[16:17]
	v_fmac_f64_e32 v[12:13], v[22:23], v[32:33]
	s_wait_loadcnt 0x3
	s_delay_alu instid0(VALU_DEP_4) | instskip(NEXT) | instid1(VALU_DEP_4)
	v_fmac_f64_e32 v[14:15], v[38:39], v[42:43]
	v_fmac_f64_e32 v[0:1], v[40:41], v[42:43]
	s_delay_alu instid0(VALU_DEP_4) | instskip(NEXT) | instid1(VALU_DEP_4)
	v_fmac_f64_e32 v[16:17], v[34:35], v[42:43]
	v_fmac_f64_e32 v[12:13], v[36:37], v[42:43]
	s_delay_alu instid0(VALU_DEP_4) | instskip(NEXT) | instid1(VALU_DEP_4)
	v_fma_f64 v[14:15], -v[40:41], v[44:45], v[14:15]
	v_fmac_f64_e32 v[0:1], v[38:39], v[44:45]
	s_delay_alu instid0(VALU_DEP_4) | instskip(NEXT) | instid1(VALU_DEP_4)
	v_fma_f64 v[16:17], -v[36:37], v[44:45], v[16:17]
	v_fmac_f64_e32 v[12:13], v[34:35], v[44:45]
	s_wait_loadcnt 0x0
	s_delay_alu instid0(VALU_DEP_4) | instskip(NEXT) | instid1(VALU_DEP_4)
	v_fmac_f64_e32 v[14:15], v[50:51], v[54:55]
	v_fmac_f64_e32 v[0:1], v[52:53], v[54:55]
	s_delay_alu instid0(VALU_DEP_4) | instskip(NEXT) | instid1(VALU_DEP_4)
	v_fmac_f64_e32 v[16:17], v[46:47], v[54:55]
	v_fmac_f64_e32 v[12:13], v[48:49], v[54:55]
	s_delay_alu instid0(VALU_DEP_4) | instskip(NEXT) | instid1(VALU_DEP_4)
	v_fma_f64 v[14:15], -v[52:53], v[56:57], v[14:15]
	v_fmac_f64_e32 v[0:1], v[50:51], v[56:57]
	s_delay_alu instid0(VALU_DEP_4) | instskip(NEXT) | instid1(VALU_DEP_4)
	v_fma_f64 v[16:17], -v[48:49], v[56:57], v[16:17]
	v_fmac_f64_e32 v[12:13], v[46:47], v[56:57]
	s_and_not1_b32 exec_lo, exec_lo, s4
	s_cbranch_execnz .LBB234_7
; %bb.8:
	s_or_b32 exec_lo, exec_lo, s4
.LBB234_9:
	s_delay_alu instid0(SALU_CYCLE_1)
	s_or_b32 exec_lo, exec_lo, s3
	s_cbranch_execz .LBB234_11
	s_branch .LBB234_16
.LBB234_10:
                                        ; implicit-def: $vgpr0_vgpr1
                                        ; implicit-def: $vgpr14_vgpr15
                                        ; implicit-def: $vgpr16_vgpr17
                                        ; implicit-def: $vgpr12_vgpr13
.LBB234_11:
	v_mov_b64_e32 v[0:1], 0
	v_mov_b64_e32 v[14:15], 0
	v_mov_b64_e32 v[16:17], 0
	v_mov_b64_e32 v[12:13], 0
	s_and_saveexec_b32 s3, s2
	s_cbranch_execz .LBB234_15
; %bb.12:
	v_mad_u32 v20, v19, 6, 5
	v_mov_b64_e32 v[0:1], 0
	v_mov_b64_e32 v[14:15], 0
	;; [unrolled: 1-line block ×4, first 2 shown]
	s_mov_b32 s2, 0
.LBB234_13:                             ; =>This Inner Loop Header: Depth=1
	global_load_b32 v21, v19, s[6:7] scale_offset
	v_dual_add_nc_u32 v26, -5, v20 :: v_dual_add_nc_u32 v38, -2, v20
	s_wait_xcnt 0x0
	v_add_nc_u32_e32 v19, 8, v19
	s_clause 0x1
	global_load_b128 v[22:25], v26, s[8:9] offset:16 scale_offset
	global_load_b128 v[26:29], v26, s[8:9] scale_offset
	v_cmp_ge_i32_e32 vcc_lo, v19, v18
	s_or_b32 s2, vcc_lo, s2
	s_wait_loadcnt 0x2
	v_subrev_nc_u32_e32 v21, s12, v21
	s_delay_alu instid0(VALU_DEP_1)
	v_lshl_add_u32 v21, v21, 1, v21
	global_load_b128 v[30:33], v38, s[8:9] scale_offset
	global_load_b128 v[34:37], v21, s[10:11] scale_offset
	v_dual_add_nc_u32 v46, -1, v20 :: v_dual_add_nc_u32 v47, 1, v21
	global_load_b128 v[38:41], v46, s[8:9] scale_offset
	global_load_b128 v[42:45], v47, s[10:11] scale_offset
	s_wait_xcnt 0x2
	v_dual_add_nc_u32 v58, -3, v20 :: v_dual_add_nc_u32 v21, 2, v21
	s_clause 0x1
	global_load_b128 v[46:49], v20, s[8:9] scale_offset
	global_load_b128 v[50:53], v58, s[8:9] scale_offset
	;; [unrolled: 1-line block ×3, first 2 shown]
	s_wait_xcnt 0x2
	v_add_nc_u32_e32 v20, 48, v20
	s_wait_loadcnt 0x5
	v_fmac_f64_e32 v[14:15], v[26:27], v[34:35]
	v_fmac_f64_e32 v[0:1], v[28:29], v[34:35]
	;; [unrolled: 1-line block ×4, first 2 shown]
	s_delay_alu instid0(VALU_DEP_4) | instskip(NEXT) | instid1(VALU_DEP_4)
	v_fma_f64 v[14:15], -v[28:29], v[36:37], v[14:15]
	v_fmac_f64_e32 v[0:1], v[26:27], v[36:37]
	s_delay_alu instid0(VALU_DEP_4) | instskip(NEXT) | instid1(VALU_DEP_4)
	v_fma_f64 v[16:17], -v[32:33], v[36:37], v[16:17]
	v_fmac_f64_e32 v[12:13], v[30:31], v[36:37]
	s_wait_loadcnt 0x3
	s_delay_alu instid0(VALU_DEP_4) | instskip(NEXT) | instid1(VALU_DEP_4)
	v_fmac_f64_e32 v[14:15], v[22:23], v[42:43]
	v_fmac_f64_e32 v[0:1], v[24:25], v[42:43]
	s_delay_alu instid0(VALU_DEP_4) | instskip(NEXT) | instid1(VALU_DEP_4)
	v_fmac_f64_e32 v[16:17], v[38:39], v[42:43]
	v_fmac_f64_e32 v[12:13], v[40:41], v[42:43]
	s_delay_alu instid0(VALU_DEP_4) | instskip(NEXT) | instid1(VALU_DEP_4)
	v_fma_f64 v[14:15], -v[24:25], v[44:45], v[14:15]
	v_fmac_f64_e32 v[0:1], v[22:23], v[44:45]
	s_delay_alu instid0(VALU_DEP_4) | instskip(NEXT) | instid1(VALU_DEP_4)
	v_fma_f64 v[16:17], -v[40:41], v[44:45], v[16:17]
	v_fmac_f64_e32 v[12:13], v[38:39], v[44:45]
	s_wait_loadcnt 0x0
	s_delay_alu instid0(VALU_DEP_4) | instskip(NEXT) | instid1(VALU_DEP_4)
	v_fmac_f64_e32 v[14:15], v[50:51], v[54:55]
	v_fmac_f64_e32 v[0:1], v[52:53], v[54:55]
	s_delay_alu instid0(VALU_DEP_4) | instskip(NEXT) | instid1(VALU_DEP_4)
	v_fmac_f64_e32 v[16:17], v[46:47], v[54:55]
	v_fmac_f64_e32 v[12:13], v[48:49], v[54:55]
	s_delay_alu instid0(VALU_DEP_4) | instskip(NEXT) | instid1(VALU_DEP_4)
	v_fma_f64 v[14:15], -v[52:53], v[56:57], v[14:15]
	v_fmac_f64_e32 v[0:1], v[50:51], v[56:57]
	s_delay_alu instid0(VALU_DEP_4) | instskip(NEXT) | instid1(VALU_DEP_4)
	v_fma_f64 v[16:17], -v[48:49], v[56:57], v[16:17]
	v_fmac_f64_e32 v[12:13], v[46:47], v[56:57]
	s_and_not1_b32 exec_lo, exec_lo, s2
	s_cbranch_execnz .LBB234_13
; %bb.14:
	s_or_b32 exec_lo, exec_lo, s2
.LBB234_15:
	s_delay_alu instid0(SALU_CYCLE_1)
	s_or_b32 exec_lo, exec_lo, s3
.LBB234_16:
	v_mbcnt_lo_u32_b32 v28, -1, 0
	s_delay_alu instid0(VALU_DEP_1) | instskip(NEXT) | instid1(VALU_DEP_1)
	v_xor_b32_e32 v18, 4, v28
	v_cmp_gt_i32_e32 vcc_lo, 32, v18
	v_cndmask_b32_e32 v18, v28, v18, vcc_lo
	s_delay_alu instid0(VALU_DEP_1)
	v_lshlrev_b32_e32 v25, 2, v18
	ds_bpermute_b32 v18, v25, v14
	ds_bpermute_b32 v19, v25, v15
	;; [unrolled: 1-line block ×4, first 2 shown]
	s_wait_dscnt 0x2
	v_add_f64_e32 v[14:15], v[14:15], v[18:19]
	s_wait_dscnt 0x0
	v_add_f64_e32 v[18:19], v[0:1], v[20:21]
	ds_bpermute_b32 v22, v25, v16
	ds_bpermute_b32 v23, v25, v17
	ds_bpermute_b32 v24, v25, v12
	ds_bpermute_b32 v25, v25, v13
	v_xor_b32_e32 v0, 2, v28
	s_delay_alu instid0(VALU_DEP_1)
	v_cmp_gt_i32_e32 vcc_lo, 32, v0
	v_cndmask_b32_e32 v0, v28, v0, vcc_lo
	s_wait_dscnt 0x2
	v_add_f64_e32 v[20:21], v[16:17], v[22:23]
	s_wait_dscnt 0x0
	v_add_f64_e32 v[22:23], v[12:13], v[24:25]
	v_lshlrev_b32_e32 v16, 2, v0
	ds_bpermute_b32 v0, v16, v14
	ds_bpermute_b32 v1, v16, v15
	;; [unrolled: 1-line block ×8, first 2 shown]
	s_wait_dscnt 0x4
	v_add_f64_e32 v[16:17], v[18:19], v[12:13]
	v_xor_b32_e32 v18, 1, v28
	s_delay_alu instid0(VALU_DEP_1) | instskip(SKIP_3) | instid1(VALU_DEP_2)
	v_cmp_gt_i32_e32 vcc_lo, 32, v18
	v_dual_add_f64 v[0:1], v[14:15], v[0:1] :: v_dual_cndmask_b32 v18, v28, v18, vcc_lo
	v_cmp_eq_u32_e32 vcc_lo, 7, v11
	s_wait_dscnt 0x2
	v_dual_add_f64 v[12:13], v[20:21], v[24:25] :: v_dual_lshlrev_b32 v21, 2, v18
	s_wait_dscnt 0x0
	v_add_f64_e32 v[14:15], v[22:23], v[26:27]
	ds_bpermute_b32 v22, v21, v16
	ds_bpermute_b32 v23, v21, v17
	;; [unrolled: 1-line block ×8, first 2 shown]
	s_and_b32 exec_lo, exec_lo, vcc_lo
	s_cbranch_execz .LBB234_21
; %bb.17:
	v_cmp_eq_f64_e32 vcc_lo, 0, v[6:7]
	v_cmp_eq_f64_e64 s2, 0, v[8:9]
	s_wait_dscnt 0x4
	v_add_f64_e32 v[0:1], v[0:1], v[24:25]
	v_add_f64_e32 v[16:17], v[16:17], v[22:23]
	s_wait_dscnt 0x2
	v_add_f64_e32 v[12:13], v[12:13], v[18:19]
	s_wait_dscnt 0x0
	v_add_f64_e32 v[14:15], v[14:15], v[20:21]
	s_load_b64 s[0:1], s[0:1], 0x48
	s_and_b32 s2, vcc_lo, s2
	s_delay_alu instid0(SALU_CYCLE_1) | instskip(NEXT) | instid1(SALU_CYCLE_1)
	s_and_saveexec_b32 s3, s2
	s_xor_b32 s2, exec_lo, s3
	s_cbranch_execz .LBB234_19
; %bb.18:
	s_delay_alu instid0(VALU_DEP_3) | instskip(SKIP_1) | instid1(VALU_DEP_3)
	v_mul_f64_e64 v[6:7], v[16:17], -v[4:5]
	v_mul_f64_e32 v[8:9], v[2:3], v[16:17]
	v_mul_f64_e64 v[16:17], v[14:15], -v[4:5]
	v_mul_f64_e32 v[18:19], v[2:3], v[14:15]
                                        ; implicit-def: $vgpr14_vgpr15
	s_delay_alu instid0(VALU_DEP_4) | instskip(NEXT) | instid1(VALU_DEP_4)
	v_fmac_f64_e32 v[6:7], v[2:3], v[0:1]
	v_fmac_f64_e32 v[8:9], v[4:5], v[0:1]
	s_delay_alu instid0(VALU_DEP_4) | instskip(NEXT) | instid1(VALU_DEP_4)
	v_fmac_f64_e32 v[16:17], v[2:3], v[12:13]
	v_fmac_f64_e32 v[18:19], v[4:5], v[12:13]
	v_lshlrev_b32_e32 v0, 1, v10
                                        ; implicit-def: $vgpr10
                                        ; implicit-def: $vgpr12_vgpr13
                                        ; implicit-def: $vgpr4_vgpr5
	s_wait_kmcnt 0x0
	s_clause 0x1
	global_store_b128 v0, v[6:9], s[0:1] scale_offset
	global_store_b128 v0, v[16:19], s[0:1] offset:16 scale_offset
                                        ; implicit-def: $vgpr0_vgpr1
                                        ; implicit-def: $vgpr16_vgpr17
                                        ; implicit-def: $vgpr8_vgpr9
.LBB234_19:
	s_wait_xcnt 0x0
	s_and_not1_saveexec_b32 s2, s2
	s_cbranch_execz .LBB234_21
; %bb.20:
	s_delay_alu instid0(VALU_DEP_3) | instskip(SKIP_1) | instid1(VALU_DEP_3)
	v_dual_mul_f64 v[26:27], v[16:17], -v[4:5] :: v_dual_lshlrev_b32 v30, 1, v10
	v_mul_f64_e32 v[16:17], v[2:3], v[16:17]
	v_mul_f64_e64 v[28:29], v[14:15], -v[4:5]
	v_mul_f64_e32 v[10:11], v[2:3], v[14:15]
	s_wait_kmcnt 0x0
	s_clause 0x1
	global_load_b128 v[18:21], v30, s[0:1] scale_offset
	global_load_b128 v[22:25], v30, s[0:1] offset:16 scale_offset
	v_fmac_f64_e32 v[26:27], v[2:3], v[0:1]
	v_fmac_f64_e32 v[16:17], v[4:5], v[0:1]
	;; [unrolled: 1-line block ×4, first 2 shown]
	s_wait_loadcnt 0x1
	s_delay_alu instid0(VALU_DEP_4) | instskip(NEXT) | instid1(VALU_DEP_4)
	v_fmac_f64_e32 v[26:27], v[6:7], v[18:19]
	v_fmac_f64_e32 v[16:17], v[8:9], v[18:19]
	s_wait_loadcnt 0x0
	s_delay_alu instid0(VALU_DEP_4) | instskip(NEXT) | instid1(VALU_DEP_4)
	v_fmac_f64_e32 v[28:29], v[6:7], v[22:23]
	v_fmac_f64_e32 v[10:11], v[8:9], v[22:23]
	s_delay_alu instid0(VALU_DEP_4) | instskip(NEXT) | instid1(VALU_DEP_4)
	v_fma_f64 v[14:15], -v[8:9], v[20:21], v[26:27]
	v_fmac_f64_e32 v[16:17], v[6:7], v[20:21]
	s_delay_alu instid0(VALU_DEP_4) | instskip(NEXT) | instid1(VALU_DEP_4)
	v_fma_f64 v[8:9], -v[8:9], v[24:25], v[28:29]
	v_fmac_f64_e32 v[10:11], v[6:7], v[24:25]
	s_clause 0x1
	global_store_b128 v30, v[14:17], s[0:1] scale_offset
	global_store_b128 v30, v[8:11], s[0:1] offset:16 scale_offset
.LBB234_21:
	s_endpgm
	.section	.rodata,"a",@progbits
	.p2align	6, 0x0
	.amdhsa_kernel _ZN9rocsparseL19gebsrmvn_2xn_kernelILj128ELj3ELj8E21rocsparse_complex_numIdEEEvi20rocsparse_direction_NS_24const_host_device_scalarIT2_EEPKiS8_PKS5_SA_S6_PS5_21rocsparse_index_base_b
		.amdhsa_group_segment_fixed_size 0
		.amdhsa_private_segment_fixed_size 0
		.amdhsa_kernarg_size 88
		.amdhsa_user_sgpr_count 2
		.amdhsa_user_sgpr_dispatch_ptr 0
		.amdhsa_user_sgpr_queue_ptr 0
		.amdhsa_user_sgpr_kernarg_segment_ptr 1
		.amdhsa_user_sgpr_dispatch_id 0
		.amdhsa_user_sgpr_kernarg_preload_length 0
		.amdhsa_user_sgpr_kernarg_preload_offset 0
		.amdhsa_user_sgpr_private_segment_size 0
		.amdhsa_wavefront_size32 1
		.amdhsa_uses_dynamic_stack 0
		.amdhsa_enable_private_segment 0
		.amdhsa_system_sgpr_workgroup_id_x 1
		.amdhsa_system_sgpr_workgroup_id_y 0
		.amdhsa_system_sgpr_workgroup_id_z 0
		.amdhsa_system_sgpr_workgroup_info 0
		.amdhsa_system_vgpr_workitem_id 0
		.amdhsa_next_free_vgpr 60
		.amdhsa_next_free_sgpr 14
		.amdhsa_named_barrier_count 0
		.amdhsa_reserve_vcc 1
		.amdhsa_float_round_mode_32 0
		.amdhsa_float_round_mode_16_64 0
		.amdhsa_float_denorm_mode_32 3
		.amdhsa_float_denorm_mode_16_64 3
		.amdhsa_fp16_overflow 0
		.amdhsa_memory_ordered 1
		.amdhsa_forward_progress 1
		.amdhsa_inst_pref_size 15
		.amdhsa_round_robin_scheduling 0
		.amdhsa_exception_fp_ieee_invalid_op 0
		.amdhsa_exception_fp_denorm_src 0
		.amdhsa_exception_fp_ieee_div_zero 0
		.amdhsa_exception_fp_ieee_overflow 0
		.amdhsa_exception_fp_ieee_underflow 0
		.amdhsa_exception_fp_ieee_inexact 0
		.amdhsa_exception_int_div_zero 0
	.end_amdhsa_kernel
	.section	.text._ZN9rocsparseL19gebsrmvn_2xn_kernelILj128ELj3ELj8E21rocsparse_complex_numIdEEEvi20rocsparse_direction_NS_24const_host_device_scalarIT2_EEPKiS8_PKS5_SA_S6_PS5_21rocsparse_index_base_b,"axG",@progbits,_ZN9rocsparseL19gebsrmvn_2xn_kernelILj128ELj3ELj8E21rocsparse_complex_numIdEEEvi20rocsparse_direction_NS_24const_host_device_scalarIT2_EEPKiS8_PKS5_SA_S6_PS5_21rocsparse_index_base_b,comdat
.Lfunc_end234:
	.size	_ZN9rocsparseL19gebsrmvn_2xn_kernelILj128ELj3ELj8E21rocsparse_complex_numIdEEEvi20rocsparse_direction_NS_24const_host_device_scalarIT2_EEPKiS8_PKS5_SA_S6_PS5_21rocsparse_index_base_b, .Lfunc_end234-_ZN9rocsparseL19gebsrmvn_2xn_kernelILj128ELj3ELj8E21rocsparse_complex_numIdEEEvi20rocsparse_direction_NS_24const_host_device_scalarIT2_EEPKiS8_PKS5_SA_S6_PS5_21rocsparse_index_base_b
                                        ; -- End function
	.set _ZN9rocsparseL19gebsrmvn_2xn_kernelILj128ELj3ELj8E21rocsparse_complex_numIdEEEvi20rocsparse_direction_NS_24const_host_device_scalarIT2_EEPKiS8_PKS5_SA_S6_PS5_21rocsparse_index_base_b.num_vgpr, 60
	.set _ZN9rocsparseL19gebsrmvn_2xn_kernelILj128ELj3ELj8E21rocsparse_complex_numIdEEEvi20rocsparse_direction_NS_24const_host_device_scalarIT2_EEPKiS8_PKS5_SA_S6_PS5_21rocsparse_index_base_b.num_agpr, 0
	.set _ZN9rocsparseL19gebsrmvn_2xn_kernelILj128ELj3ELj8E21rocsparse_complex_numIdEEEvi20rocsparse_direction_NS_24const_host_device_scalarIT2_EEPKiS8_PKS5_SA_S6_PS5_21rocsparse_index_base_b.numbered_sgpr, 14
	.set _ZN9rocsparseL19gebsrmvn_2xn_kernelILj128ELj3ELj8E21rocsparse_complex_numIdEEEvi20rocsparse_direction_NS_24const_host_device_scalarIT2_EEPKiS8_PKS5_SA_S6_PS5_21rocsparse_index_base_b.num_named_barrier, 0
	.set _ZN9rocsparseL19gebsrmvn_2xn_kernelILj128ELj3ELj8E21rocsparse_complex_numIdEEEvi20rocsparse_direction_NS_24const_host_device_scalarIT2_EEPKiS8_PKS5_SA_S6_PS5_21rocsparse_index_base_b.private_seg_size, 0
	.set _ZN9rocsparseL19gebsrmvn_2xn_kernelILj128ELj3ELj8E21rocsparse_complex_numIdEEEvi20rocsparse_direction_NS_24const_host_device_scalarIT2_EEPKiS8_PKS5_SA_S6_PS5_21rocsparse_index_base_b.uses_vcc, 1
	.set _ZN9rocsparseL19gebsrmvn_2xn_kernelILj128ELj3ELj8E21rocsparse_complex_numIdEEEvi20rocsparse_direction_NS_24const_host_device_scalarIT2_EEPKiS8_PKS5_SA_S6_PS5_21rocsparse_index_base_b.uses_flat_scratch, 0
	.set _ZN9rocsparseL19gebsrmvn_2xn_kernelILj128ELj3ELj8E21rocsparse_complex_numIdEEEvi20rocsparse_direction_NS_24const_host_device_scalarIT2_EEPKiS8_PKS5_SA_S6_PS5_21rocsparse_index_base_b.has_dyn_sized_stack, 0
	.set _ZN9rocsparseL19gebsrmvn_2xn_kernelILj128ELj3ELj8E21rocsparse_complex_numIdEEEvi20rocsparse_direction_NS_24const_host_device_scalarIT2_EEPKiS8_PKS5_SA_S6_PS5_21rocsparse_index_base_b.has_recursion, 0
	.set _ZN9rocsparseL19gebsrmvn_2xn_kernelILj128ELj3ELj8E21rocsparse_complex_numIdEEEvi20rocsparse_direction_NS_24const_host_device_scalarIT2_EEPKiS8_PKS5_SA_S6_PS5_21rocsparse_index_base_b.has_indirect_call, 0
	.section	.AMDGPU.csdata,"",@progbits
; Kernel info:
; codeLenInByte = 1920
; TotalNumSgprs: 16
; NumVgprs: 60
; ScratchSize: 0
; MemoryBound: 0
; FloatMode: 240
; IeeeMode: 1
; LDSByteSize: 0 bytes/workgroup (compile time only)
; SGPRBlocks: 0
; VGPRBlocks: 3
; NumSGPRsForWavesPerEU: 16
; NumVGPRsForWavesPerEU: 60
; NamedBarCnt: 0
; Occupancy: 16
; WaveLimiterHint : 1
; COMPUTE_PGM_RSRC2:SCRATCH_EN: 0
; COMPUTE_PGM_RSRC2:USER_SGPR: 2
; COMPUTE_PGM_RSRC2:TRAP_HANDLER: 0
; COMPUTE_PGM_RSRC2:TGID_X_EN: 1
; COMPUTE_PGM_RSRC2:TGID_Y_EN: 0
; COMPUTE_PGM_RSRC2:TGID_Z_EN: 0
; COMPUTE_PGM_RSRC2:TIDIG_COMP_CNT: 0
	.section	.text._ZN9rocsparseL19gebsrmvn_2xn_kernelILj128ELj3ELj16E21rocsparse_complex_numIdEEEvi20rocsparse_direction_NS_24const_host_device_scalarIT2_EEPKiS8_PKS5_SA_S6_PS5_21rocsparse_index_base_b,"axG",@progbits,_ZN9rocsparseL19gebsrmvn_2xn_kernelILj128ELj3ELj16E21rocsparse_complex_numIdEEEvi20rocsparse_direction_NS_24const_host_device_scalarIT2_EEPKiS8_PKS5_SA_S6_PS5_21rocsparse_index_base_b,comdat
	.globl	_ZN9rocsparseL19gebsrmvn_2xn_kernelILj128ELj3ELj16E21rocsparse_complex_numIdEEEvi20rocsparse_direction_NS_24const_host_device_scalarIT2_EEPKiS8_PKS5_SA_S6_PS5_21rocsparse_index_base_b ; -- Begin function _ZN9rocsparseL19gebsrmvn_2xn_kernelILj128ELj3ELj16E21rocsparse_complex_numIdEEEvi20rocsparse_direction_NS_24const_host_device_scalarIT2_EEPKiS8_PKS5_SA_S6_PS5_21rocsparse_index_base_b
	.p2align	8
	.type	_ZN9rocsparseL19gebsrmvn_2xn_kernelILj128ELj3ELj16E21rocsparse_complex_numIdEEEvi20rocsparse_direction_NS_24const_host_device_scalarIT2_EEPKiS8_PKS5_SA_S6_PS5_21rocsparse_index_base_b,@function
_ZN9rocsparseL19gebsrmvn_2xn_kernelILj128ELj3ELj16E21rocsparse_complex_numIdEEEvi20rocsparse_direction_NS_24const_host_device_scalarIT2_EEPKiS8_PKS5_SA_S6_PS5_21rocsparse_index_base_b: ; @_ZN9rocsparseL19gebsrmvn_2xn_kernelILj128ELj3ELj16E21rocsparse_complex_numIdEEEvi20rocsparse_direction_NS_24const_host_device_scalarIT2_EEPKiS8_PKS5_SA_S6_PS5_21rocsparse_index_base_b
; %bb.0:
	s_clause 0x1
	s_load_b64 s[12:13], s[0:1], 0x50
	s_load_b64 s[2:3], s[0:1], 0x8
	v_mov_b32_e32 v1, 0
	s_add_nc_u64 s[4:5], s[0:1], 8
	s_load_b64 s[6:7], s[0:1], 0x38
	s_wait_kmcnt 0x0
	s_bitcmp1_b32 s13, 0
	s_cselect_b32 s3, s5, s3
	s_cselect_b32 s2, s4, s2
	flat_load_b128 v[2:5], v1, s[2:3]
	s_wait_xcnt 0x0
	s_add_nc_u64 s[2:3], s[0:1], 56
	s_delay_alu instid0(SALU_CYCLE_1)
	s_cselect_b32 s3, s3, s7
	s_cselect_b32 s2, s2, s6
	flat_load_b128 v[6:9], v1, s[2:3]
	s_wait_loadcnt_dscnt 0x101
	v_cmp_eq_f64_e32 vcc_lo, 0, v[2:3]
	s_wait_xcnt 0x0
	v_cmp_eq_f64_e64 s2, 0, v[4:5]
	s_and_b32 s4, vcc_lo, s2
	s_mov_b32 s2, -1
	s_and_saveexec_b32 s3, s4
	s_cbranch_execz .LBB235_2
; %bb.1:
	s_wait_loadcnt_dscnt 0x0
	v_cmp_neq_f64_e32 vcc_lo, 1.0, v[6:7]
	v_cmp_neq_f64_e64 s2, 0, v[8:9]
	s_or_b32 s2, vcc_lo, s2
	s_delay_alu instid0(SALU_CYCLE_1)
	s_or_not1_b32 s2, s2, exec_lo
.LBB235_2:
	s_or_b32 exec_lo, exec_lo, s3
	s_and_saveexec_b32 s3, s2
	s_cbranch_execz .LBB235_21
; %bb.3:
	s_load_b64 s[2:3], s[0:1], 0x0
	s_bfe_u32 s4, ttmp6, 0x4000c
	s_and_b32 s5, ttmp6, 15
	s_add_co_i32 s4, s4, 1
	s_getreg_b32 s6, hwreg(HW_REG_IB_STS2, 6, 4)
	s_mul_i32 s4, ttmp9, s4
	v_lshrrev_b32_e32 v1, 4, v0
	s_add_co_i32 s5, s5, s4
	s_cmp_eq_u32 s6, 0
	s_cselect_b32 s4, ttmp9, s5
	s_delay_alu instid0(VALU_DEP_1) | instid1(SALU_CYCLE_1)
	v_lshl_or_b32 v10, s4, 3, v1
	s_wait_kmcnt 0x0
	s_delay_alu instid0(VALU_DEP_1)
	v_cmp_gt_i32_e32 vcc_lo, s2, v10
	s_and_b32 exec_lo, exec_lo, vcc_lo
	s_cbranch_execz .LBB235_21
; %bb.4:
	s_load_b256 s[4:11], s[0:1], 0x18
	v_ashrrev_i32_e32 v11, 31, v10
	s_cmp_lg_u32 s3, 0
	s_wait_kmcnt 0x0
	s_delay_alu instid0(VALU_DEP_1)
	v_lshl_add_u64 v[12:13], v[10:11], 2, s[4:5]
	v_and_b32_e32 v11, 15, v0
	global_load_b64 v[12:13], v[12:13], off
	s_wait_loadcnt 0x0
	v_subrev_nc_u32_e32 v0, s12, v12
	v_subrev_nc_u32_e32 v18, s12, v13
	s_delay_alu instid0(VALU_DEP_2) | instskip(NEXT) | instid1(VALU_DEP_1)
	v_add_nc_u32_e32 v19, v0, v11
	v_cmp_lt_i32_e64 s2, v19, v18
	s_cbranch_scc0 .LBB235_10
; %bb.5:
	v_mov_b64_e32 v[0:1], 0
	v_mov_b64_e32 v[14:15], 0
	v_mov_b64_e32 v[16:17], 0
	v_mov_b64_e32 v[12:13], 0
	s_and_saveexec_b32 s3, s2
	s_cbranch_execz .LBB235_9
; %bb.6:
	v_mul_lo_u32 v20, v19, 6
	v_mov_b64_e32 v[0:1], 0
	v_mov_b64_e32 v[14:15], 0
	;; [unrolled: 1-line block ×4, first 2 shown]
	v_mov_b32_e32 v21, v19
	s_mov_b32 s4, 0
.LBB235_7:                              ; =>This Inner Loop Header: Depth=1
	global_load_b32 v22, v21, s[6:7] scale_offset
	s_wait_xcnt 0x0
	v_add_nc_u32_e32 v21, 16, v21
	s_delay_alu instid0(VALU_DEP_1)
	v_cmp_ge_i32_e32 vcc_lo, v21, v18
	s_or_b32 s4, vcc_lo, s4
	s_wait_loadcnt 0x0
	v_subrev_nc_u32_e32 v26, s12, v22
	global_load_b128 v[22:25], v20, s[8:9] offset:16 scale_offset
	v_lshl_add_u32 v50, v26, 1, v26
	v_dual_add_nc_u32 v46, 2, v20 :: v_dual_add_nc_u32 v58, 4, v20
	global_load_b128 v[26:29], v20, s[8:9] scale_offset
	global_load_b128 v[30:33], v50, s[10:11] scale_offset
	v_add_nc_u32_e32 v47, 1, v50
	global_load_b128 v[34:37], v46, s[8:9] offset:16 scale_offset
	v_add_nc_u32_e32 v59, 2, v50
	s_wait_xcnt 0x2
	v_add_nc_u32_e32 v20, 0x60, v20
	global_load_b128 v[38:41], v46, s[8:9] scale_offset
	global_load_b128 v[42:45], v47, s[10:11] scale_offset
	s_clause 0x1
	global_load_b128 v[46:49], v58, s[8:9] offset:16 scale_offset
	global_load_b128 v[50:53], v58, s[8:9] scale_offset
	global_load_b128 v[54:57], v59, s[10:11] scale_offset
	s_wait_loadcnt 0x6
	v_fmac_f64_e32 v[14:15], v[26:27], v[30:31]
	v_fmac_f64_e32 v[0:1], v[28:29], v[30:31]
	;; [unrolled: 1-line block ×4, first 2 shown]
	s_delay_alu instid0(VALU_DEP_4) | instskip(NEXT) | instid1(VALU_DEP_4)
	v_fma_f64 v[14:15], -v[28:29], v[32:33], v[14:15]
	v_fmac_f64_e32 v[0:1], v[26:27], v[32:33]
	s_delay_alu instid0(VALU_DEP_4) | instskip(NEXT) | instid1(VALU_DEP_4)
	v_fma_f64 v[16:17], -v[24:25], v[32:33], v[16:17]
	v_fmac_f64_e32 v[12:13], v[22:23], v[32:33]
	s_wait_loadcnt 0x3
	s_delay_alu instid0(VALU_DEP_4) | instskip(NEXT) | instid1(VALU_DEP_4)
	v_fmac_f64_e32 v[14:15], v[38:39], v[42:43]
	v_fmac_f64_e32 v[0:1], v[40:41], v[42:43]
	s_delay_alu instid0(VALU_DEP_4) | instskip(NEXT) | instid1(VALU_DEP_4)
	v_fmac_f64_e32 v[16:17], v[34:35], v[42:43]
	v_fmac_f64_e32 v[12:13], v[36:37], v[42:43]
	s_delay_alu instid0(VALU_DEP_4) | instskip(NEXT) | instid1(VALU_DEP_4)
	v_fma_f64 v[14:15], -v[40:41], v[44:45], v[14:15]
	v_fmac_f64_e32 v[0:1], v[38:39], v[44:45]
	s_delay_alu instid0(VALU_DEP_4) | instskip(NEXT) | instid1(VALU_DEP_4)
	v_fma_f64 v[16:17], -v[36:37], v[44:45], v[16:17]
	v_fmac_f64_e32 v[12:13], v[34:35], v[44:45]
	s_wait_loadcnt 0x0
	s_delay_alu instid0(VALU_DEP_4) | instskip(NEXT) | instid1(VALU_DEP_4)
	v_fmac_f64_e32 v[14:15], v[50:51], v[54:55]
	v_fmac_f64_e32 v[0:1], v[52:53], v[54:55]
	s_delay_alu instid0(VALU_DEP_4) | instskip(NEXT) | instid1(VALU_DEP_4)
	v_fmac_f64_e32 v[16:17], v[46:47], v[54:55]
	v_fmac_f64_e32 v[12:13], v[48:49], v[54:55]
	s_delay_alu instid0(VALU_DEP_4) | instskip(NEXT) | instid1(VALU_DEP_4)
	v_fma_f64 v[14:15], -v[52:53], v[56:57], v[14:15]
	v_fmac_f64_e32 v[0:1], v[50:51], v[56:57]
	s_delay_alu instid0(VALU_DEP_4) | instskip(NEXT) | instid1(VALU_DEP_4)
	v_fma_f64 v[16:17], -v[48:49], v[56:57], v[16:17]
	v_fmac_f64_e32 v[12:13], v[46:47], v[56:57]
	s_and_not1_b32 exec_lo, exec_lo, s4
	s_cbranch_execnz .LBB235_7
; %bb.8:
	s_or_b32 exec_lo, exec_lo, s4
.LBB235_9:
	s_delay_alu instid0(SALU_CYCLE_1)
	s_or_b32 exec_lo, exec_lo, s3
	s_cbranch_execz .LBB235_11
	s_branch .LBB235_16
.LBB235_10:
                                        ; implicit-def: $vgpr0_vgpr1
                                        ; implicit-def: $vgpr14_vgpr15
                                        ; implicit-def: $vgpr16_vgpr17
                                        ; implicit-def: $vgpr12_vgpr13
.LBB235_11:
	v_mov_b64_e32 v[0:1], 0
	v_mov_b64_e32 v[14:15], 0
	;; [unrolled: 1-line block ×4, first 2 shown]
	s_and_saveexec_b32 s3, s2
	s_cbranch_execz .LBB235_15
; %bb.12:
	v_mad_u32 v20, v19, 6, 5
	v_mov_b64_e32 v[0:1], 0
	v_mov_b64_e32 v[14:15], 0
	;; [unrolled: 1-line block ×4, first 2 shown]
	s_mov_b32 s2, 0
.LBB235_13:                             ; =>This Inner Loop Header: Depth=1
	global_load_b32 v21, v19, s[6:7] scale_offset
	v_dual_add_nc_u32 v26, -5, v20 :: v_dual_add_nc_u32 v38, -2, v20
	s_wait_xcnt 0x0
	v_add_nc_u32_e32 v19, 16, v19
	s_clause 0x1
	global_load_b128 v[22:25], v26, s[8:9] offset:16 scale_offset
	global_load_b128 v[26:29], v26, s[8:9] scale_offset
	v_cmp_ge_i32_e32 vcc_lo, v19, v18
	s_or_b32 s2, vcc_lo, s2
	s_wait_loadcnt 0x2
	v_subrev_nc_u32_e32 v21, s12, v21
	s_delay_alu instid0(VALU_DEP_1)
	v_lshl_add_u32 v21, v21, 1, v21
	global_load_b128 v[30:33], v38, s[8:9] scale_offset
	global_load_b128 v[34:37], v21, s[10:11] scale_offset
	v_dual_add_nc_u32 v46, -1, v20 :: v_dual_add_nc_u32 v47, 1, v21
	global_load_b128 v[38:41], v46, s[8:9] scale_offset
	global_load_b128 v[42:45], v47, s[10:11] scale_offset
	s_wait_xcnt 0x2
	v_dual_add_nc_u32 v58, -3, v20 :: v_dual_add_nc_u32 v21, 2, v21
	s_clause 0x1
	global_load_b128 v[46:49], v20, s[8:9] scale_offset
	global_load_b128 v[50:53], v58, s[8:9] scale_offset
	;; [unrolled: 1-line block ×3, first 2 shown]
	s_wait_xcnt 0x2
	v_add_nc_u32_e32 v20, 0x60, v20
	s_wait_loadcnt 0x5
	v_fmac_f64_e32 v[14:15], v[26:27], v[34:35]
	v_fmac_f64_e32 v[0:1], v[28:29], v[34:35]
	;; [unrolled: 1-line block ×4, first 2 shown]
	s_delay_alu instid0(VALU_DEP_4) | instskip(NEXT) | instid1(VALU_DEP_4)
	v_fma_f64 v[14:15], -v[28:29], v[36:37], v[14:15]
	v_fmac_f64_e32 v[0:1], v[26:27], v[36:37]
	s_delay_alu instid0(VALU_DEP_4) | instskip(NEXT) | instid1(VALU_DEP_4)
	v_fma_f64 v[16:17], -v[32:33], v[36:37], v[16:17]
	v_fmac_f64_e32 v[12:13], v[30:31], v[36:37]
	s_wait_loadcnt 0x3
	s_delay_alu instid0(VALU_DEP_4) | instskip(NEXT) | instid1(VALU_DEP_4)
	v_fmac_f64_e32 v[14:15], v[22:23], v[42:43]
	v_fmac_f64_e32 v[0:1], v[24:25], v[42:43]
	s_delay_alu instid0(VALU_DEP_4) | instskip(NEXT) | instid1(VALU_DEP_4)
	v_fmac_f64_e32 v[16:17], v[38:39], v[42:43]
	v_fmac_f64_e32 v[12:13], v[40:41], v[42:43]
	s_delay_alu instid0(VALU_DEP_4) | instskip(NEXT) | instid1(VALU_DEP_4)
	v_fma_f64 v[14:15], -v[24:25], v[44:45], v[14:15]
	v_fmac_f64_e32 v[0:1], v[22:23], v[44:45]
	s_delay_alu instid0(VALU_DEP_4) | instskip(NEXT) | instid1(VALU_DEP_4)
	v_fma_f64 v[16:17], -v[40:41], v[44:45], v[16:17]
	v_fmac_f64_e32 v[12:13], v[38:39], v[44:45]
	s_wait_loadcnt 0x0
	s_delay_alu instid0(VALU_DEP_4) | instskip(NEXT) | instid1(VALU_DEP_4)
	v_fmac_f64_e32 v[14:15], v[50:51], v[54:55]
	v_fmac_f64_e32 v[0:1], v[52:53], v[54:55]
	s_delay_alu instid0(VALU_DEP_4) | instskip(NEXT) | instid1(VALU_DEP_4)
	v_fmac_f64_e32 v[16:17], v[46:47], v[54:55]
	v_fmac_f64_e32 v[12:13], v[48:49], v[54:55]
	s_delay_alu instid0(VALU_DEP_4) | instskip(NEXT) | instid1(VALU_DEP_4)
	v_fma_f64 v[14:15], -v[52:53], v[56:57], v[14:15]
	v_fmac_f64_e32 v[0:1], v[50:51], v[56:57]
	s_delay_alu instid0(VALU_DEP_4) | instskip(NEXT) | instid1(VALU_DEP_4)
	v_fma_f64 v[16:17], -v[48:49], v[56:57], v[16:17]
	v_fmac_f64_e32 v[12:13], v[46:47], v[56:57]
	s_and_not1_b32 exec_lo, exec_lo, s2
	s_cbranch_execnz .LBB235_13
; %bb.14:
	s_or_b32 exec_lo, exec_lo, s2
.LBB235_15:
	s_delay_alu instid0(SALU_CYCLE_1)
	s_or_b32 exec_lo, exec_lo, s3
.LBB235_16:
	v_mbcnt_lo_u32_b32 v28, -1, 0
	s_delay_alu instid0(VALU_DEP_1) | instskip(NEXT) | instid1(VALU_DEP_1)
	v_xor_b32_e32 v18, 8, v28
	v_cmp_gt_i32_e32 vcc_lo, 32, v18
	v_cndmask_b32_e32 v18, v28, v18, vcc_lo
	s_delay_alu instid0(VALU_DEP_1)
	v_lshlrev_b32_e32 v25, 2, v18
	ds_bpermute_b32 v20, v25, v0
	ds_bpermute_b32 v21, v25, v1
	s_wait_dscnt 0x0
	v_add_f64_e32 v[0:1], v[0:1], v[20:21]
	ds_bpermute_b32 v18, v25, v14
	ds_bpermute_b32 v19, v25, v15
	;; [unrolled: 1-line block ×6, first 2 shown]
	s_wait_dscnt 0x4
	v_dual_add_f64 v[14:15], v[14:15], v[18:19] :: v_dual_bitop2_b32 v18, 4, v28 bitop3:0x14
	s_wait_dscnt 0x2
	v_add_f64_e32 v[16:17], v[16:17], v[22:23]
	s_delay_alu instid0(VALU_DEP_2) | instskip(SKIP_2) | instid1(VALU_DEP_1)
	v_cmp_gt_i32_e32 vcc_lo, 32, v18
	v_cndmask_b32_e32 v18, v28, v18, vcc_lo
	s_wait_dscnt 0x0
	v_dual_add_f64 v[12:13], v[12:13], v[24:25] :: v_dual_lshlrev_b32 v25, 2, v18
	ds_bpermute_b32 v20, v25, v0
	ds_bpermute_b32 v21, v25, v1
	;; [unrolled: 1-line block ×8, first 2 shown]
	s_wait_dscnt 0x4
	v_add_f64_e32 v[14:15], v[14:15], v[18:19]
	v_add_f64_e32 v[18:19], v[0:1], v[20:21]
	s_wait_dscnt 0x2
	v_dual_add_f64 v[20:21], v[16:17], v[22:23] :: v_dual_bitop2_b32 v0, 2, v28 bitop3:0x14
	s_delay_alu instid0(VALU_DEP_1) | instskip(SKIP_3) | instid1(VALU_DEP_1)
	v_cmp_gt_i32_e32 vcc_lo, 32, v0
	s_wait_dscnt 0x0
	v_add_f64_e32 v[22:23], v[12:13], v[24:25]
	v_cndmask_b32_e32 v0, v28, v0, vcc_lo
	v_lshlrev_b32_e32 v16, 2, v0
	ds_bpermute_b32 v0, v16, v14
	ds_bpermute_b32 v12, v16, v18
	;; [unrolled: 1-line block ×8, first 2 shown]
	s_wait_dscnt 0x5
	v_add_f64_e32 v[16:17], v[18:19], v[12:13]
	v_xor_b32_e32 v18, 1, v28
	s_wait_dscnt 0x2
	v_add_f64_e32 v[12:13], v[20:21], v[24:25]
	s_delay_alu instid0(VALU_DEP_2) | instskip(SKIP_2) | instid1(VALU_DEP_2)
	v_cmp_gt_i32_e32 vcc_lo, 32, v18
	v_dual_add_f64 v[0:1], v[14:15], v[0:1] :: v_dual_cndmask_b32 v18, v28, v18, vcc_lo
	v_cmp_eq_u32_e32 vcc_lo, 15, v11
	v_lshlrev_b32_e32 v21, 2, v18
	s_wait_dscnt 0x0
	v_add_f64_e32 v[14:15], v[22:23], v[26:27]
	ds_bpermute_b32 v22, v21, v16
	ds_bpermute_b32 v23, v21, v17
	;; [unrolled: 1-line block ×8, first 2 shown]
	s_and_b32 exec_lo, exec_lo, vcc_lo
	s_cbranch_execz .LBB235_21
; %bb.17:
	v_cmp_eq_f64_e32 vcc_lo, 0, v[6:7]
	v_cmp_eq_f64_e64 s2, 0, v[8:9]
	s_wait_dscnt 0x2
	v_add_f64_e32 v[0:1], v[0:1], v[24:25]
	v_add_f64_e32 v[16:17], v[16:17], v[22:23]
	;; [unrolled: 1-line block ×3, first 2 shown]
	s_wait_dscnt 0x0
	v_add_f64_e32 v[14:15], v[14:15], v[20:21]
	s_load_b64 s[0:1], s[0:1], 0x48
	s_and_b32 s2, vcc_lo, s2
	s_delay_alu instid0(SALU_CYCLE_1) | instskip(NEXT) | instid1(SALU_CYCLE_1)
	s_and_saveexec_b32 s3, s2
	s_xor_b32 s2, exec_lo, s3
	s_cbranch_execz .LBB235_19
; %bb.18:
	s_delay_alu instid0(VALU_DEP_3) | instskip(SKIP_1) | instid1(VALU_DEP_3)
	v_mul_f64_e64 v[6:7], v[16:17], -v[4:5]
	v_mul_f64_e32 v[8:9], v[2:3], v[16:17]
	v_mul_f64_e64 v[16:17], v[14:15], -v[4:5]
	v_mul_f64_e32 v[18:19], v[2:3], v[14:15]
                                        ; implicit-def: $vgpr14_vgpr15
	s_delay_alu instid0(VALU_DEP_4) | instskip(NEXT) | instid1(VALU_DEP_4)
	v_fmac_f64_e32 v[6:7], v[2:3], v[0:1]
	v_fmac_f64_e32 v[8:9], v[4:5], v[0:1]
	s_delay_alu instid0(VALU_DEP_4) | instskip(NEXT) | instid1(VALU_DEP_4)
	v_fmac_f64_e32 v[16:17], v[2:3], v[12:13]
	v_fmac_f64_e32 v[18:19], v[4:5], v[12:13]
	v_lshlrev_b32_e32 v0, 1, v10
                                        ; implicit-def: $vgpr10
                                        ; implicit-def: $vgpr12_vgpr13
                                        ; implicit-def: $vgpr4_vgpr5
	s_wait_kmcnt 0x0
	s_clause 0x1
	global_store_b128 v0, v[6:9], s[0:1] scale_offset
	global_store_b128 v0, v[16:19], s[0:1] offset:16 scale_offset
                                        ; implicit-def: $vgpr0_vgpr1
                                        ; implicit-def: $vgpr16_vgpr17
                                        ; implicit-def: $vgpr8_vgpr9
.LBB235_19:
	s_wait_xcnt 0x0
	s_and_not1_saveexec_b32 s2, s2
	s_cbranch_execz .LBB235_21
; %bb.20:
	s_delay_alu instid0(VALU_DEP_3) | instskip(SKIP_1) | instid1(VALU_DEP_3)
	v_dual_mul_f64 v[26:27], v[16:17], -v[4:5] :: v_dual_lshlrev_b32 v30, 1, v10
	v_mul_f64_e32 v[16:17], v[2:3], v[16:17]
	v_mul_f64_e64 v[28:29], v[14:15], -v[4:5]
	v_mul_f64_e32 v[10:11], v[2:3], v[14:15]
	s_wait_kmcnt 0x0
	s_clause 0x1
	global_load_b128 v[18:21], v30, s[0:1] scale_offset
	global_load_b128 v[22:25], v30, s[0:1] offset:16 scale_offset
	v_fmac_f64_e32 v[26:27], v[2:3], v[0:1]
	v_fmac_f64_e32 v[16:17], v[4:5], v[0:1]
	;; [unrolled: 1-line block ×4, first 2 shown]
	s_wait_loadcnt 0x1
	s_delay_alu instid0(VALU_DEP_4) | instskip(NEXT) | instid1(VALU_DEP_4)
	v_fmac_f64_e32 v[26:27], v[6:7], v[18:19]
	v_fmac_f64_e32 v[16:17], v[8:9], v[18:19]
	s_wait_loadcnt 0x0
	s_delay_alu instid0(VALU_DEP_4) | instskip(NEXT) | instid1(VALU_DEP_4)
	v_fmac_f64_e32 v[28:29], v[6:7], v[22:23]
	v_fmac_f64_e32 v[10:11], v[8:9], v[22:23]
	s_delay_alu instid0(VALU_DEP_4) | instskip(NEXT) | instid1(VALU_DEP_4)
	v_fma_f64 v[14:15], -v[8:9], v[20:21], v[26:27]
	v_fmac_f64_e32 v[16:17], v[6:7], v[20:21]
	s_delay_alu instid0(VALU_DEP_4) | instskip(NEXT) | instid1(VALU_DEP_4)
	v_fma_f64 v[8:9], -v[8:9], v[24:25], v[28:29]
	v_fmac_f64_e32 v[10:11], v[6:7], v[24:25]
	s_clause 0x1
	global_store_b128 v30, v[14:17], s[0:1] scale_offset
	global_store_b128 v30, v[8:11], s[0:1] offset:16 scale_offset
.LBB235_21:
	s_endpgm
	.section	.rodata,"a",@progbits
	.p2align	6, 0x0
	.amdhsa_kernel _ZN9rocsparseL19gebsrmvn_2xn_kernelILj128ELj3ELj16E21rocsparse_complex_numIdEEEvi20rocsparse_direction_NS_24const_host_device_scalarIT2_EEPKiS8_PKS5_SA_S6_PS5_21rocsparse_index_base_b
		.amdhsa_group_segment_fixed_size 0
		.amdhsa_private_segment_fixed_size 0
		.amdhsa_kernarg_size 88
		.amdhsa_user_sgpr_count 2
		.amdhsa_user_sgpr_dispatch_ptr 0
		.amdhsa_user_sgpr_queue_ptr 0
		.amdhsa_user_sgpr_kernarg_segment_ptr 1
		.amdhsa_user_sgpr_dispatch_id 0
		.amdhsa_user_sgpr_kernarg_preload_length 0
		.amdhsa_user_sgpr_kernarg_preload_offset 0
		.amdhsa_user_sgpr_private_segment_size 0
		.amdhsa_wavefront_size32 1
		.amdhsa_uses_dynamic_stack 0
		.amdhsa_enable_private_segment 0
		.amdhsa_system_sgpr_workgroup_id_x 1
		.amdhsa_system_sgpr_workgroup_id_y 0
		.amdhsa_system_sgpr_workgroup_id_z 0
		.amdhsa_system_sgpr_workgroup_info 0
		.amdhsa_system_vgpr_workitem_id 0
		.amdhsa_next_free_vgpr 60
		.amdhsa_next_free_sgpr 14
		.amdhsa_named_barrier_count 0
		.amdhsa_reserve_vcc 1
		.amdhsa_float_round_mode_32 0
		.amdhsa_float_round_mode_16_64 0
		.amdhsa_float_denorm_mode_32 3
		.amdhsa_float_denorm_mode_16_64 3
		.amdhsa_fp16_overflow 0
		.amdhsa_memory_ordered 1
		.amdhsa_forward_progress 1
		.amdhsa_inst_pref_size 16
		.amdhsa_round_robin_scheduling 0
		.amdhsa_exception_fp_ieee_invalid_op 0
		.amdhsa_exception_fp_denorm_src 0
		.amdhsa_exception_fp_ieee_div_zero 0
		.amdhsa_exception_fp_ieee_overflow 0
		.amdhsa_exception_fp_ieee_underflow 0
		.amdhsa_exception_fp_ieee_inexact 0
		.amdhsa_exception_int_div_zero 0
	.end_amdhsa_kernel
	.section	.text._ZN9rocsparseL19gebsrmvn_2xn_kernelILj128ELj3ELj16E21rocsparse_complex_numIdEEEvi20rocsparse_direction_NS_24const_host_device_scalarIT2_EEPKiS8_PKS5_SA_S6_PS5_21rocsparse_index_base_b,"axG",@progbits,_ZN9rocsparseL19gebsrmvn_2xn_kernelILj128ELj3ELj16E21rocsparse_complex_numIdEEEvi20rocsparse_direction_NS_24const_host_device_scalarIT2_EEPKiS8_PKS5_SA_S6_PS5_21rocsparse_index_base_b,comdat
.Lfunc_end235:
	.size	_ZN9rocsparseL19gebsrmvn_2xn_kernelILj128ELj3ELj16E21rocsparse_complex_numIdEEEvi20rocsparse_direction_NS_24const_host_device_scalarIT2_EEPKiS8_PKS5_SA_S6_PS5_21rocsparse_index_base_b, .Lfunc_end235-_ZN9rocsparseL19gebsrmvn_2xn_kernelILj128ELj3ELj16E21rocsparse_complex_numIdEEEvi20rocsparse_direction_NS_24const_host_device_scalarIT2_EEPKiS8_PKS5_SA_S6_PS5_21rocsparse_index_base_b
                                        ; -- End function
	.set _ZN9rocsparseL19gebsrmvn_2xn_kernelILj128ELj3ELj16E21rocsparse_complex_numIdEEEvi20rocsparse_direction_NS_24const_host_device_scalarIT2_EEPKiS8_PKS5_SA_S6_PS5_21rocsparse_index_base_b.num_vgpr, 60
	.set _ZN9rocsparseL19gebsrmvn_2xn_kernelILj128ELj3ELj16E21rocsparse_complex_numIdEEEvi20rocsparse_direction_NS_24const_host_device_scalarIT2_EEPKiS8_PKS5_SA_S6_PS5_21rocsparse_index_base_b.num_agpr, 0
	.set _ZN9rocsparseL19gebsrmvn_2xn_kernelILj128ELj3ELj16E21rocsparse_complex_numIdEEEvi20rocsparse_direction_NS_24const_host_device_scalarIT2_EEPKiS8_PKS5_SA_S6_PS5_21rocsparse_index_base_b.numbered_sgpr, 14
	.set _ZN9rocsparseL19gebsrmvn_2xn_kernelILj128ELj3ELj16E21rocsparse_complex_numIdEEEvi20rocsparse_direction_NS_24const_host_device_scalarIT2_EEPKiS8_PKS5_SA_S6_PS5_21rocsparse_index_base_b.num_named_barrier, 0
	.set _ZN9rocsparseL19gebsrmvn_2xn_kernelILj128ELj3ELj16E21rocsparse_complex_numIdEEEvi20rocsparse_direction_NS_24const_host_device_scalarIT2_EEPKiS8_PKS5_SA_S6_PS5_21rocsparse_index_base_b.private_seg_size, 0
	.set _ZN9rocsparseL19gebsrmvn_2xn_kernelILj128ELj3ELj16E21rocsparse_complex_numIdEEEvi20rocsparse_direction_NS_24const_host_device_scalarIT2_EEPKiS8_PKS5_SA_S6_PS5_21rocsparse_index_base_b.uses_vcc, 1
	.set _ZN9rocsparseL19gebsrmvn_2xn_kernelILj128ELj3ELj16E21rocsparse_complex_numIdEEEvi20rocsparse_direction_NS_24const_host_device_scalarIT2_EEPKiS8_PKS5_SA_S6_PS5_21rocsparse_index_base_b.uses_flat_scratch, 0
	.set _ZN9rocsparseL19gebsrmvn_2xn_kernelILj128ELj3ELj16E21rocsparse_complex_numIdEEEvi20rocsparse_direction_NS_24const_host_device_scalarIT2_EEPKiS8_PKS5_SA_S6_PS5_21rocsparse_index_base_b.has_dyn_sized_stack, 0
	.set _ZN9rocsparseL19gebsrmvn_2xn_kernelILj128ELj3ELj16E21rocsparse_complex_numIdEEEvi20rocsparse_direction_NS_24const_host_device_scalarIT2_EEPKiS8_PKS5_SA_S6_PS5_21rocsparse_index_base_b.has_recursion, 0
	.set _ZN9rocsparseL19gebsrmvn_2xn_kernelILj128ELj3ELj16E21rocsparse_complex_numIdEEEvi20rocsparse_direction_NS_24const_host_device_scalarIT2_EEPKiS8_PKS5_SA_S6_PS5_21rocsparse_index_base_b.has_indirect_call, 0
	.section	.AMDGPU.csdata,"",@progbits
; Kernel info:
; codeLenInByte = 2044
; TotalNumSgprs: 16
; NumVgprs: 60
; ScratchSize: 0
; MemoryBound: 0
; FloatMode: 240
; IeeeMode: 1
; LDSByteSize: 0 bytes/workgroup (compile time only)
; SGPRBlocks: 0
; VGPRBlocks: 3
; NumSGPRsForWavesPerEU: 16
; NumVGPRsForWavesPerEU: 60
; NamedBarCnt: 0
; Occupancy: 16
; WaveLimiterHint : 1
; COMPUTE_PGM_RSRC2:SCRATCH_EN: 0
; COMPUTE_PGM_RSRC2:USER_SGPR: 2
; COMPUTE_PGM_RSRC2:TRAP_HANDLER: 0
; COMPUTE_PGM_RSRC2:TGID_X_EN: 1
; COMPUTE_PGM_RSRC2:TGID_Y_EN: 0
; COMPUTE_PGM_RSRC2:TGID_Z_EN: 0
; COMPUTE_PGM_RSRC2:TIDIG_COMP_CNT: 0
	.section	.text._ZN9rocsparseL19gebsrmvn_2xn_kernelILj128ELj3ELj32E21rocsparse_complex_numIdEEEvi20rocsparse_direction_NS_24const_host_device_scalarIT2_EEPKiS8_PKS5_SA_S6_PS5_21rocsparse_index_base_b,"axG",@progbits,_ZN9rocsparseL19gebsrmvn_2xn_kernelILj128ELj3ELj32E21rocsparse_complex_numIdEEEvi20rocsparse_direction_NS_24const_host_device_scalarIT2_EEPKiS8_PKS5_SA_S6_PS5_21rocsparse_index_base_b,comdat
	.globl	_ZN9rocsparseL19gebsrmvn_2xn_kernelILj128ELj3ELj32E21rocsparse_complex_numIdEEEvi20rocsparse_direction_NS_24const_host_device_scalarIT2_EEPKiS8_PKS5_SA_S6_PS5_21rocsparse_index_base_b ; -- Begin function _ZN9rocsparseL19gebsrmvn_2xn_kernelILj128ELj3ELj32E21rocsparse_complex_numIdEEEvi20rocsparse_direction_NS_24const_host_device_scalarIT2_EEPKiS8_PKS5_SA_S6_PS5_21rocsparse_index_base_b
	.p2align	8
	.type	_ZN9rocsparseL19gebsrmvn_2xn_kernelILj128ELj3ELj32E21rocsparse_complex_numIdEEEvi20rocsparse_direction_NS_24const_host_device_scalarIT2_EEPKiS8_PKS5_SA_S6_PS5_21rocsparse_index_base_b,@function
_ZN9rocsparseL19gebsrmvn_2xn_kernelILj128ELj3ELj32E21rocsparse_complex_numIdEEEvi20rocsparse_direction_NS_24const_host_device_scalarIT2_EEPKiS8_PKS5_SA_S6_PS5_21rocsparse_index_base_b: ; @_ZN9rocsparseL19gebsrmvn_2xn_kernelILj128ELj3ELj32E21rocsparse_complex_numIdEEEvi20rocsparse_direction_NS_24const_host_device_scalarIT2_EEPKiS8_PKS5_SA_S6_PS5_21rocsparse_index_base_b
; %bb.0:
	s_clause 0x1
	s_load_b64 s[12:13], s[0:1], 0x50
	s_load_b64 s[2:3], s[0:1], 0x8
	v_mov_b32_e32 v1, 0
	s_add_nc_u64 s[4:5], s[0:1], 8
	s_load_b64 s[6:7], s[0:1], 0x38
	s_wait_kmcnt 0x0
	s_bitcmp1_b32 s13, 0
	s_cselect_b32 s3, s5, s3
	s_cselect_b32 s2, s4, s2
	flat_load_b128 v[2:5], v1, s[2:3]
	s_wait_xcnt 0x0
	s_add_nc_u64 s[2:3], s[0:1], 56
	s_delay_alu instid0(SALU_CYCLE_1)
	s_cselect_b32 s3, s3, s7
	s_cselect_b32 s2, s2, s6
	flat_load_b128 v[6:9], v1, s[2:3]
	s_wait_loadcnt_dscnt 0x101
	v_cmp_eq_f64_e32 vcc_lo, 0, v[2:3]
	s_wait_xcnt 0x0
	v_cmp_eq_f64_e64 s2, 0, v[4:5]
	s_and_b32 s4, vcc_lo, s2
	s_mov_b32 s2, -1
	s_and_saveexec_b32 s3, s4
	s_cbranch_execz .LBB236_2
; %bb.1:
	s_wait_loadcnt_dscnt 0x0
	v_cmp_neq_f64_e32 vcc_lo, 1.0, v[6:7]
	v_cmp_neq_f64_e64 s2, 0, v[8:9]
	s_or_b32 s2, vcc_lo, s2
	s_delay_alu instid0(SALU_CYCLE_1)
	s_or_not1_b32 s2, s2, exec_lo
.LBB236_2:
	s_or_b32 exec_lo, exec_lo, s3
	s_and_saveexec_b32 s3, s2
	s_cbranch_execz .LBB236_21
; %bb.3:
	s_load_b64 s[2:3], s[0:1], 0x0
	s_bfe_u32 s4, ttmp6, 0x4000c
	s_and_b32 s5, ttmp6, 15
	s_add_co_i32 s4, s4, 1
	s_getreg_b32 s6, hwreg(HW_REG_IB_STS2, 6, 4)
	s_mul_i32 s4, ttmp9, s4
	v_lshrrev_b32_e32 v1, 5, v0
	s_add_co_i32 s5, s5, s4
	s_cmp_eq_u32 s6, 0
	s_cselect_b32 s4, ttmp9, s5
	s_delay_alu instid0(VALU_DEP_1) | instid1(SALU_CYCLE_1)
	v_lshl_or_b32 v10, s4, 2, v1
	s_wait_kmcnt 0x0
	s_delay_alu instid0(VALU_DEP_1)
	v_cmp_gt_i32_e32 vcc_lo, s2, v10
	s_and_b32 exec_lo, exec_lo, vcc_lo
	s_cbranch_execz .LBB236_21
; %bb.4:
	s_load_b256 s[4:11], s[0:1], 0x18
	v_ashrrev_i32_e32 v11, 31, v10
	s_cmp_lg_u32 s3, 0
	s_wait_kmcnt 0x0
	s_delay_alu instid0(VALU_DEP_1)
	v_lshl_add_u64 v[12:13], v[10:11], 2, s[4:5]
	v_and_b32_e32 v11, 31, v0
	global_load_b64 v[12:13], v[12:13], off
	s_wait_loadcnt 0x0
	v_subrev_nc_u32_e32 v0, s12, v12
	v_subrev_nc_u32_e32 v18, s12, v13
	s_delay_alu instid0(VALU_DEP_2) | instskip(NEXT) | instid1(VALU_DEP_1)
	v_add_nc_u32_e32 v19, v0, v11
	v_cmp_lt_i32_e64 s2, v19, v18
	s_cbranch_scc0 .LBB236_10
; %bb.5:
	v_mov_b64_e32 v[0:1], 0
	v_mov_b64_e32 v[14:15], 0
	;; [unrolled: 1-line block ×4, first 2 shown]
	s_and_saveexec_b32 s3, s2
	s_cbranch_execz .LBB236_9
; %bb.6:
	v_mul_lo_u32 v20, v19, 6
	v_mov_b64_e32 v[0:1], 0
	v_mov_b64_e32 v[14:15], 0
	;; [unrolled: 1-line block ×4, first 2 shown]
	v_mov_b32_e32 v21, v19
	s_mov_b32 s4, 0
.LBB236_7:                              ; =>This Inner Loop Header: Depth=1
	global_load_b32 v22, v21, s[6:7] scale_offset
	s_wait_xcnt 0x0
	v_add_nc_u32_e32 v21, 32, v21
	s_delay_alu instid0(VALU_DEP_1)
	v_cmp_ge_i32_e32 vcc_lo, v21, v18
	s_or_b32 s4, vcc_lo, s4
	s_wait_loadcnt 0x0
	v_subrev_nc_u32_e32 v26, s12, v22
	global_load_b128 v[22:25], v20, s[8:9] offset:16 scale_offset
	v_lshl_add_u32 v50, v26, 1, v26
	v_dual_add_nc_u32 v46, 2, v20 :: v_dual_add_nc_u32 v58, 4, v20
	global_load_b128 v[26:29], v20, s[8:9] scale_offset
	global_load_b128 v[30:33], v50, s[10:11] scale_offset
	v_add_nc_u32_e32 v47, 1, v50
	global_load_b128 v[34:37], v46, s[8:9] offset:16 scale_offset
	v_add_nc_u32_e32 v59, 2, v50
	s_wait_xcnt 0x2
	v_add_nc_u32_e32 v20, 0xc0, v20
	global_load_b128 v[38:41], v46, s[8:9] scale_offset
	global_load_b128 v[42:45], v47, s[10:11] scale_offset
	s_clause 0x1
	global_load_b128 v[46:49], v58, s[8:9] offset:16 scale_offset
	global_load_b128 v[50:53], v58, s[8:9] scale_offset
	global_load_b128 v[54:57], v59, s[10:11] scale_offset
	s_wait_loadcnt 0x6
	v_fmac_f64_e32 v[14:15], v[26:27], v[30:31]
	v_fmac_f64_e32 v[0:1], v[28:29], v[30:31]
	;; [unrolled: 1-line block ×4, first 2 shown]
	s_delay_alu instid0(VALU_DEP_4) | instskip(NEXT) | instid1(VALU_DEP_4)
	v_fma_f64 v[14:15], -v[28:29], v[32:33], v[14:15]
	v_fmac_f64_e32 v[0:1], v[26:27], v[32:33]
	s_delay_alu instid0(VALU_DEP_4) | instskip(NEXT) | instid1(VALU_DEP_4)
	v_fma_f64 v[16:17], -v[24:25], v[32:33], v[16:17]
	v_fmac_f64_e32 v[12:13], v[22:23], v[32:33]
	s_wait_loadcnt 0x3
	s_delay_alu instid0(VALU_DEP_4) | instskip(NEXT) | instid1(VALU_DEP_4)
	v_fmac_f64_e32 v[14:15], v[38:39], v[42:43]
	v_fmac_f64_e32 v[0:1], v[40:41], v[42:43]
	s_delay_alu instid0(VALU_DEP_4) | instskip(NEXT) | instid1(VALU_DEP_4)
	v_fmac_f64_e32 v[16:17], v[34:35], v[42:43]
	v_fmac_f64_e32 v[12:13], v[36:37], v[42:43]
	s_delay_alu instid0(VALU_DEP_4) | instskip(NEXT) | instid1(VALU_DEP_4)
	v_fma_f64 v[14:15], -v[40:41], v[44:45], v[14:15]
	v_fmac_f64_e32 v[0:1], v[38:39], v[44:45]
	s_delay_alu instid0(VALU_DEP_4) | instskip(NEXT) | instid1(VALU_DEP_4)
	v_fma_f64 v[16:17], -v[36:37], v[44:45], v[16:17]
	v_fmac_f64_e32 v[12:13], v[34:35], v[44:45]
	s_wait_loadcnt 0x0
	s_delay_alu instid0(VALU_DEP_4) | instskip(NEXT) | instid1(VALU_DEP_4)
	v_fmac_f64_e32 v[14:15], v[50:51], v[54:55]
	v_fmac_f64_e32 v[0:1], v[52:53], v[54:55]
	s_delay_alu instid0(VALU_DEP_4) | instskip(NEXT) | instid1(VALU_DEP_4)
	v_fmac_f64_e32 v[16:17], v[46:47], v[54:55]
	v_fmac_f64_e32 v[12:13], v[48:49], v[54:55]
	s_delay_alu instid0(VALU_DEP_4) | instskip(NEXT) | instid1(VALU_DEP_4)
	v_fma_f64 v[14:15], -v[52:53], v[56:57], v[14:15]
	v_fmac_f64_e32 v[0:1], v[50:51], v[56:57]
	s_delay_alu instid0(VALU_DEP_4) | instskip(NEXT) | instid1(VALU_DEP_4)
	v_fma_f64 v[16:17], -v[48:49], v[56:57], v[16:17]
	v_fmac_f64_e32 v[12:13], v[46:47], v[56:57]
	s_and_not1_b32 exec_lo, exec_lo, s4
	s_cbranch_execnz .LBB236_7
; %bb.8:
	s_or_b32 exec_lo, exec_lo, s4
.LBB236_9:
	s_delay_alu instid0(SALU_CYCLE_1)
	s_or_b32 exec_lo, exec_lo, s3
	s_cbranch_execz .LBB236_11
	s_branch .LBB236_16
.LBB236_10:
                                        ; implicit-def: $vgpr0_vgpr1
                                        ; implicit-def: $vgpr14_vgpr15
                                        ; implicit-def: $vgpr16_vgpr17
                                        ; implicit-def: $vgpr12_vgpr13
.LBB236_11:
	v_mov_b64_e32 v[0:1], 0
	v_mov_b64_e32 v[14:15], 0
	;; [unrolled: 1-line block ×4, first 2 shown]
	s_and_saveexec_b32 s3, s2
	s_cbranch_execz .LBB236_15
; %bb.12:
	v_mad_u32 v20, v19, 6, 5
	v_mov_b64_e32 v[0:1], 0
	v_mov_b64_e32 v[14:15], 0
	;; [unrolled: 1-line block ×4, first 2 shown]
	s_mov_b32 s2, 0
.LBB236_13:                             ; =>This Inner Loop Header: Depth=1
	global_load_b32 v21, v19, s[6:7] scale_offset
	v_dual_add_nc_u32 v26, -5, v20 :: v_dual_add_nc_u32 v38, -2, v20
	s_wait_xcnt 0x0
	v_add_nc_u32_e32 v19, 32, v19
	s_clause 0x1
	global_load_b128 v[22:25], v26, s[8:9] offset:16 scale_offset
	global_load_b128 v[26:29], v26, s[8:9] scale_offset
	v_cmp_ge_i32_e32 vcc_lo, v19, v18
	s_or_b32 s2, vcc_lo, s2
	s_wait_loadcnt 0x2
	v_subrev_nc_u32_e32 v21, s12, v21
	s_delay_alu instid0(VALU_DEP_1)
	v_lshl_add_u32 v21, v21, 1, v21
	global_load_b128 v[30:33], v38, s[8:9] scale_offset
	global_load_b128 v[34:37], v21, s[10:11] scale_offset
	v_dual_add_nc_u32 v46, -1, v20 :: v_dual_add_nc_u32 v47, 1, v21
	global_load_b128 v[38:41], v46, s[8:9] scale_offset
	global_load_b128 v[42:45], v47, s[10:11] scale_offset
	s_wait_xcnt 0x2
	v_dual_add_nc_u32 v58, -3, v20 :: v_dual_add_nc_u32 v21, 2, v21
	s_clause 0x1
	global_load_b128 v[46:49], v20, s[8:9] scale_offset
	global_load_b128 v[50:53], v58, s[8:9] scale_offset
	;; [unrolled: 1-line block ×3, first 2 shown]
	s_wait_xcnt 0x2
	v_add_nc_u32_e32 v20, 0xc0, v20
	s_wait_loadcnt 0x5
	v_fmac_f64_e32 v[14:15], v[26:27], v[34:35]
	v_fmac_f64_e32 v[0:1], v[28:29], v[34:35]
	;; [unrolled: 1-line block ×4, first 2 shown]
	s_delay_alu instid0(VALU_DEP_4) | instskip(NEXT) | instid1(VALU_DEP_4)
	v_fma_f64 v[14:15], -v[28:29], v[36:37], v[14:15]
	v_fmac_f64_e32 v[0:1], v[26:27], v[36:37]
	s_delay_alu instid0(VALU_DEP_4) | instskip(NEXT) | instid1(VALU_DEP_4)
	v_fma_f64 v[16:17], -v[32:33], v[36:37], v[16:17]
	v_fmac_f64_e32 v[12:13], v[30:31], v[36:37]
	s_wait_loadcnt 0x3
	s_delay_alu instid0(VALU_DEP_4) | instskip(NEXT) | instid1(VALU_DEP_4)
	v_fmac_f64_e32 v[14:15], v[22:23], v[42:43]
	v_fmac_f64_e32 v[0:1], v[24:25], v[42:43]
	s_delay_alu instid0(VALU_DEP_4) | instskip(NEXT) | instid1(VALU_DEP_4)
	v_fmac_f64_e32 v[16:17], v[38:39], v[42:43]
	v_fmac_f64_e32 v[12:13], v[40:41], v[42:43]
	s_delay_alu instid0(VALU_DEP_4) | instskip(NEXT) | instid1(VALU_DEP_4)
	v_fma_f64 v[14:15], -v[24:25], v[44:45], v[14:15]
	v_fmac_f64_e32 v[0:1], v[22:23], v[44:45]
	s_delay_alu instid0(VALU_DEP_4) | instskip(NEXT) | instid1(VALU_DEP_4)
	v_fma_f64 v[16:17], -v[40:41], v[44:45], v[16:17]
	v_fmac_f64_e32 v[12:13], v[38:39], v[44:45]
	s_wait_loadcnt 0x0
	s_delay_alu instid0(VALU_DEP_4) | instskip(NEXT) | instid1(VALU_DEP_4)
	v_fmac_f64_e32 v[14:15], v[50:51], v[54:55]
	v_fmac_f64_e32 v[0:1], v[52:53], v[54:55]
	s_delay_alu instid0(VALU_DEP_4) | instskip(NEXT) | instid1(VALU_DEP_4)
	v_fmac_f64_e32 v[16:17], v[46:47], v[54:55]
	v_fmac_f64_e32 v[12:13], v[48:49], v[54:55]
	s_delay_alu instid0(VALU_DEP_4) | instskip(NEXT) | instid1(VALU_DEP_4)
	v_fma_f64 v[14:15], -v[52:53], v[56:57], v[14:15]
	v_fmac_f64_e32 v[0:1], v[50:51], v[56:57]
	s_delay_alu instid0(VALU_DEP_4) | instskip(NEXT) | instid1(VALU_DEP_4)
	v_fma_f64 v[16:17], -v[48:49], v[56:57], v[16:17]
	v_fmac_f64_e32 v[12:13], v[46:47], v[56:57]
	s_and_not1_b32 exec_lo, exec_lo, s2
	s_cbranch_execnz .LBB236_13
; %bb.14:
	s_or_b32 exec_lo, exec_lo, s2
.LBB236_15:
	s_delay_alu instid0(SALU_CYCLE_1)
	s_or_b32 exec_lo, exec_lo, s3
.LBB236_16:
	v_mbcnt_lo_u32_b32 v28, -1, 0
	s_delay_alu instid0(VALU_DEP_1) | instskip(NEXT) | instid1(VALU_DEP_1)
	v_xor_b32_e32 v18, 16, v28
	v_cmp_gt_i32_e32 vcc_lo, 32, v18
	v_cndmask_b32_e32 v18, v28, v18, vcc_lo
	s_delay_alu instid0(VALU_DEP_1)
	v_lshlrev_b32_e32 v25, 2, v18
	ds_bpermute_b32 v20, v25, v0
	ds_bpermute_b32 v21, v25, v1
	s_wait_dscnt 0x0
	v_add_f64_e32 v[0:1], v[0:1], v[20:21]
	ds_bpermute_b32 v18, v25, v14
	ds_bpermute_b32 v19, v25, v15
	;; [unrolled: 1-line block ×6, first 2 shown]
	s_wait_dscnt 0x4
	v_dual_add_f64 v[14:15], v[14:15], v[18:19] :: v_dual_bitop2_b32 v18, 8, v28 bitop3:0x14
	s_wait_dscnt 0x2
	v_add_f64_e32 v[16:17], v[16:17], v[22:23]
	s_delay_alu instid0(VALU_DEP_2) | instskip(SKIP_2) | instid1(VALU_DEP_1)
	v_cmp_gt_i32_e32 vcc_lo, 32, v18
	v_cndmask_b32_e32 v18, v28, v18, vcc_lo
	s_wait_dscnt 0x0
	v_dual_add_f64 v[12:13], v[12:13], v[24:25] :: v_dual_lshlrev_b32 v25, 2, v18
	ds_bpermute_b32 v20, v25, v0
	ds_bpermute_b32 v21, v25, v1
	;; [unrolled: 1-line block ×8, first 2 shown]
	s_wait_dscnt 0x4
	v_dual_add_f64 v[14:15], v[14:15], v[18:19] :: v_dual_bitop2_b32 v18, 4, v28 bitop3:0x14
	s_wait_dscnt 0x2
	v_add_f64_e32 v[16:17], v[16:17], v[22:23]
	s_delay_alu instid0(VALU_DEP_2) | instskip(SKIP_3) | instid1(VALU_DEP_2)
	v_cmp_gt_i32_e32 vcc_lo, 32, v18
	v_cndmask_b32_e32 v18, v28, v18, vcc_lo
	v_add_f64_e32 v[0:1], v[0:1], v[20:21]
	s_wait_dscnt 0x0
	v_dual_add_f64 v[12:13], v[12:13], v[24:25] :: v_dual_lshlrev_b32 v25, 2, v18
	ds_bpermute_b32 v18, v25, v14
	ds_bpermute_b32 v19, v25, v15
	;; [unrolled: 1-line block ×8, first 2 shown]
	s_wait_dscnt 0x6
	v_add_f64_e32 v[14:15], v[14:15], v[18:19]
	s_wait_dscnt 0x2
	v_add_f64_e32 v[18:19], v[0:1], v[20:21]
	v_add_f64_e32 v[20:21], v[16:17], v[22:23]
	s_wait_dscnt 0x0
	v_add_f64_e32 v[22:23], v[12:13], v[24:25]
	v_xor_b32_e32 v0, 2, v28
	s_delay_alu instid0(VALU_DEP_1) | instskip(SKIP_1) | instid1(VALU_DEP_1)
	v_cmp_gt_i32_e32 vcc_lo, 32, v0
	v_cndmask_b32_e32 v0, v28, v0, vcc_lo
	v_lshlrev_b32_e32 v16, 2, v0
	ds_bpermute_b32 v0, v16, v14
	ds_bpermute_b32 v1, v16, v15
	;; [unrolled: 1-line block ×8, first 2 shown]
	s_wait_dscnt 0x4
	v_add_f64_e32 v[16:17], v[18:19], v[12:13]
	v_xor_b32_e32 v18, 1, v28
	s_wait_dscnt 0x2
	v_add_f64_e32 v[12:13], v[20:21], v[24:25]
	s_delay_alu instid0(VALU_DEP_2)
	v_cmp_gt_i32_e32 vcc_lo, 32, v18
	v_add_f64_e32 v[0:1], v[14:15], v[0:1]
	s_wait_dscnt 0x0
	v_add_f64_e32 v[14:15], v[22:23], v[26:27]
	v_cndmask_b32_e32 v18, v28, v18, vcc_lo
	v_cmp_eq_u32_e32 vcc_lo, 31, v11
	s_delay_alu instid0(VALU_DEP_2)
	v_lshlrev_b32_e32 v21, 2, v18
	ds_bpermute_b32 v22, v21, v16
	ds_bpermute_b32 v23, v21, v17
	;; [unrolled: 1-line block ×8, first 2 shown]
	s_and_b32 exec_lo, exec_lo, vcc_lo
	s_cbranch_execz .LBB236_21
; %bb.17:
	v_cmp_eq_f64_e32 vcc_lo, 0, v[6:7]
	v_cmp_eq_f64_e64 s2, 0, v[8:9]
	s_wait_dscnt 0x2
	v_add_f64_e32 v[0:1], v[0:1], v[24:25]
	v_add_f64_e32 v[16:17], v[16:17], v[22:23]
	;; [unrolled: 1-line block ×3, first 2 shown]
	s_wait_dscnt 0x0
	v_add_f64_e32 v[14:15], v[14:15], v[20:21]
	s_load_b64 s[0:1], s[0:1], 0x48
	s_and_b32 s2, vcc_lo, s2
	s_delay_alu instid0(SALU_CYCLE_1) | instskip(NEXT) | instid1(SALU_CYCLE_1)
	s_and_saveexec_b32 s3, s2
	s_xor_b32 s2, exec_lo, s3
	s_cbranch_execz .LBB236_19
; %bb.18:
	s_delay_alu instid0(VALU_DEP_3) | instskip(SKIP_1) | instid1(VALU_DEP_3)
	v_mul_f64_e64 v[6:7], v[16:17], -v[4:5]
	v_mul_f64_e32 v[8:9], v[2:3], v[16:17]
	v_mul_f64_e64 v[16:17], v[14:15], -v[4:5]
	v_mul_f64_e32 v[18:19], v[2:3], v[14:15]
                                        ; implicit-def: $vgpr14_vgpr15
	s_delay_alu instid0(VALU_DEP_4) | instskip(NEXT) | instid1(VALU_DEP_4)
	v_fmac_f64_e32 v[6:7], v[2:3], v[0:1]
	v_fmac_f64_e32 v[8:9], v[4:5], v[0:1]
	s_delay_alu instid0(VALU_DEP_4) | instskip(NEXT) | instid1(VALU_DEP_4)
	v_fmac_f64_e32 v[16:17], v[2:3], v[12:13]
	v_fmac_f64_e32 v[18:19], v[4:5], v[12:13]
	v_lshlrev_b32_e32 v0, 1, v10
                                        ; implicit-def: $vgpr10
                                        ; implicit-def: $vgpr12_vgpr13
                                        ; implicit-def: $vgpr4_vgpr5
	s_wait_kmcnt 0x0
	s_clause 0x1
	global_store_b128 v0, v[6:9], s[0:1] scale_offset
	global_store_b128 v0, v[16:19], s[0:1] offset:16 scale_offset
                                        ; implicit-def: $vgpr0_vgpr1
                                        ; implicit-def: $vgpr16_vgpr17
                                        ; implicit-def: $vgpr8_vgpr9
.LBB236_19:
	s_wait_xcnt 0x0
	s_and_not1_saveexec_b32 s2, s2
	s_cbranch_execz .LBB236_21
; %bb.20:
	s_delay_alu instid0(VALU_DEP_3) | instskip(SKIP_1) | instid1(VALU_DEP_3)
	v_dual_mul_f64 v[26:27], v[16:17], -v[4:5] :: v_dual_lshlrev_b32 v30, 1, v10
	v_mul_f64_e32 v[16:17], v[2:3], v[16:17]
	v_mul_f64_e64 v[28:29], v[14:15], -v[4:5]
	v_mul_f64_e32 v[10:11], v[2:3], v[14:15]
	s_wait_kmcnt 0x0
	s_clause 0x1
	global_load_b128 v[18:21], v30, s[0:1] scale_offset
	global_load_b128 v[22:25], v30, s[0:1] offset:16 scale_offset
	v_fmac_f64_e32 v[26:27], v[2:3], v[0:1]
	v_fmac_f64_e32 v[16:17], v[4:5], v[0:1]
	;; [unrolled: 1-line block ×4, first 2 shown]
	s_wait_loadcnt 0x1
	s_delay_alu instid0(VALU_DEP_4) | instskip(NEXT) | instid1(VALU_DEP_4)
	v_fmac_f64_e32 v[26:27], v[6:7], v[18:19]
	v_fmac_f64_e32 v[16:17], v[8:9], v[18:19]
	s_wait_loadcnt 0x0
	s_delay_alu instid0(VALU_DEP_4) | instskip(NEXT) | instid1(VALU_DEP_4)
	v_fmac_f64_e32 v[28:29], v[6:7], v[22:23]
	v_fmac_f64_e32 v[10:11], v[8:9], v[22:23]
	s_delay_alu instid0(VALU_DEP_4) | instskip(NEXT) | instid1(VALU_DEP_4)
	v_fma_f64 v[14:15], -v[8:9], v[20:21], v[26:27]
	v_fmac_f64_e32 v[16:17], v[6:7], v[20:21]
	s_delay_alu instid0(VALU_DEP_4) | instskip(NEXT) | instid1(VALU_DEP_4)
	v_fma_f64 v[8:9], -v[8:9], v[24:25], v[28:29]
	v_fmac_f64_e32 v[10:11], v[6:7], v[24:25]
	s_clause 0x1
	global_store_b128 v30, v[14:17], s[0:1] scale_offset
	global_store_b128 v30, v[8:11], s[0:1] offset:16 scale_offset
.LBB236_21:
	s_endpgm
	.section	.rodata,"a",@progbits
	.p2align	6, 0x0
	.amdhsa_kernel _ZN9rocsparseL19gebsrmvn_2xn_kernelILj128ELj3ELj32E21rocsparse_complex_numIdEEEvi20rocsparse_direction_NS_24const_host_device_scalarIT2_EEPKiS8_PKS5_SA_S6_PS5_21rocsparse_index_base_b
		.amdhsa_group_segment_fixed_size 0
		.amdhsa_private_segment_fixed_size 0
		.amdhsa_kernarg_size 88
		.amdhsa_user_sgpr_count 2
		.amdhsa_user_sgpr_dispatch_ptr 0
		.amdhsa_user_sgpr_queue_ptr 0
		.amdhsa_user_sgpr_kernarg_segment_ptr 1
		.amdhsa_user_sgpr_dispatch_id 0
		.amdhsa_user_sgpr_kernarg_preload_length 0
		.amdhsa_user_sgpr_kernarg_preload_offset 0
		.amdhsa_user_sgpr_private_segment_size 0
		.amdhsa_wavefront_size32 1
		.amdhsa_uses_dynamic_stack 0
		.amdhsa_enable_private_segment 0
		.amdhsa_system_sgpr_workgroup_id_x 1
		.amdhsa_system_sgpr_workgroup_id_y 0
		.amdhsa_system_sgpr_workgroup_id_z 0
		.amdhsa_system_sgpr_workgroup_info 0
		.amdhsa_system_vgpr_workitem_id 0
		.amdhsa_next_free_vgpr 60
		.amdhsa_next_free_sgpr 14
		.amdhsa_named_barrier_count 0
		.amdhsa_reserve_vcc 1
		.amdhsa_float_round_mode_32 0
		.amdhsa_float_round_mode_16_64 0
		.amdhsa_float_denorm_mode_32 3
		.amdhsa_float_denorm_mode_16_64 3
		.amdhsa_fp16_overflow 0
		.amdhsa_memory_ordered 1
		.amdhsa_forward_progress 1
		.amdhsa_inst_pref_size 17
		.amdhsa_round_robin_scheduling 0
		.amdhsa_exception_fp_ieee_invalid_op 0
		.amdhsa_exception_fp_denorm_src 0
		.amdhsa_exception_fp_ieee_div_zero 0
		.amdhsa_exception_fp_ieee_overflow 0
		.amdhsa_exception_fp_ieee_underflow 0
		.amdhsa_exception_fp_ieee_inexact 0
		.amdhsa_exception_int_div_zero 0
	.end_amdhsa_kernel
	.section	.text._ZN9rocsparseL19gebsrmvn_2xn_kernelILj128ELj3ELj32E21rocsparse_complex_numIdEEEvi20rocsparse_direction_NS_24const_host_device_scalarIT2_EEPKiS8_PKS5_SA_S6_PS5_21rocsparse_index_base_b,"axG",@progbits,_ZN9rocsparseL19gebsrmvn_2xn_kernelILj128ELj3ELj32E21rocsparse_complex_numIdEEEvi20rocsparse_direction_NS_24const_host_device_scalarIT2_EEPKiS8_PKS5_SA_S6_PS5_21rocsparse_index_base_b,comdat
.Lfunc_end236:
	.size	_ZN9rocsparseL19gebsrmvn_2xn_kernelILj128ELj3ELj32E21rocsparse_complex_numIdEEEvi20rocsparse_direction_NS_24const_host_device_scalarIT2_EEPKiS8_PKS5_SA_S6_PS5_21rocsparse_index_base_b, .Lfunc_end236-_ZN9rocsparseL19gebsrmvn_2xn_kernelILj128ELj3ELj32E21rocsparse_complex_numIdEEEvi20rocsparse_direction_NS_24const_host_device_scalarIT2_EEPKiS8_PKS5_SA_S6_PS5_21rocsparse_index_base_b
                                        ; -- End function
	.set _ZN9rocsparseL19gebsrmvn_2xn_kernelILj128ELj3ELj32E21rocsparse_complex_numIdEEEvi20rocsparse_direction_NS_24const_host_device_scalarIT2_EEPKiS8_PKS5_SA_S6_PS5_21rocsparse_index_base_b.num_vgpr, 60
	.set _ZN9rocsparseL19gebsrmvn_2xn_kernelILj128ELj3ELj32E21rocsparse_complex_numIdEEEvi20rocsparse_direction_NS_24const_host_device_scalarIT2_EEPKiS8_PKS5_SA_S6_PS5_21rocsparse_index_base_b.num_agpr, 0
	.set _ZN9rocsparseL19gebsrmvn_2xn_kernelILj128ELj3ELj32E21rocsparse_complex_numIdEEEvi20rocsparse_direction_NS_24const_host_device_scalarIT2_EEPKiS8_PKS5_SA_S6_PS5_21rocsparse_index_base_b.numbered_sgpr, 14
	.set _ZN9rocsparseL19gebsrmvn_2xn_kernelILj128ELj3ELj32E21rocsparse_complex_numIdEEEvi20rocsparse_direction_NS_24const_host_device_scalarIT2_EEPKiS8_PKS5_SA_S6_PS5_21rocsparse_index_base_b.num_named_barrier, 0
	.set _ZN9rocsparseL19gebsrmvn_2xn_kernelILj128ELj3ELj32E21rocsparse_complex_numIdEEEvi20rocsparse_direction_NS_24const_host_device_scalarIT2_EEPKiS8_PKS5_SA_S6_PS5_21rocsparse_index_base_b.private_seg_size, 0
	.set _ZN9rocsparseL19gebsrmvn_2xn_kernelILj128ELj3ELj32E21rocsparse_complex_numIdEEEvi20rocsparse_direction_NS_24const_host_device_scalarIT2_EEPKiS8_PKS5_SA_S6_PS5_21rocsparse_index_base_b.uses_vcc, 1
	.set _ZN9rocsparseL19gebsrmvn_2xn_kernelILj128ELj3ELj32E21rocsparse_complex_numIdEEEvi20rocsparse_direction_NS_24const_host_device_scalarIT2_EEPKiS8_PKS5_SA_S6_PS5_21rocsparse_index_base_b.uses_flat_scratch, 0
	.set _ZN9rocsparseL19gebsrmvn_2xn_kernelILj128ELj3ELj32E21rocsparse_complex_numIdEEEvi20rocsparse_direction_NS_24const_host_device_scalarIT2_EEPKiS8_PKS5_SA_S6_PS5_21rocsparse_index_base_b.has_dyn_sized_stack, 0
	.set _ZN9rocsparseL19gebsrmvn_2xn_kernelILj128ELj3ELj32E21rocsparse_complex_numIdEEEvi20rocsparse_direction_NS_24const_host_device_scalarIT2_EEPKiS8_PKS5_SA_S6_PS5_21rocsparse_index_base_b.has_recursion, 0
	.set _ZN9rocsparseL19gebsrmvn_2xn_kernelILj128ELj3ELj32E21rocsparse_complex_numIdEEEvi20rocsparse_direction_NS_24const_host_device_scalarIT2_EEPKiS8_PKS5_SA_S6_PS5_21rocsparse_index_base_b.has_indirect_call, 0
	.section	.AMDGPU.csdata,"",@progbits
; Kernel info:
; codeLenInByte = 2160
; TotalNumSgprs: 16
; NumVgprs: 60
; ScratchSize: 0
; MemoryBound: 0
; FloatMode: 240
; IeeeMode: 1
; LDSByteSize: 0 bytes/workgroup (compile time only)
; SGPRBlocks: 0
; VGPRBlocks: 3
; NumSGPRsForWavesPerEU: 16
; NumVGPRsForWavesPerEU: 60
; NamedBarCnt: 0
; Occupancy: 16
; WaveLimiterHint : 1
; COMPUTE_PGM_RSRC2:SCRATCH_EN: 0
; COMPUTE_PGM_RSRC2:USER_SGPR: 2
; COMPUTE_PGM_RSRC2:TRAP_HANDLER: 0
; COMPUTE_PGM_RSRC2:TGID_X_EN: 1
; COMPUTE_PGM_RSRC2:TGID_Y_EN: 0
; COMPUTE_PGM_RSRC2:TGID_Z_EN: 0
; COMPUTE_PGM_RSRC2:TIDIG_COMP_CNT: 0
	.section	.text._ZN9rocsparseL19gebsrmvn_2xn_kernelILj128ELj3ELj64E21rocsparse_complex_numIdEEEvi20rocsparse_direction_NS_24const_host_device_scalarIT2_EEPKiS8_PKS5_SA_S6_PS5_21rocsparse_index_base_b,"axG",@progbits,_ZN9rocsparseL19gebsrmvn_2xn_kernelILj128ELj3ELj64E21rocsparse_complex_numIdEEEvi20rocsparse_direction_NS_24const_host_device_scalarIT2_EEPKiS8_PKS5_SA_S6_PS5_21rocsparse_index_base_b,comdat
	.globl	_ZN9rocsparseL19gebsrmvn_2xn_kernelILj128ELj3ELj64E21rocsparse_complex_numIdEEEvi20rocsparse_direction_NS_24const_host_device_scalarIT2_EEPKiS8_PKS5_SA_S6_PS5_21rocsparse_index_base_b ; -- Begin function _ZN9rocsparseL19gebsrmvn_2xn_kernelILj128ELj3ELj64E21rocsparse_complex_numIdEEEvi20rocsparse_direction_NS_24const_host_device_scalarIT2_EEPKiS8_PKS5_SA_S6_PS5_21rocsparse_index_base_b
	.p2align	8
	.type	_ZN9rocsparseL19gebsrmvn_2xn_kernelILj128ELj3ELj64E21rocsparse_complex_numIdEEEvi20rocsparse_direction_NS_24const_host_device_scalarIT2_EEPKiS8_PKS5_SA_S6_PS5_21rocsparse_index_base_b,@function
_ZN9rocsparseL19gebsrmvn_2xn_kernelILj128ELj3ELj64E21rocsparse_complex_numIdEEEvi20rocsparse_direction_NS_24const_host_device_scalarIT2_EEPKiS8_PKS5_SA_S6_PS5_21rocsparse_index_base_b: ; @_ZN9rocsparseL19gebsrmvn_2xn_kernelILj128ELj3ELj64E21rocsparse_complex_numIdEEEvi20rocsparse_direction_NS_24const_host_device_scalarIT2_EEPKiS8_PKS5_SA_S6_PS5_21rocsparse_index_base_b
; %bb.0:
	s_clause 0x1
	s_load_b64 s[12:13], s[0:1], 0x50
	s_load_b64 s[2:3], s[0:1], 0x8
	v_mov_b32_e32 v1, 0
	s_add_nc_u64 s[4:5], s[0:1], 8
	s_load_b64 s[6:7], s[0:1], 0x38
	s_wait_kmcnt 0x0
	s_bitcmp1_b32 s13, 0
	s_cselect_b32 s3, s5, s3
	s_cselect_b32 s2, s4, s2
	flat_load_b128 v[2:5], v1, s[2:3]
	s_wait_xcnt 0x0
	s_add_nc_u64 s[2:3], s[0:1], 56
	s_delay_alu instid0(SALU_CYCLE_1)
	s_cselect_b32 s3, s3, s7
	s_cselect_b32 s2, s2, s6
	flat_load_b128 v[6:9], v1, s[2:3]
	s_wait_loadcnt_dscnt 0x101
	v_cmp_eq_f64_e32 vcc_lo, 0, v[2:3]
	s_wait_xcnt 0x0
	v_cmp_eq_f64_e64 s2, 0, v[4:5]
	s_and_b32 s4, vcc_lo, s2
	s_mov_b32 s2, -1
	s_and_saveexec_b32 s3, s4
	s_cbranch_execz .LBB237_2
; %bb.1:
	s_wait_loadcnt_dscnt 0x0
	v_cmp_neq_f64_e32 vcc_lo, 1.0, v[6:7]
	v_cmp_neq_f64_e64 s2, 0, v[8:9]
	s_or_b32 s2, vcc_lo, s2
	s_delay_alu instid0(SALU_CYCLE_1)
	s_or_not1_b32 s2, s2, exec_lo
.LBB237_2:
	s_or_b32 exec_lo, exec_lo, s3
	s_and_saveexec_b32 s3, s2
	s_cbranch_execz .LBB237_21
; %bb.3:
	s_load_b64 s[2:3], s[0:1], 0x0
	s_bfe_u32 s4, ttmp6, 0x4000c
	s_and_b32 s5, ttmp6, 15
	s_add_co_i32 s4, s4, 1
	s_getreg_b32 s6, hwreg(HW_REG_IB_STS2, 6, 4)
	s_mul_i32 s4, ttmp9, s4
	v_lshrrev_b32_e32 v1, 6, v0
	s_add_co_i32 s5, s5, s4
	s_cmp_eq_u32 s6, 0
	s_cselect_b32 s4, ttmp9, s5
	s_delay_alu instid0(VALU_DEP_1) | instid1(SALU_CYCLE_1)
	v_lshl_or_b32 v10, s4, 1, v1
	s_wait_kmcnt 0x0
	s_delay_alu instid0(VALU_DEP_1)
	v_cmp_gt_i32_e32 vcc_lo, s2, v10
	s_and_b32 exec_lo, exec_lo, vcc_lo
	s_cbranch_execz .LBB237_21
; %bb.4:
	s_load_b256 s[4:11], s[0:1], 0x18
	v_ashrrev_i32_e32 v11, 31, v10
	s_cmp_lg_u32 s3, 0
	s_wait_kmcnt 0x0
	s_delay_alu instid0(VALU_DEP_1)
	v_lshl_add_u64 v[12:13], v[10:11], 2, s[4:5]
	v_and_b32_e32 v11, 63, v0
	global_load_b64 v[12:13], v[12:13], off
	s_wait_loadcnt 0x0
	v_subrev_nc_u32_e32 v0, s12, v12
	v_subrev_nc_u32_e32 v18, s12, v13
	s_delay_alu instid0(VALU_DEP_2) | instskip(NEXT) | instid1(VALU_DEP_1)
	v_add_nc_u32_e32 v19, v0, v11
	v_cmp_lt_i32_e64 s2, v19, v18
	s_cbranch_scc0 .LBB237_10
; %bb.5:
	v_mov_b64_e32 v[0:1], 0
	v_mov_b64_e32 v[14:15], 0
	v_mov_b64_e32 v[16:17], 0
	v_mov_b64_e32 v[12:13], 0
	s_and_saveexec_b32 s3, s2
	s_cbranch_execz .LBB237_9
; %bb.6:
	v_mul_lo_u32 v20, v19, 6
	v_mov_b64_e32 v[0:1], 0
	v_mov_b64_e32 v[14:15], 0
	;; [unrolled: 1-line block ×4, first 2 shown]
	v_mov_b32_e32 v21, v19
	s_mov_b32 s4, 0
.LBB237_7:                              ; =>This Inner Loop Header: Depth=1
	global_load_b32 v22, v21, s[6:7] scale_offset
	s_wait_xcnt 0x0
	v_add_nc_u32_e32 v21, 64, v21
	s_delay_alu instid0(VALU_DEP_1)
	v_cmp_ge_i32_e32 vcc_lo, v21, v18
	s_or_b32 s4, vcc_lo, s4
	s_wait_loadcnt 0x0
	v_subrev_nc_u32_e32 v26, s12, v22
	global_load_b128 v[22:25], v20, s[8:9] offset:16 scale_offset
	v_lshl_add_u32 v50, v26, 1, v26
	v_dual_add_nc_u32 v46, 2, v20 :: v_dual_add_nc_u32 v58, 4, v20
	global_load_b128 v[26:29], v20, s[8:9] scale_offset
	global_load_b128 v[30:33], v50, s[10:11] scale_offset
	v_add_nc_u32_e32 v47, 1, v50
	global_load_b128 v[34:37], v46, s[8:9] offset:16 scale_offset
	v_add_nc_u32_e32 v59, 2, v50
	s_wait_xcnt 0x2
	v_add_nc_u32_e32 v20, 0x180, v20
	global_load_b128 v[38:41], v46, s[8:9] scale_offset
	global_load_b128 v[42:45], v47, s[10:11] scale_offset
	s_clause 0x1
	global_load_b128 v[46:49], v58, s[8:9] offset:16 scale_offset
	global_load_b128 v[50:53], v58, s[8:9] scale_offset
	global_load_b128 v[54:57], v59, s[10:11] scale_offset
	s_wait_loadcnt 0x6
	v_fmac_f64_e32 v[14:15], v[26:27], v[30:31]
	v_fmac_f64_e32 v[0:1], v[28:29], v[30:31]
	;; [unrolled: 1-line block ×4, first 2 shown]
	s_delay_alu instid0(VALU_DEP_4) | instskip(NEXT) | instid1(VALU_DEP_4)
	v_fma_f64 v[14:15], -v[28:29], v[32:33], v[14:15]
	v_fmac_f64_e32 v[0:1], v[26:27], v[32:33]
	s_delay_alu instid0(VALU_DEP_4) | instskip(NEXT) | instid1(VALU_DEP_4)
	v_fma_f64 v[16:17], -v[24:25], v[32:33], v[16:17]
	v_fmac_f64_e32 v[12:13], v[22:23], v[32:33]
	s_wait_loadcnt 0x3
	s_delay_alu instid0(VALU_DEP_4) | instskip(NEXT) | instid1(VALU_DEP_4)
	v_fmac_f64_e32 v[14:15], v[38:39], v[42:43]
	v_fmac_f64_e32 v[0:1], v[40:41], v[42:43]
	s_delay_alu instid0(VALU_DEP_4) | instskip(NEXT) | instid1(VALU_DEP_4)
	v_fmac_f64_e32 v[16:17], v[34:35], v[42:43]
	v_fmac_f64_e32 v[12:13], v[36:37], v[42:43]
	s_delay_alu instid0(VALU_DEP_4) | instskip(NEXT) | instid1(VALU_DEP_4)
	v_fma_f64 v[14:15], -v[40:41], v[44:45], v[14:15]
	v_fmac_f64_e32 v[0:1], v[38:39], v[44:45]
	s_delay_alu instid0(VALU_DEP_4) | instskip(NEXT) | instid1(VALU_DEP_4)
	v_fma_f64 v[16:17], -v[36:37], v[44:45], v[16:17]
	v_fmac_f64_e32 v[12:13], v[34:35], v[44:45]
	s_wait_loadcnt 0x0
	s_delay_alu instid0(VALU_DEP_4) | instskip(NEXT) | instid1(VALU_DEP_4)
	v_fmac_f64_e32 v[14:15], v[50:51], v[54:55]
	v_fmac_f64_e32 v[0:1], v[52:53], v[54:55]
	s_delay_alu instid0(VALU_DEP_4) | instskip(NEXT) | instid1(VALU_DEP_4)
	v_fmac_f64_e32 v[16:17], v[46:47], v[54:55]
	v_fmac_f64_e32 v[12:13], v[48:49], v[54:55]
	s_delay_alu instid0(VALU_DEP_4) | instskip(NEXT) | instid1(VALU_DEP_4)
	v_fma_f64 v[14:15], -v[52:53], v[56:57], v[14:15]
	v_fmac_f64_e32 v[0:1], v[50:51], v[56:57]
	s_delay_alu instid0(VALU_DEP_4) | instskip(NEXT) | instid1(VALU_DEP_4)
	v_fma_f64 v[16:17], -v[48:49], v[56:57], v[16:17]
	v_fmac_f64_e32 v[12:13], v[46:47], v[56:57]
	s_and_not1_b32 exec_lo, exec_lo, s4
	s_cbranch_execnz .LBB237_7
; %bb.8:
	s_or_b32 exec_lo, exec_lo, s4
.LBB237_9:
	s_delay_alu instid0(SALU_CYCLE_1)
	s_or_b32 exec_lo, exec_lo, s3
	s_cbranch_execz .LBB237_11
	s_branch .LBB237_16
.LBB237_10:
                                        ; implicit-def: $vgpr0_vgpr1
                                        ; implicit-def: $vgpr14_vgpr15
                                        ; implicit-def: $vgpr16_vgpr17
                                        ; implicit-def: $vgpr12_vgpr13
.LBB237_11:
	v_mov_b64_e32 v[0:1], 0
	v_mov_b64_e32 v[14:15], 0
	;; [unrolled: 1-line block ×4, first 2 shown]
	s_and_saveexec_b32 s3, s2
	s_cbranch_execz .LBB237_15
; %bb.12:
	v_mad_u32 v20, v19, 6, 5
	v_mov_b64_e32 v[0:1], 0
	v_mov_b64_e32 v[14:15], 0
	;; [unrolled: 1-line block ×4, first 2 shown]
	s_mov_b32 s2, 0
.LBB237_13:                             ; =>This Inner Loop Header: Depth=1
	global_load_b32 v21, v19, s[6:7] scale_offset
	v_dual_add_nc_u32 v26, -5, v20 :: v_dual_add_nc_u32 v38, -2, v20
	s_wait_xcnt 0x0
	v_add_nc_u32_e32 v19, 64, v19
	s_clause 0x1
	global_load_b128 v[22:25], v26, s[8:9] offset:16 scale_offset
	global_load_b128 v[26:29], v26, s[8:9] scale_offset
	v_cmp_ge_i32_e32 vcc_lo, v19, v18
	s_or_b32 s2, vcc_lo, s2
	s_wait_loadcnt 0x2
	v_subrev_nc_u32_e32 v21, s12, v21
	s_delay_alu instid0(VALU_DEP_1)
	v_lshl_add_u32 v21, v21, 1, v21
	global_load_b128 v[30:33], v38, s[8:9] scale_offset
	global_load_b128 v[34:37], v21, s[10:11] scale_offset
	v_dual_add_nc_u32 v46, -1, v20 :: v_dual_add_nc_u32 v47, 1, v21
	global_load_b128 v[38:41], v46, s[8:9] scale_offset
	global_load_b128 v[42:45], v47, s[10:11] scale_offset
	s_wait_xcnt 0x2
	v_dual_add_nc_u32 v58, -3, v20 :: v_dual_add_nc_u32 v21, 2, v21
	s_clause 0x1
	global_load_b128 v[46:49], v20, s[8:9] scale_offset
	global_load_b128 v[50:53], v58, s[8:9] scale_offset
	;; [unrolled: 1-line block ×3, first 2 shown]
	s_wait_xcnt 0x2
	v_add_nc_u32_e32 v20, 0x180, v20
	s_wait_loadcnt 0x5
	v_fmac_f64_e32 v[14:15], v[26:27], v[34:35]
	v_fmac_f64_e32 v[0:1], v[28:29], v[34:35]
	;; [unrolled: 1-line block ×4, first 2 shown]
	s_delay_alu instid0(VALU_DEP_4) | instskip(NEXT) | instid1(VALU_DEP_4)
	v_fma_f64 v[14:15], -v[28:29], v[36:37], v[14:15]
	v_fmac_f64_e32 v[0:1], v[26:27], v[36:37]
	s_delay_alu instid0(VALU_DEP_4) | instskip(NEXT) | instid1(VALU_DEP_4)
	v_fma_f64 v[16:17], -v[32:33], v[36:37], v[16:17]
	v_fmac_f64_e32 v[12:13], v[30:31], v[36:37]
	s_wait_loadcnt 0x3
	s_delay_alu instid0(VALU_DEP_4) | instskip(NEXT) | instid1(VALU_DEP_4)
	v_fmac_f64_e32 v[14:15], v[22:23], v[42:43]
	v_fmac_f64_e32 v[0:1], v[24:25], v[42:43]
	s_delay_alu instid0(VALU_DEP_4) | instskip(NEXT) | instid1(VALU_DEP_4)
	v_fmac_f64_e32 v[16:17], v[38:39], v[42:43]
	v_fmac_f64_e32 v[12:13], v[40:41], v[42:43]
	s_delay_alu instid0(VALU_DEP_4) | instskip(NEXT) | instid1(VALU_DEP_4)
	v_fma_f64 v[14:15], -v[24:25], v[44:45], v[14:15]
	v_fmac_f64_e32 v[0:1], v[22:23], v[44:45]
	s_delay_alu instid0(VALU_DEP_4) | instskip(NEXT) | instid1(VALU_DEP_4)
	v_fma_f64 v[16:17], -v[40:41], v[44:45], v[16:17]
	v_fmac_f64_e32 v[12:13], v[38:39], v[44:45]
	s_wait_loadcnt 0x0
	s_delay_alu instid0(VALU_DEP_4) | instskip(NEXT) | instid1(VALU_DEP_4)
	v_fmac_f64_e32 v[14:15], v[50:51], v[54:55]
	v_fmac_f64_e32 v[0:1], v[52:53], v[54:55]
	s_delay_alu instid0(VALU_DEP_4) | instskip(NEXT) | instid1(VALU_DEP_4)
	v_fmac_f64_e32 v[16:17], v[46:47], v[54:55]
	v_fmac_f64_e32 v[12:13], v[48:49], v[54:55]
	s_delay_alu instid0(VALU_DEP_4) | instskip(NEXT) | instid1(VALU_DEP_4)
	v_fma_f64 v[14:15], -v[52:53], v[56:57], v[14:15]
	v_fmac_f64_e32 v[0:1], v[50:51], v[56:57]
	s_delay_alu instid0(VALU_DEP_4) | instskip(NEXT) | instid1(VALU_DEP_4)
	v_fma_f64 v[16:17], -v[48:49], v[56:57], v[16:17]
	v_fmac_f64_e32 v[12:13], v[46:47], v[56:57]
	s_and_not1_b32 exec_lo, exec_lo, s2
	s_cbranch_execnz .LBB237_13
; %bb.14:
	s_or_b32 exec_lo, exec_lo, s2
.LBB237_15:
	s_delay_alu instid0(SALU_CYCLE_1)
	s_or_b32 exec_lo, exec_lo, s3
.LBB237_16:
	v_mbcnt_lo_u32_b32 v28, -1, 0
	s_delay_alu instid0(VALU_DEP_1) | instskip(NEXT) | instid1(VALU_DEP_1)
	v_or_b32_e32 v18, 32, v28
	v_cmp_gt_i32_e32 vcc_lo, 32, v18
	v_cndmask_b32_e32 v18, v28, v18, vcc_lo
	s_delay_alu instid0(VALU_DEP_1)
	v_lshlrev_b32_e32 v25, 2, v18
	ds_bpermute_b32 v20, v25, v0
	ds_bpermute_b32 v21, v25, v1
	s_wait_dscnt 0x0
	v_add_f64_e32 v[0:1], v[0:1], v[20:21]
	ds_bpermute_b32 v18, v25, v14
	ds_bpermute_b32 v19, v25, v15
	;; [unrolled: 1-line block ×6, first 2 shown]
	s_wait_dscnt 0x4
	v_dual_add_f64 v[14:15], v[14:15], v[18:19] :: v_dual_bitop2_b32 v18, 16, v28 bitop3:0x14
	s_wait_dscnt 0x2
	v_add_f64_e32 v[16:17], v[16:17], v[22:23]
	s_delay_alu instid0(VALU_DEP_2) | instskip(SKIP_2) | instid1(VALU_DEP_1)
	v_cmp_gt_i32_e32 vcc_lo, 32, v18
	v_cndmask_b32_e32 v18, v28, v18, vcc_lo
	s_wait_dscnt 0x0
	v_dual_add_f64 v[12:13], v[12:13], v[24:25] :: v_dual_lshlrev_b32 v25, 2, v18
	ds_bpermute_b32 v20, v25, v0
	ds_bpermute_b32 v21, v25, v1
	;; [unrolled: 1-line block ×8, first 2 shown]
	s_wait_dscnt 0x4
	v_dual_add_f64 v[14:15], v[14:15], v[18:19] :: v_dual_bitop2_b32 v18, 8, v28 bitop3:0x14
	s_wait_dscnt 0x2
	v_add_f64_e32 v[16:17], v[16:17], v[22:23]
	s_delay_alu instid0(VALU_DEP_2) | instskip(SKIP_3) | instid1(VALU_DEP_2)
	v_cmp_gt_i32_e32 vcc_lo, 32, v18
	v_cndmask_b32_e32 v18, v28, v18, vcc_lo
	v_add_f64_e32 v[0:1], v[0:1], v[20:21]
	s_wait_dscnt 0x0
	v_dual_add_f64 v[12:13], v[12:13], v[24:25] :: v_dual_lshlrev_b32 v25, 2, v18
	ds_bpermute_b32 v18, v25, v14
	ds_bpermute_b32 v19, v25, v15
	;; [unrolled: 1-line block ×5, first 2 shown]
	s_wait_dscnt 0x3
	v_dual_add_f64 v[14:15], v[14:15], v[18:19] :: v_dual_bitop2_b32 v18, 4, v28 bitop3:0x14
	ds_bpermute_b32 v22, v25, v16
	ds_bpermute_b32 v23, v25, v17
	;; [unrolled: 1-line block ×3, first 2 shown]
	v_cmp_gt_i32_e32 vcc_lo, 32, v18
	v_cndmask_b32_e32 v18, v28, v18, vcc_lo
	s_wait_dscnt 0x4
	v_add_f64_e32 v[0:1], v[0:1], v[20:21]
	s_wait_dscnt 0x1
	v_add_f64_e32 v[16:17], v[16:17], v[22:23]
	s_wait_dscnt 0x0
	v_dual_add_f64 v[12:13], v[12:13], v[24:25] :: v_dual_lshlrev_b32 v25, 2, v18
	ds_bpermute_b32 v18, v25, v14
	ds_bpermute_b32 v19, v25, v15
	;; [unrolled: 1-line block ×4, first 2 shown]
	s_wait_dscnt 0x2
	v_add_f64_e32 v[14:15], v[14:15], v[18:19]
	ds_bpermute_b32 v22, v25, v16
	ds_bpermute_b32 v23, v25, v17
	;; [unrolled: 1-line block ×4, first 2 shown]
	s_wait_dscnt 0x4
	v_add_f64_e32 v[18:19], v[0:1], v[20:21]
	v_xor_b32_e32 v0, 2, v28
	s_delay_alu instid0(VALU_DEP_1)
	v_cmp_gt_i32_e32 vcc_lo, 32, v0
	s_wait_dscnt 0x2
	v_add_f64_e32 v[20:21], v[16:17], v[22:23]
	v_cndmask_b32_e32 v0, v28, v0, vcc_lo
	s_wait_dscnt 0x0
	v_add_f64_e32 v[22:23], v[12:13], v[24:25]
	s_delay_alu instid0(VALU_DEP_2)
	v_lshlrev_b32_e32 v16, 2, v0
	ds_bpermute_b32 v0, v16, v14
	ds_bpermute_b32 v1, v16, v15
	;; [unrolled: 1-line block ×8, first 2 shown]
	s_wait_dscnt 0x6
	v_add_f64_e32 v[0:1], v[14:15], v[0:1]
	s_wait_dscnt 0x4
	v_add_f64_e32 v[16:17], v[18:19], v[12:13]
	v_xor_b32_e32 v18, 1, v28
	s_delay_alu instid0(VALU_DEP_1)
	v_cmp_gt_i32_e32 vcc_lo, 32, v18
	s_wait_dscnt 0x2
	v_add_f64_e32 v[12:13], v[20:21], v[24:25]
	v_cndmask_b32_e32 v18, v28, v18, vcc_lo
	s_wait_dscnt 0x0
	v_add_f64_e32 v[14:15], v[22:23], v[26:27]
	v_cmp_eq_u32_e32 vcc_lo, 63, v11
	s_delay_alu instid0(VALU_DEP_3)
	v_lshlrev_b32_e32 v21, 2, v18
	ds_bpermute_b32 v24, v21, v0
	ds_bpermute_b32 v25, v21, v1
	ds_bpermute_b32 v22, v21, v16
	ds_bpermute_b32 v23, v21, v17
	ds_bpermute_b32 v18, v21, v12
	ds_bpermute_b32 v19, v21, v13
	ds_bpermute_b32 v20, v21, v14
	ds_bpermute_b32 v21, v21, v15
	s_and_b32 exec_lo, exec_lo, vcc_lo
	s_cbranch_execz .LBB237_21
; %bb.17:
	v_cmp_eq_f64_e32 vcc_lo, 0, v[6:7]
	v_cmp_eq_f64_e64 s2, 0, v[8:9]
	s_wait_dscnt 0x6
	v_add_f64_e32 v[0:1], v[0:1], v[24:25]
	s_wait_dscnt 0x4
	v_add_f64_e32 v[16:17], v[16:17], v[22:23]
	;; [unrolled: 2-line block ×4, first 2 shown]
	s_load_b64 s[0:1], s[0:1], 0x48
	s_and_b32 s2, vcc_lo, s2
	s_delay_alu instid0(SALU_CYCLE_1) | instskip(NEXT) | instid1(SALU_CYCLE_1)
	s_and_saveexec_b32 s3, s2
	s_xor_b32 s2, exec_lo, s3
	s_cbranch_execz .LBB237_19
; %bb.18:
	s_delay_alu instid0(VALU_DEP_3) | instskip(SKIP_1) | instid1(VALU_DEP_3)
	v_mul_f64_e64 v[6:7], v[16:17], -v[4:5]
	v_mul_f64_e32 v[8:9], v[2:3], v[16:17]
	v_mul_f64_e64 v[16:17], v[14:15], -v[4:5]
	v_mul_f64_e32 v[18:19], v[2:3], v[14:15]
                                        ; implicit-def: $vgpr14_vgpr15
	s_delay_alu instid0(VALU_DEP_4) | instskip(NEXT) | instid1(VALU_DEP_4)
	v_fmac_f64_e32 v[6:7], v[2:3], v[0:1]
	v_fmac_f64_e32 v[8:9], v[4:5], v[0:1]
	s_delay_alu instid0(VALU_DEP_4) | instskip(NEXT) | instid1(VALU_DEP_4)
	v_fmac_f64_e32 v[16:17], v[2:3], v[12:13]
	v_fmac_f64_e32 v[18:19], v[4:5], v[12:13]
	v_lshlrev_b32_e32 v0, 1, v10
                                        ; implicit-def: $vgpr10
                                        ; implicit-def: $vgpr12_vgpr13
                                        ; implicit-def: $vgpr4_vgpr5
	s_wait_kmcnt 0x0
	s_clause 0x1
	global_store_b128 v0, v[6:9], s[0:1] scale_offset
	global_store_b128 v0, v[16:19], s[0:1] offset:16 scale_offset
                                        ; implicit-def: $vgpr0_vgpr1
                                        ; implicit-def: $vgpr16_vgpr17
                                        ; implicit-def: $vgpr8_vgpr9
.LBB237_19:
	s_wait_xcnt 0x0
	s_and_not1_saveexec_b32 s2, s2
	s_cbranch_execz .LBB237_21
; %bb.20:
	s_delay_alu instid0(VALU_DEP_3) | instskip(SKIP_1) | instid1(VALU_DEP_3)
	v_dual_mul_f64 v[26:27], v[16:17], -v[4:5] :: v_dual_lshlrev_b32 v30, 1, v10
	v_mul_f64_e32 v[16:17], v[2:3], v[16:17]
	v_mul_f64_e64 v[28:29], v[14:15], -v[4:5]
	v_mul_f64_e32 v[10:11], v[2:3], v[14:15]
	s_wait_kmcnt 0x0
	s_clause 0x1
	global_load_b128 v[18:21], v30, s[0:1] scale_offset
	global_load_b128 v[22:25], v30, s[0:1] offset:16 scale_offset
	v_fmac_f64_e32 v[26:27], v[2:3], v[0:1]
	v_fmac_f64_e32 v[16:17], v[4:5], v[0:1]
	;; [unrolled: 1-line block ×4, first 2 shown]
	s_wait_loadcnt 0x1
	s_delay_alu instid0(VALU_DEP_4) | instskip(NEXT) | instid1(VALU_DEP_4)
	v_fmac_f64_e32 v[26:27], v[6:7], v[18:19]
	v_fmac_f64_e32 v[16:17], v[8:9], v[18:19]
	s_wait_loadcnt 0x0
	s_delay_alu instid0(VALU_DEP_4) | instskip(NEXT) | instid1(VALU_DEP_4)
	v_fmac_f64_e32 v[28:29], v[6:7], v[22:23]
	v_fmac_f64_e32 v[10:11], v[8:9], v[22:23]
	s_delay_alu instid0(VALU_DEP_4) | instskip(NEXT) | instid1(VALU_DEP_4)
	v_fma_f64 v[14:15], -v[8:9], v[20:21], v[26:27]
	v_fmac_f64_e32 v[16:17], v[6:7], v[20:21]
	s_delay_alu instid0(VALU_DEP_4) | instskip(NEXT) | instid1(VALU_DEP_4)
	v_fma_f64 v[8:9], -v[8:9], v[24:25], v[28:29]
	v_fmac_f64_e32 v[10:11], v[6:7], v[24:25]
	s_clause 0x1
	global_store_b128 v30, v[14:17], s[0:1] scale_offset
	global_store_b128 v30, v[8:11], s[0:1] offset:16 scale_offset
.LBB237_21:
	s_endpgm
	.section	.rodata,"a",@progbits
	.p2align	6, 0x0
	.amdhsa_kernel _ZN9rocsparseL19gebsrmvn_2xn_kernelILj128ELj3ELj64E21rocsparse_complex_numIdEEEvi20rocsparse_direction_NS_24const_host_device_scalarIT2_EEPKiS8_PKS5_SA_S6_PS5_21rocsparse_index_base_b
		.amdhsa_group_segment_fixed_size 0
		.amdhsa_private_segment_fixed_size 0
		.amdhsa_kernarg_size 88
		.amdhsa_user_sgpr_count 2
		.amdhsa_user_sgpr_dispatch_ptr 0
		.amdhsa_user_sgpr_queue_ptr 0
		.amdhsa_user_sgpr_kernarg_segment_ptr 1
		.amdhsa_user_sgpr_dispatch_id 0
		.amdhsa_user_sgpr_kernarg_preload_length 0
		.amdhsa_user_sgpr_kernarg_preload_offset 0
		.amdhsa_user_sgpr_private_segment_size 0
		.amdhsa_wavefront_size32 1
		.amdhsa_uses_dynamic_stack 0
		.amdhsa_enable_private_segment 0
		.amdhsa_system_sgpr_workgroup_id_x 1
		.amdhsa_system_sgpr_workgroup_id_y 0
		.amdhsa_system_sgpr_workgroup_id_z 0
		.amdhsa_system_sgpr_workgroup_info 0
		.amdhsa_system_vgpr_workitem_id 0
		.amdhsa_next_free_vgpr 60
		.amdhsa_next_free_sgpr 14
		.amdhsa_named_barrier_count 0
		.amdhsa_reserve_vcc 1
		.amdhsa_float_round_mode_32 0
		.amdhsa_float_round_mode_16_64 0
		.amdhsa_float_denorm_mode_32 3
		.amdhsa_float_denorm_mode_16_64 3
		.amdhsa_fp16_overflow 0
		.amdhsa_memory_ordered 1
		.amdhsa_forward_progress 1
		.amdhsa_inst_pref_size 18
		.amdhsa_round_robin_scheduling 0
		.amdhsa_exception_fp_ieee_invalid_op 0
		.amdhsa_exception_fp_denorm_src 0
		.amdhsa_exception_fp_ieee_div_zero 0
		.amdhsa_exception_fp_ieee_overflow 0
		.amdhsa_exception_fp_ieee_underflow 0
		.amdhsa_exception_fp_ieee_inexact 0
		.amdhsa_exception_int_div_zero 0
	.end_amdhsa_kernel
	.section	.text._ZN9rocsparseL19gebsrmvn_2xn_kernelILj128ELj3ELj64E21rocsparse_complex_numIdEEEvi20rocsparse_direction_NS_24const_host_device_scalarIT2_EEPKiS8_PKS5_SA_S6_PS5_21rocsparse_index_base_b,"axG",@progbits,_ZN9rocsparseL19gebsrmvn_2xn_kernelILj128ELj3ELj64E21rocsparse_complex_numIdEEEvi20rocsparse_direction_NS_24const_host_device_scalarIT2_EEPKiS8_PKS5_SA_S6_PS5_21rocsparse_index_base_b,comdat
.Lfunc_end237:
	.size	_ZN9rocsparseL19gebsrmvn_2xn_kernelILj128ELj3ELj64E21rocsparse_complex_numIdEEEvi20rocsparse_direction_NS_24const_host_device_scalarIT2_EEPKiS8_PKS5_SA_S6_PS5_21rocsparse_index_base_b, .Lfunc_end237-_ZN9rocsparseL19gebsrmvn_2xn_kernelILj128ELj3ELj64E21rocsparse_complex_numIdEEEvi20rocsparse_direction_NS_24const_host_device_scalarIT2_EEPKiS8_PKS5_SA_S6_PS5_21rocsparse_index_base_b
                                        ; -- End function
	.set _ZN9rocsparseL19gebsrmvn_2xn_kernelILj128ELj3ELj64E21rocsparse_complex_numIdEEEvi20rocsparse_direction_NS_24const_host_device_scalarIT2_EEPKiS8_PKS5_SA_S6_PS5_21rocsparse_index_base_b.num_vgpr, 60
	.set _ZN9rocsparseL19gebsrmvn_2xn_kernelILj128ELj3ELj64E21rocsparse_complex_numIdEEEvi20rocsparse_direction_NS_24const_host_device_scalarIT2_EEPKiS8_PKS5_SA_S6_PS5_21rocsparse_index_base_b.num_agpr, 0
	.set _ZN9rocsparseL19gebsrmvn_2xn_kernelILj128ELj3ELj64E21rocsparse_complex_numIdEEEvi20rocsparse_direction_NS_24const_host_device_scalarIT2_EEPKiS8_PKS5_SA_S6_PS5_21rocsparse_index_base_b.numbered_sgpr, 14
	.set _ZN9rocsparseL19gebsrmvn_2xn_kernelILj128ELj3ELj64E21rocsparse_complex_numIdEEEvi20rocsparse_direction_NS_24const_host_device_scalarIT2_EEPKiS8_PKS5_SA_S6_PS5_21rocsparse_index_base_b.num_named_barrier, 0
	.set _ZN9rocsparseL19gebsrmvn_2xn_kernelILj128ELj3ELj64E21rocsparse_complex_numIdEEEvi20rocsparse_direction_NS_24const_host_device_scalarIT2_EEPKiS8_PKS5_SA_S6_PS5_21rocsparse_index_base_b.private_seg_size, 0
	.set _ZN9rocsparseL19gebsrmvn_2xn_kernelILj128ELj3ELj64E21rocsparse_complex_numIdEEEvi20rocsparse_direction_NS_24const_host_device_scalarIT2_EEPKiS8_PKS5_SA_S6_PS5_21rocsparse_index_base_b.uses_vcc, 1
	.set _ZN9rocsparseL19gebsrmvn_2xn_kernelILj128ELj3ELj64E21rocsparse_complex_numIdEEEvi20rocsparse_direction_NS_24const_host_device_scalarIT2_EEPKiS8_PKS5_SA_S6_PS5_21rocsparse_index_base_b.uses_flat_scratch, 0
	.set _ZN9rocsparseL19gebsrmvn_2xn_kernelILj128ELj3ELj64E21rocsparse_complex_numIdEEEvi20rocsparse_direction_NS_24const_host_device_scalarIT2_EEPKiS8_PKS5_SA_S6_PS5_21rocsparse_index_base_b.has_dyn_sized_stack, 0
	.set _ZN9rocsparseL19gebsrmvn_2xn_kernelILj128ELj3ELj64E21rocsparse_complex_numIdEEEvi20rocsparse_direction_NS_24const_host_device_scalarIT2_EEPKiS8_PKS5_SA_S6_PS5_21rocsparse_index_base_b.has_recursion, 0
	.set _ZN9rocsparseL19gebsrmvn_2xn_kernelILj128ELj3ELj64E21rocsparse_complex_numIdEEEvi20rocsparse_direction_NS_24const_host_device_scalarIT2_EEPKiS8_PKS5_SA_S6_PS5_21rocsparse_index_base_b.has_indirect_call, 0
	.section	.AMDGPU.csdata,"",@progbits
; Kernel info:
; codeLenInByte = 2300
; TotalNumSgprs: 16
; NumVgprs: 60
; ScratchSize: 0
; MemoryBound: 0
; FloatMode: 240
; IeeeMode: 1
; LDSByteSize: 0 bytes/workgroup (compile time only)
; SGPRBlocks: 0
; VGPRBlocks: 3
; NumSGPRsForWavesPerEU: 16
; NumVGPRsForWavesPerEU: 60
; NamedBarCnt: 0
; Occupancy: 16
; WaveLimiterHint : 1
; COMPUTE_PGM_RSRC2:SCRATCH_EN: 0
; COMPUTE_PGM_RSRC2:USER_SGPR: 2
; COMPUTE_PGM_RSRC2:TRAP_HANDLER: 0
; COMPUTE_PGM_RSRC2:TGID_X_EN: 1
; COMPUTE_PGM_RSRC2:TGID_Y_EN: 0
; COMPUTE_PGM_RSRC2:TGID_Z_EN: 0
; COMPUTE_PGM_RSRC2:TIDIG_COMP_CNT: 0
	.section	.text._ZN9rocsparseL19gebsrmvn_2xn_kernelILj128ELj4ELj4E21rocsparse_complex_numIdEEEvi20rocsparse_direction_NS_24const_host_device_scalarIT2_EEPKiS8_PKS5_SA_S6_PS5_21rocsparse_index_base_b,"axG",@progbits,_ZN9rocsparseL19gebsrmvn_2xn_kernelILj128ELj4ELj4E21rocsparse_complex_numIdEEEvi20rocsparse_direction_NS_24const_host_device_scalarIT2_EEPKiS8_PKS5_SA_S6_PS5_21rocsparse_index_base_b,comdat
	.globl	_ZN9rocsparseL19gebsrmvn_2xn_kernelILj128ELj4ELj4E21rocsparse_complex_numIdEEEvi20rocsparse_direction_NS_24const_host_device_scalarIT2_EEPKiS8_PKS5_SA_S6_PS5_21rocsparse_index_base_b ; -- Begin function _ZN9rocsparseL19gebsrmvn_2xn_kernelILj128ELj4ELj4E21rocsparse_complex_numIdEEEvi20rocsparse_direction_NS_24const_host_device_scalarIT2_EEPKiS8_PKS5_SA_S6_PS5_21rocsparse_index_base_b
	.p2align	8
	.type	_ZN9rocsparseL19gebsrmvn_2xn_kernelILj128ELj4ELj4E21rocsparse_complex_numIdEEEvi20rocsparse_direction_NS_24const_host_device_scalarIT2_EEPKiS8_PKS5_SA_S6_PS5_21rocsparse_index_base_b,@function
_ZN9rocsparseL19gebsrmvn_2xn_kernelILj128ELj4ELj4E21rocsparse_complex_numIdEEEvi20rocsparse_direction_NS_24const_host_device_scalarIT2_EEPKiS8_PKS5_SA_S6_PS5_21rocsparse_index_base_b: ; @_ZN9rocsparseL19gebsrmvn_2xn_kernelILj128ELj4ELj4E21rocsparse_complex_numIdEEEvi20rocsparse_direction_NS_24const_host_device_scalarIT2_EEPKiS8_PKS5_SA_S6_PS5_21rocsparse_index_base_b
; %bb.0:
	s_clause 0x1
	s_load_b64 s[12:13], s[0:1], 0x50
	s_load_b64 s[2:3], s[0:1], 0x8
	v_mov_b32_e32 v1, 0
	s_add_nc_u64 s[4:5], s[0:1], 8
	s_load_b64 s[6:7], s[0:1], 0x38
	s_wait_kmcnt 0x0
	s_bitcmp1_b32 s13, 0
	s_cselect_b32 s3, s5, s3
	s_cselect_b32 s2, s4, s2
	flat_load_b128 v[2:5], v1, s[2:3]
	s_wait_xcnt 0x0
	s_add_nc_u64 s[2:3], s[0:1], 56
	s_delay_alu instid0(SALU_CYCLE_1)
	s_cselect_b32 s3, s3, s7
	s_cselect_b32 s2, s2, s6
	flat_load_b128 v[6:9], v1, s[2:3]
	s_wait_loadcnt_dscnt 0x101
	v_cmp_eq_f64_e32 vcc_lo, 0, v[2:3]
	s_wait_xcnt 0x0
	v_cmp_eq_f64_e64 s2, 0, v[4:5]
	s_and_b32 s4, vcc_lo, s2
	s_mov_b32 s2, -1
	s_and_saveexec_b32 s3, s4
	s_cbranch_execz .LBB238_2
; %bb.1:
	s_wait_loadcnt_dscnt 0x0
	v_cmp_neq_f64_e32 vcc_lo, 1.0, v[6:7]
	v_cmp_neq_f64_e64 s2, 0, v[8:9]
	s_or_b32 s2, vcc_lo, s2
	s_delay_alu instid0(SALU_CYCLE_1)
	s_or_not1_b32 s2, s2, exec_lo
.LBB238_2:
	s_or_b32 exec_lo, exec_lo, s3
	s_and_saveexec_b32 s3, s2
	s_cbranch_execz .LBB238_21
; %bb.3:
	s_load_b64 s[2:3], s[0:1], 0x0
	s_bfe_u32 s4, ttmp6, 0x4000c
	s_and_b32 s5, ttmp6, 15
	s_add_co_i32 s4, s4, 1
	s_getreg_b32 s6, hwreg(HW_REG_IB_STS2, 6, 4)
	s_mul_i32 s4, ttmp9, s4
	v_lshrrev_b32_e32 v1, 2, v0
	s_add_co_i32 s5, s5, s4
	s_cmp_eq_u32 s6, 0
	s_cselect_b32 s4, ttmp9, s5
	s_delay_alu instid0(VALU_DEP_1) | instid1(SALU_CYCLE_1)
	v_lshl_or_b32 v10, s4, 5, v1
	s_wait_kmcnt 0x0
	s_delay_alu instid0(VALU_DEP_1)
	v_cmp_gt_i32_e32 vcc_lo, s2, v10
	s_and_b32 exec_lo, exec_lo, vcc_lo
	s_cbranch_execz .LBB238_21
; %bb.4:
	s_load_b256 s[4:11], s[0:1], 0x18
	v_ashrrev_i32_e32 v11, 31, v10
	s_cmp_lg_u32 s3, 0
	s_wait_kmcnt 0x0
	s_delay_alu instid0(VALU_DEP_1)
	v_lshl_add_u64 v[12:13], v[10:11], 2, s[4:5]
	v_and_b32_e32 v11, 3, v0
	global_load_b64 v[12:13], v[12:13], off
	s_wait_loadcnt 0x0
	v_subrev_nc_u32_e32 v0, s12, v12
	v_subrev_nc_u32_e32 v18, s12, v13
	s_delay_alu instid0(VALU_DEP_2) | instskip(NEXT) | instid1(VALU_DEP_1)
	v_add_nc_u32_e32 v19, v0, v11
	v_cmp_lt_i32_e64 s2, v19, v18
	s_cbranch_scc0 .LBB238_10
; %bb.5:
	v_mov_b64_e32 v[0:1], 0
	v_mov_b64_e32 v[14:15], 0
	;; [unrolled: 1-line block ×4, first 2 shown]
	s_and_saveexec_b32 s3, s2
	s_cbranch_execz .LBB238_9
; %bb.6:
	v_mov_b64_e32 v[0:1], 0
	v_mov_b64_e32 v[14:15], 0
	;; [unrolled: 1-line block ×4, first 2 shown]
	v_dual_mov_b32 v21, v19 :: v_dual_lshlrev_b32 v20, 3, v19
	s_mov_b32 s4, 0
.LBB238_7:                              ; =>This Inner Loop Header: Depth=1
	global_load_b32 v22, v21, s[6:7] scale_offset
	s_wait_xcnt 0x0
	v_add_nc_u32_e32 v21, 4, v21
	s_wait_loadcnt 0x0
	v_subrev_nc_u32_e32 v26, s12, v22
	global_load_b128 v[22:25], v20, s[8:9] offset:16 scale_offset
	v_lshlrev_b32_e32 v70, 2, v26
	global_load_b128 v[26:29], v20, s[8:9] scale_offset
	s_clause 0x1
	global_load_b128 v[30:33], v70, s[10:11] scale_offset
	global_load_b128 v[34:37], v70, s[10:11] offset:16 scale_offset
	s_clause 0x3
	global_load_b128 v[38:41], v20, s[8:9] offset:32 scale_offset
	global_load_b128 v[42:45], v20, s[8:9] offset:48 scale_offset
	;; [unrolled: 1-line block ×4, first 2 shown]
	s_clause 0x1
	global_load_b128 v[54:57], v70, s[10:11] offset:32 scale_offset
	global_load_b128 v[58:61], v70, s[10:11] offset:48 scale_offset
	s_clause 0x1
	global_load_b128 v[62:65], v20, s[8:9] offset:96 scale_offset
	global_load_b128 v[66:69], v20, s[8:9] offset:112 scale_offset
	s_wait_xcnt 0x0
	v_add_nc_u32_e32 v20, 32, v20
	v_cmp_ge_i32_e32 vcc_lo, v21, v18
	s_or_b32 s4, vcc_lo, s4
	s_wait_loadcnt 0x9
	v_fmac_f64_e32 v[14:15], v[26:27], v[30:31]
	v_fmac_f64_e32 v[0:1], v[28:29], v[30:31]
	;; [unrolled: 1-line block ×4, first 2 shown]
	s_delay_alu instid0(VALU_DEP_4) | instskip(NEXT) | instid1(VALU_DEP_4)
	v_fma_f64 v[14:15], -v[28:29], v[32:33], v[14:15]
	v_fmac_f64_e32 v[0:1], v[26:27], v[32:33]
	s_delay_alu instid0(VALU_DEP_4) | instskip(NEXT) | instid1(VALU_DEP_4)
	v_fma_f64 v[16:17], -v[24:25], v[32:33], v[16:17]
	v_fmac_f64_e32 v[12:13], v[22:23], v[32:33]
	s_wait_loadcnt 0x7
	s_delay_alu instid0(VALU_DEP_4) | instskip(NEXT) | instid1(VALU_DEP_4)
	v_fmac_f64_e32 v[14:15], v[38:39], v[34:35]
	v_fmac_f64_e32 v[0:1], v[40:41], v[34:35]
	s_wait_loadcnt 0x6
	s_delay_alu instid0(VALU_DEP_4) | instskip(NEXT) | instid1(VALU_DEP_4)
	v_fmac_f64_e32 v[16:17], v[42:43], v[34:35]
	v_fmac_f64_e32 v[12:13], v[44:45], v[34:35]
	s_delay_alu instid0(VALU_DEP_4) | instskip(NEXT) | instid1(VALU_DEP_4)
	v_fma_f64 v[14:15], -v[40:41], v[36:37], v[14:15]
	v_fmac_f64_e32 v[0:1], v[38:39], v[36:37]
	s_delay_alu instid0(VALU_DEP_4) | instskip(NEXT) | instid1(VALU_DEP_4)
	v_fma_f64 v[16:17], -v[44:45], v[36:37], v[16:17]
	v_fmac_f64_e32 v[12:13], v[42:43], v[36:37]
	s_wait_loadcnt 0x3
	s_delay_alu instid0(VALU_DEP_4) | instskip(NEXT) | instid1(VALU_DEP_4)
	v_fmac_f64_e32 v[14:15], v[50:51], v[54:55]
	v_fmac_f64_e32 v[0:1], v[52:53], v[54:55]
	s_delay_alu instid0(VALU_DEP_4) | instskip(NEXT) | instid1(VALU_DEP_4)
	v_fmac_f64_e32 v[16:17], v[46:47], v[54:55]
	v_fmac_f64_e32 v[12:13], v[48:49], v[54:55]
	s_delay_alu instid0(VALU_DEP_4) | instskip(NEXT) | instid1(VALU_DEP_4)
	v_fma_f64 v[14:15], -v[52:53], v[56:57], v[14:15]
	v_fmac_f64_e32 v[0:1], v[50:51], v[56:57]
	s_delay_alu instid0(VALU_DEP_4) | instskip(NEXT) | instid1(VALU_DEP_4)
	v_fma_f64 v[16:17], -v[48:49], v[56:57], v[16:17]
	v_fmac_f64_e32 v[12:13], v[46:47], v[56:57]
	s_wait_loadcnt 0x1
	s_delay_alu instid0(VALU_DEP_4) | instskip(NEXT) | instid1(VALU_DEP_4)
	v_fmac_f64_e32 v[14:15], v[62:63], v[58:59]
	v_fmac_f64_e32 v[0:1], v[64:65], v[58:59]
	s_wait_loadcnt 0x0
	s_delay_alu instid0(VALU_DEP_4) | instskip(NEXT) | instid1(VALU_DEP_4)
	v_fmac_f64_e32 v[16:17], v[66:67], v[58:59]
	v_fmac_f64_e32 v[12:13], v[68:69], v[58:59]
	s_delay_alu instid0(VALU_DEP_4) | instskip(NEXT) | instid1(VALU_DEP_4)
	v_fma_f64 v[14:15], -v[64:65], v[60:61], v[14:15]
	v_fmac_f64_e32 v[0:1], v[62:63], v[60:61]
	s_delay_alu instid0(VALU_DEP_4) | instskip(NEXT) | instid1(VALU_DEP_4)
	v_fma_f64 v[16:17], -v[68:69], v[60:61], v[16:17]
	v_fmac_f64_e32 v[12:13], v[66:67], v[60:61]
	s_and_not1_b32 exec_lo, exec_lo, s4
	s_cbranch_execnz .LBB238_7
; %bb.8:
	s_or_b32 exec_lo, exec_lo, s4
.LBB238_9:
	s_delay_alu instid0(SALU_CYCLE_1)
	s_or_b32 exec_lo, exec_lo, s3
	s_cbranch_execz .LBB238_11
	s_branch .LBB238_16
.LBB238_10:
                                        ; implicit-def: $vgpr0_vgpr1
                                        ; implicit-def: $vgpr14_vgpr15
                                        ; implicit-def: $vgpr16_vgpr17
                                        ; implicit-def: $vgpr12_vgpr13
.LBB238_11:
	v_mov_b64_e32 v[0:1], 0
	v_mov_b64_e32 v[14:15], 0
	;; [unrolled: 1-line block ×4, first 2 shown]
	s_and_saveexec_b32 s3, s2
	s_cbranch_execz .LBB238_15
; %bb.12:
	v_mov_b64_e32 v[0:1], 0
	v_mov_b64_e32 v[14:15], 0
	;; [unrolled: 1-line block ×4, first 2 shown]
	v_lshlrev_b32_e32 v20, 3, v19
	s_mov_b32 s2, 0
.LBB238_13:                             ; =>This Inner Loop Header: Depth=1
	global_load_b32 v21, v19, s[6:7] scale_offset
	s_clause 0x2
	global_load_b128 v[22:25], v20, s[8:9] offset:16 scale_offset
	global_load_b128 v[26:29], v20, s[8:9] scale_offset
	global_load_b128 v[30:33], v20, s[8:9] offset:80 scale_offset
	s_wait_xcnt 0x3
	v_add_nc_u32_e32 v19, 4, v19
	s_delay_alu instid0(VALU_DEP_1) | instskip(SKIP_3) | instid1(VALU_DEP_1)
	v_cmp_ge_i32_e32 vcc_lo, v19, v18
	s_or_b32 s2, vcc_lo, s2
	s_wait_loadcnt 0x3
	v_subrev_nc_u32_e32 v21, s12, v21
	v_lshlrev_b32_e32 v21, 2, v21
	global_load_b128 v[34:37], v20, s[8:9] offset:64 scale_offset
	s_clause 0x1
	global_load_b128 v[38:41], v21, s[10:11] scale_offset
	global_load_b128 v[42:45], v21, s[10:11] offset:16 scale_offset
	s_clause 0x3
	global_load_b128 v[46:49], v20, s[8:9] offset:48 scale_offset
	global_load_b128 v[50:53], v20, s[8:9] offset:32 scale_offset
	;; [unrolled: 1-line block ×4, first 2 shown]
	s_clause 0x1
	global_load_b128 v[62:65], v21, s[10:11] offset:32 scale_offset
	global_load_b128 v[66:69], v21, s[10:11] offset:48 scale_offset
	s_wait_xcnt 0x2
	v_add_nc_u32_e32 v20, 32, v20
	s_wait_loadcnt 0x7
	v_fmac_f64_e32 v[14:15], v[26:27], v[38:39]
	v_fmac_f64_e32 v[0:1], v[28:29], v[38:39]
	;; [unrolled: 1-line block ×4, first 2 shown]
	s_delay_alu instid0(VALU_DEP_4) | instskip(NEXT) | instid1(VALU_DEP_4)
	v_fma_f64 v[14:15], -v[28:29], v[40:41], v[14:15]
	v_fmac_f64_e32 v[0:1], v[26:27], v[40:41]
	s_delay_alu instid0(VALU_DEP_4) | instskip(NEXT) | instid1(VALU_DEP_4)
	v_fma_f64 v[16:17], -v[36:37], v[40:41], v[16:17]
	v_fmac_f64_e32 v[12:13], v[34:35], v[40:41]
	s_wait_loadcnt 0x6
	s_delay_alu instid0(VALU_DEP_4) | instskip(NEXT) | instid1(VALU_DEP_4)
	v_fmac_f64_e32 v[14:15], v[22:23], v[42:43]
	v_fmac_f64_e32 v[0:1], v[24:25], v[42:43]
	s_delay_alu instid0(VALU_DEP_4) | instskip(NEXT) | instid1(VALU_DEP_4)
	v_fmac_f64_e32 v[16:17], v[30:31], v[42:43]
	v_fmac_f64_e32 v[12:13], v[32:33], v[42:43]
	s_delay_alu instid0(VALU_DEP_4) | instskip(NEXT) | instid1(VALU_DEP_4)
	v_fma_f64 v[14:15], -v[24:25], v[44:45], v[14:15]
	v_fmac_f64_e32 v[0:1], v[22:23], v[44:45]
	s_delay_alu instid0(VALU_DEP_4) | instskip(NEXT) | instid1(VALU_DEP_4)
	v_fma_f64 v[16:17], -v[32:33], v[44:45], v[16:17]
	v_fmac_f64_e32 v[12:13], v[30:31], v[44:45]
	s_wait_loadcnt 0x1
	s_delay_alu instid0(VALU_DEP_4) | instskip(NEXT) | instid1(VALU_DEP_4)
	v_fmac_f64_e32 v[14:15], v[50:51], v[62:63]
	v_fmac_f64_e32 v[0:1], v[52:53], v[62:63]
	s_delay_alu instid0(VALU_DEP_4) | instskip(NEXT) | instid1(VALU_DEP_4)
	v_fmac_f64_e32 v[16:17], v[58:59], v[62:63]
	v_fmac_f64_e32 v[12:13], v[60:61], v[62:63]
	;; [unrolled: 13-line block ×3, first 2 shown]
	s_delay_alu instid0(VALU_DEP_4) | instskip(NEXT) | instid1(VALU_DEP_4)
	v_fma_f64 v[14:15], -v[48:49], v[68:69], v[14:15]
	v_fmac_f64_e32 v[0:1], v[46:47], v[68:69]
	s_delay_alu instid0(VALU_DEP_4) | instskip(NEXT) | instid1(VALU_DEP_4)
	v_fma_f64 v[16:17], -v[56:57], v[68:69], v[16:17]
	v_fmac_f64_e32 v[12:13], v[54:55], v[68:69]
	s_and_not1_b32 exec_lo, exec_lo, s2
	s_cbranch_execnz .LBB238_13
; %bb.14:
	s_or_b32 exec_lo, exec_lo, s2
.LBB238_15:
	s_delay_alu instid0(SALU_CYCLE_1)
	s_or_b32 exec_lo, exec_lo, s3
.LBB238_16:
	v_mbcnt_lo_u32_b32 v28, -1, 0
	s_delay_alu instid0(VALU_DEP_1) | instskip(NEXT) | instid1(VALU_DEP_1)
	v_xor_b32_e32 v18, 2, v28
	v_cmp_gt_i32_e32 vcc_lo, 32, v18
	v_cndmask_b32_e32 v18, v28, v18, vcc_lo
	s_delay_alu instid0(VALU_DEP_1)
	v_lshlrev_b32_e32 v22, 2, v18
	ds_bpermute_b32 v20, v22, v0
	ds_bpermute_b32 v21, v22, v1
	s_wait_dscnt 0x0
	v_add_f64_e32 v[20:21], v[0:1], v[20:21]
	ds_bpermute_b32 v18, v22, v14
	ds_bpermute_b32 v19, v22, v15
	;; [unrolled: 1-line block ×6, first 2 shown]
	v_xor_b32_e32 v0, 1, v28
	s_delay_alu instid0(VALU_DEP_1)
	v_cmp_gt_i32_e32 vcc_lo, 32, v0
	v_cndmask_b32_e32 v0, v28, v0, vcc_lo
	v_cmp_eq_u32_e32 vcc_lo, 3, v11
	s_wait_dscnt 0x4
	v_add_f64_e32 v[22:23], v[14:15], v[18:19]
	s_wait_dscnt 0x2
	v_add_f64_e32 v[14:15], v[16:17], v[24:25]
	s_wait_dscnt 0x0
	v_dual_add_f64 v[18:19], v[12:13], v[26:27] :: v_dual_lshlrev_b32 v25, 2, v0
	ds_bpermute_b32 v16, v25, v20
	ds_bpermute_b32 v17, v25, v21
	;; [unrolled: 1-line block ×8, first 2 shown]
	s_and_b32 exec_lo, exec_lo, vcc_lo
	s_cbranch_execz .LBB238_21
; %bb.17:
	v_cmp_eq_f64_e32 vcc_lo, 0, v[6:7]
	v_cmp_eq_f64_e64 s2, 0, v[8:9]
	s_wait_dscnt 0x4
	v_add_f64_e32 v[0:1], v[22:23], v[0:1]
	v_add_f64_e32 v[16:17], v[20:21], v[16:17]
	s_wait_dscnt 0x2
	v_add_f64_e32 v[12:13], v[14:15], v[12:13]
	s_wait_dscnt 0x0
	v_add_f64_e32 v[14:15], v[18:19], v[24:25]
	s_load_b64 s[0:1], s[0:1], 0x48
	s_and_b32 s2, vcc_lo, s2
	s_delay_alu instid0(SALU_CYCLE_1) | instskip(NEXT) | instid1(SALU_CYCLE_1)
	s_and_saveexec_b32 s3, s2
	s_xor_b32 s2, exec_lo, s3
	s_cbranch_execz .LBB238_19
; %bb.18:
	s_delay_alu instid0(VALU_DEP_3) | instskip(SKIP_1) | instid1(VALU_DEP_3)
	v_mul_f64_e64 v[6:7], v[16:17], -v[4:5]
	v_mul_f64_e32 v[8:9], v[2:3], v[16:17]
	v_mul_f64_e64 v[16:17], v[14:15], -v[4:5]
	v_mul_f64_e32 v[18:19], v[2:3], v[14:15]
                                        ; implicit-def: $vgpr14_vgpr15
	s_delay_alu instid0(VALU_DEP_4) | instskip(NEXT) | instid1(VALU_DEP_4)
	v_fmac_f64_e32 v[6:7], v[2:3], v[0:1]
	v_fmac_f64_e32 v[8:9], v[4:5], v[0:1]
	s_delay_alu instid0(VALU_DEP_4) | instskip(NEXT) | instid1(VALU_DEP_4)
	v_fmac_f64_e32 v[16:17], v[2:3], v[12:13]
	v_fmac_f64_e32 v[18:19], v[4:5], v[12:13]
	v_lshlrev_b32_e32 v0, 1, v10
                                        ; implicit-def: $vgpr10
                                        ; implicit-def: $vgpr12_vgpr13
                                        ; implicit-def: $vgpr4_vgpr5
	s_wait_kmcnt 0x0
	s_clause 0x1
	global_store_b128 v0, v[6:9], s[0:1] scale_offset
	global_store_b128 v0, v[16:19], s[0:1] offset:16 scale_offset
                                        ; implicit-def: $vgpr0_vgpr1
                                        ; implicit-def: $vgpr16_vgpr17
                                        ; implicit-def: $vgpr8_vgpr9
.LBB238_19:
	s_wait_xcnt 0x0
	s_and_not1_saveexec_b32 s2, s2
	s_cbranch_execz .LBB238_21
; %bb.20:
	s_delay_alu instid0(VALU_DEP_3) | instskip(SKIP_1) | instid1(VALU_DEP_3)
	v_dual_mul_f64 v[26:27], v[16:17], -v[4:5] :: v_dual_lshlrev_b32 v30, 1, v10
	v_mul_f64_e32 v[16:17], v[2:3], v[16:17]
	v_mul_f64_e64 v[28:29], v[14:15], -v[4:5]
	v_mul_f64_e32 v[10:11], v[2:3], v[14:15]
	s_wait_kmcnt 0x0
	s_clause 0x1
	global_load_b128 v[18:21], v30, s[0:1] scale_offset
	global_load_b128 v[22:25], v30, s[0:1] offset:16 scale_offset
	v_fmac_f64_e32 v[26:27], v[2:3], v[0:1]
	v_fmac_f64_e32 v[16:17], v[4:5], v[0:1]
	;; [unrolled: 1-line block ×4, first 2 shown]
	s_wait_loadcnt 0x1
	s_delay_alu instid0(VALU_DEP_4) | instskip(NEXT) | instid1(VALU_DEP_4)
	v_fmac_f64_e32 v[26:27], v[6:7], v[18:19]
	v_fmac_f64_e32 v[16:17], v[8:9], v[18:19]
	s_wait_loadcnt 0x0
	s_delay_alu instid0(VALU_DEP_4) | instskip(NEXT) | instid1(VALU_DEP_4)
	v_fmac_f64_e32 v[28:29], v[6:7], v[22:23]
	v_fmac_f64_e32 v[10:11], v[8:9], v[22:23]
	s_delay_alu instid0(VALU_DEP_4) | instskip(NEXT) | instid1(VALU_DEP_4)
	v_fma_f64 v[14:15], -v[8:9], v[20:21], v[26:27]
	v_fmac_f64_e32 v[16:17], v[6:7], v[20:21]
	s_delay_alu instid0(VALU_DEP_4) | instskip(NEXT) | instid1(VALU_DEP_4)
	v_fma_f64 v[8:9], -v[8:9], v[24:25], v[28:29]
	v_fmac_f64_e32 v[10:11], v[6:7], v[24:25]
	s_clause 0x1
	global_store_b128 v30, v[14:17], s[0:1] scale_offset
	global_store_b128 v30, v[8:11], s[0:1] offset:16 scale_offset
.LBB238_21:
	s_sendmsg sendmsg(MSG_DEALLOC_VGPRS)
	s_endpgm
	.section	.rodata,"a",@progbits
	.p2align	6, 0x0
	.amdhsa_kernel _ZN9rocsparseL19gebsrmvn_2xn_kernelILj128ELj4ELj4E21rocsparse_complex_numIdEEEvi20rocsparse_direction_NS_24const_host_device_scalarIT2_EEPKiS8_PKS5_SA_S6_PS5_21rocsparse_index_base_b
		.amdhsa_group_segment_fixed_size 0
		.amdhsa_private_segment_fixed_size 0
		.amdhsa_kernarg_size 88
		.amdhsa_user_sgpr_count 2
		.amdhsa_user_sgpr_dispatch_ptr 0
		.amdhsa_user_sgpr_queue_ptr 0
		.amdhsa_user_sgpr_kernarg_segment_ptr 1
		.amdhsa_user_sgpr_dispatch_id 0
		.amdhsa_user_sgpr_kernarg_preload_length 0
		.amdhsa_user_sgpr_kernarg_preload_offset 0
		.amdhsa_user_sgpr_private_segment_size 0
		.amdhsa_wavefront_size32 1
		.amdhsa_uses_dynamic_stack 0
		.amdhsa_enable_private_segment 0
		.amdhsa_system_sgpr_workgroup_id_x 1
		.amdhsa_system_sgpr_workgroup_id_y 0
		.amdhsa_system_sgpr_workgroup_id_z 0
		.amdhsa_system_sgpr_workgroup_info 0
		.amdhsa_system_vgpr_workitem_id 0
		.amdhsa_next_free_vgpr 71
		.amdhsa_next_free_sgpr 14
		.amdhsa_named_barrier_count 0
		.amdhsa_reserve_vcc 1
		.amdhsa_float_round_mode_32 0
		.amdhsa_float_round_mode_16_64 0
		.amdhsa_float_denorm_mode_32 3
		.amdhsa_float_denorm_mode_16_64 3
		.amdhsa_fp16_overflow 0
		.amdhsa_memory_ordered 1
		.amdhsa_forward_progress 1
		.amdhsa_inst_pref_size 16
		.amdhsa_round_robin_scheduling 0
		.amdhsa_exception_fp_ieee_invalid_op 0
		.amdhsa_exception_fp_denorm_src 0
		.amdhsa_exception_fp_ieee_div_zero 0
		.amdhsa_exception_fp_ieee_overflow 0
		.amdhsa_exception_fp_ieee_underflow 0
		.amdhsa_exception_fp_ieee_inexact 0
		.amdhsa_exception_int_div_zero 0
	.end_amdhsa_kernel
	.section	.text._ZN9rocsparseL19gebsrmvn_2xn_kernelILj128ELj4ELj4E21rocsparse_complex_numIdEEEvi20rocsparse_direction_NS_24const_host_device_scalarIT2_EEPKiS8_PKS5_SA_S6_PS5_21rocsparse_index_base_b,"axG",@progbits,_ZN9rocsparseL19gebsrmvn_2xn_kernelILj128ELj4ELj4E21rocsparse_complex_numIdEEEvi20rocsparse_direction_NS_24const_host_device_scalarIT2_EEPKiS8_PKS5_SA_S6_PS5_21rocsparse_index_base_b,comdat
.Lfunc_end238:
	.size	_ZN9rocsparseL19gebsrmvn_2xn_kernelILj128ELj4ELj4E21rocsparse_complex_numIdEEEvi20rocsparse_direction_NS_24const_host_device_scalarIT2_EEPKiS8_PKS5_SA_S6_PS5_21rocsparse_index_base_b, .Lfunc_end238-_ZN9rocsparseL19gebsrmvn_2xn_kernelILj128ELj4ELj4E21rocsparse_complex_numIdEEEvi20rocsparse_direction_NS_24const_host_device_scalarIT2_EEPKiS8_PKS5_SA_S6_PS5_21rocsparse_index_base_b
                                        ; -- End function
	.set _ZN9rocsparseL19gebsrmvn_2xn_kernelILj128ELj4ELj4E21rocsparse_complex_numIdEEEvi20rocsparse_direction_NS_24const_host_device_scalarIT2_EEPKiS8_PKS5_SA_S6_PS5_21rocsparse_index_base_b.num_vgpr, 71
	.set _ZN9rocsparseL19gebsrmvn_2xn_kernelILj128ELj4ELj4E21rocsparse_complex_numIdEEEvi20rocsparse_direction_NS_24const_host_device_scalarIT2_EEPKiS8_PKS5_SA_S6_PS5_21rocsparse_index_base_b.num_agpr, 0
	.set _ZN9rocsparseL19gebsrmvn_2xn_kernelILj128ELj4ELj4E21rocsparse_complex_numIdEEEvi20rocsparse_direction_NS_24const_host_device_scalarIT2_EEPKiS8_PKS5_SA_S6_PS5_21rocsparse_index_base_b.numbered_sgpr, 14
	.set _ZN9rocsparseL19gebsrmvn_2xn_kernelILj128ELj4ELj4E21rocsparse_complex_numIdEEEvi20rocsparse_direction_NS_24const_host_device_scalarIT2_EEPKiS8_PKS5_SA_S6_PS5_21rocsparse_index_base_b.num_named_barrier, 0
	.set _ZN9rocsparseL19gebsrmvn_2xn_kernelILj128ELj4ELj4E21rocsparse_complex_numIdEEEvi20rocsparse_direction_NS_24const_host_device_scalarIT2_EEPKiS8_PKS5_SA_S6_PS5_21rocsparse_index_base_b.private_seg_size, 0
	.set _ZN9rocsparseL19gebsrmvn_2xn_kernelILj128ELj4ELj4E21rocsparse_complex_numIdEEEvi20rocsparse_direction_NS_24const_host_device_scalarIT2_EEPKiS8_PKS5_SA_S6_PS5_21rocsparse_index_base_b.uses_vcc, 1
	.set _ZN9rocsparseL19gebsrmvn_2xn_kernelILj128ELj4ELj4E21rocsparse_complex_numIdEEEvi20rocsparse_direction_NS_24const_host_device_scalarIT2_EEPKiS8_PKS5_SA_S6_PS5_21rocsparse_index_base_b.uses_flat_scratch, 0
	.set _ZN9rocsparseL19gebsrmvn_2xn_kernelILj128ELj4ELj4E21rocsparse_complex_numIdEEEvi20rocsparse_direction_NS_24const_host_device_scalarIT2_EEPKiS8_PKS5_SA_S6_PS5_21rocsparse_index_base_b.has_dyn_sized_stack, 0
	.set _ZN9rocsparseL19gebsrmvn_2xn_kernelILj128ELj4ELj4E21rocsparse_complex_numIdEEEvi20rocsparse_direction_NS_24const_host_device_scalarIT2_EEPKiS8_PKS5_SA_S6_PS5_21rocsparse_index_base_b.has_recursion, 0
	.set _ZN9rocsparseL19gebsrmvn_2xn_kernelILj128ELj4ELj4E21rocsparse_complex_numIdEEEvi20rocsparse_direction_NS_24const_host_device_scalarIT2_EEPKiS8_PKS5_SA_S6_PS5_21rocsparse_index_base_b.has_indirect_call, 0
	.section	.AMDGPU.csdata,"",@progbits
; Kernel info:
; codeLenInByte = 1948
; TotalNumSgprs: 16
; NumVgprs: 71
; ScratchSize: 0
; MemoryBound: 1
; FloatMode: 240
; IeeeMode: 1
; LDSByteSize: 0 bytes/workgroup (compile time only)
; SGPRBlocks: 0
; VGPRBlocks: 4
; NumSGPRsForWavesPerEU: 16
; NumVGPRsForWavesPerEU: 71
; NamedBarCnt: 0
; Occupancy: 12
; WaveLimiterHint : 1
; COMPUTE_PGM_RSRC2:SCRATCH_EN: 0
; COMPUTE_PGM_RSRC2:USER_SGPR: 2
; COMPUTE_PGM_RSRC2:TRAP_HANDLER: 0
; COMPUTE_PGM_RSRC2:TGID_X_EN: 1
; COMPUTE_PGM_RSRC2:TGID_Y_EN: 0
; COMPUTE_PGM_RSRC2:TGID_Z_EN: 0
; COMPUTE_PGM_RSRC2:TIDIG_COMP_CNT: 0
	.section	.text._ZN9rocsparseL19gebsrmvn_2xn_kernelILj128ELj4ELj8E21rocsparse_complex_numIdEEEvi20rocsparse_direction_NS_24const_host_device_scalarIT2_EEPKiS8_PKS5_SA_S6_PS5_21rocsparse_index_base_b,"axG",@progbits,_ZN9rocsparseL19gebsrmvn_2xn_kernelILj128ELj4ELj8E21rocsparse_complex_numIdEEEvi20rocsparse_direction_NS_24const_host_device_scalarIT2_EEPKiS8_PKS5_SA_S6_PS5_21rocsparse_index_base_b,comdat
	.globl	_ZN9rocsparseL19gebsrmvn_2xn_kernelILj128ELj4ELj8E21rocsparse_complex_numIdEEEvi20rocsparse_direction_NS_24const_host_device_scalarIT2_EEPKiS8_PKS5_SA_S6_PS5_21rocsparse_index_base_b ; -- Begin function _ZN9rocsparseL19gebsrmvn_2xn_kernelILj128ELj4ELj8E21rocsparse_complex_numIdEEEvi20rocsparse_direction_NS_24const_host_device_scalarIT2_EEPKiS8_PKS5_SA_S6_PS5_21rocsparse_index_base_b
	.p2align	8
	.type	_ZN9rocsparseL19gebsrmvn_2xn_kernelILj128ELj4ELj8E21rocsparse_complex_numIdEEEvi20rocsparse_direction_NS_24const_host_device_scalarIT2_EEPKiS8_PKS5_SA_S6_PS5_21rocsparse_index_base_b,@function
_ZN9rocsparseL19gebsrmvn_2xn_kernelILj128ELj4ELj8E21rocsparse_complex_numIdEEEvi20rocsparse_direction_NS_24const_host_device_scalarIT2_EEPKiS8_PKS5_SA_S6_PS5_21rocsparse_index_base_b: ; @_ZN9rocsparseL19gebsrmvn_2xn_kernelILj128ELj4ELj8E21rocsparse_complex_numIdEEEvi20rocsparse_direction_NS_24const_host_device_scalarIT2_EEPKiS8_PKS5_SA_S6_PS5_21rocsparse_index_base_b
; %bb.0:
	s_clause 0x1
	s_load_b64 s[12:13], s[0:1], 0x50
	s_load_b64 s[2:3], s[0:1], 0x8
	v_mov_b32_e32 v1, 0
	s_add_nc_u64 s[4:5], s[0:1], 8
	s_load_b64 s[6:7], s[0:1], 0x38
	s_wait_kmcnt 0x0
	s_bitcmp1_b32 s13, 0
	s_cselect_b32 s3, s5, s3
	s_cselect_b32 s2, s4, s2
	flat_load_b128 v[2:5], v1, s[2:3]
	s_wait_xcnt 0x0
	s_add_nc_u64 s[2:3], s[0:1], 56
	s_delay_alu instid0(SALU_CYCLE_1)
	s_cselect_b32 s3, s3, s7
	s_cselect_b32 s2, s2, s6
	flat_load_b128 v[6:9], v1, s[2:3]
	s_wait_loadcnt_dscnt 0x101
	v_cmp_eq_f64_e32 vcc_lo, 0, v[2:3]
	s_wait_xcnt 0x0
	v_cmp_eq_f64_e64 s2, 0, v[4:5]
	s_and_b32 s4, vcc_lo, s2
	s_mov_b32 s2, -1
	s_and_saveexec_b32 s3, s4
	s_cbranch_execz .LBB239_2
; %bb.1:
	s_wait_loadcnt_dscnt 0x0
	v_cmp_neq_f64_e32 vcc_lo, 1.0, v[6:7]
	v_cmp_neq_f64_e64 s2, 0, v[8:9]
	s_or_b32 s2, vcc_lo, s2
	s_delay_alu instid0(SALU_CYCLE_1)
	s_or_not1_b32 s2, s2, exec_lo
.LBB239_2:
	s_or_b32 exec_lo, exec_lo, s3
	s_and_saveexec_b32 s3, s2
	s_cbranch_execz .LBB239_21
; %bb.3:
	s_load_b64 s[2:3], s[0:1], 0x0
	s_bfe_u32 s4, ttmp6, 0x4000c
	s_and_b32 s5, ttmp6, 15
	s_add_co_i32 s4, s4, 1
	s_getreg_b32 s6, hwreg(HW_REG_IB_STS2, 6, 4)
	s_mul_i32 s4, ttmp9, s4
	v_lshrrev_b32_e32 v1, 3, v0
	s_add_co_i32 s5, s5, s4
	s_cmp_eq_u32 s6, 0
	s_cselect_b32 s4, ttmp9, s5
	s_delay_alu instid0(VALU_DEP_1) | instid1(SALU_CYCLE_1)
	v_lshl_or_b32 v10, s4, 4, v1
	s_wait_kmcnt 0x0
	s_delay_alu instid0(VALU_DEP_1)
	v_cmp_gt_i32_e32 vcc_lo, s2, v10
	s_and_b32 exec_lo, exec_lo, vcc_lo
	s_cbranch_execz .LBB239_21
; %bb.4:
	s_load_b256 s[4:11], s[0:1], 0x18
	v_ashrrev_i32_e32 v11, 31, v10
	s_cmp_lg_u32 s3, 0
	s_wait_kmcnt 0x0
	s_delay_alu instid0(VALU_DEP_1)
	v_lshl_add_u64 v[12:13], v[10:11], 2, s[4:5]
	v_and_b32_e32 v11, 7, v0
	global_load_b64 v[12:13], v[12:13], off
	s_wait_loadcnt 0x0
	v_subrev_nc_u32_e32 v0, s12, v12
	v_subrev_nc_u32_e32 v18, s12, v13
	s_delay_alu instid0(VALU_DEP_2) | instskip(NEXT) | instid1(VALU_DEP_1)
	v_add_nc_u32_e32 v19, v0, v11
	v_cmp_lt_i32_e64 s2, v19, v18
	s_cbranch_scc0 .LBB239_10
; %bb.5:
	v_mov_b64_e32 v[0:1], 0
	v_mov_b64_e32 v[14:15], 0
	;; [unrolled: 1-line block ×4, first 2 shown]
	s_and_saveexec_b32 s3, s2
	s_cbranch_execz .LBB239_9
; %bb.6:
	v_mov_b64_e32 v[0:1], 0
	v_mov_b64_e32 v[14:15], 0
	;; [unrolled: 1-line block ×4, first 2 shown]
	v_dual_mov_b32 v21, v19 :: v_dual_lshlrev_b32 v20, 3, v19
	s_mov_b32 s4, 0
.LBB239_7:                              ; =>This Inner Loop Header: Depth=1
	global_load_b32 v22, v21, s[6:7] scale_offset
	s_wait_xcnt 0x0
	v_add_nc_u32_e32 v21, 8, v21
	s_wait_loadcnt 0x0
	v_subrev_nc_u32_e32 v26, s12, v22
	global_load_b128 v[22:25], v20, s[8:9] offset:16 scale_offset
	v_lshlrev_b32_e32 v70, 2, v26
	global_load_b128 v[26:29], v20, s[8:9] scale_offset
	s_clause 0x1
	global_load_b128 v[30:33], v70, s[10:11] scale_offset
	global_load_b128 v[34:37], v70, s[10:11] offset:16 scale_offset
	s_clause 0x3
	global_load_b128 v[38:41], v20, s[8:9] offset:32 scale_offset
	global_load_b128 v[42:45], v20, s[8:9] offset:48 scale_offset
	;; [unrolled: 1-line block ×4, first 2 shown]
	s_clause 0x1
	global_load_b128 v[54:57], v70, s[10:11] offset:32 scale_offset
	global_load_b128 v[58:61], v70, s[10:11] offset:48 scale_offset
	s_clause 0x1
	global_load_b128 v[62:65], v20, s[8:9] offset:96 scale_offset
	global_load_b128 v[66:69], v20, s[8:9] offset:112 scale_offset
	s_wait_xcnt 0x0
	v_add_nc_u32_e32 v20, 64, v20
	v_cmp_ge_i32_e32 vcc_lo, v21, v18
	s_or_b32 s4, vcc_lo, s4
	s_wait_loadcnt 0x9
	v_fmac_f64_e32 v[14:15], v[26:27], v[30:31]
	v_fmac_f64_e32 v[0:1], v[28:29], v[30:31]
	;; [unrolled: 1-line block ×4, first 2 shown]
	s_delay_alu instid0(VALU_DEP_4) | instskip(NEXT) | instid1(VALU_DEP_4)
	v_fma_f64 v[14:15], -v[28:29], v[32:33], v[14:15]
	v_fmac_f64_e32 v[0:1], v[26:27], v[32:33]
	s_delay_alu instid0(VALU_DEP_4) | instskip(NEXT) | instid1(VALU_DEP_4)
	v_fma_f64 v[16:17], -v[24:25], v[32:33], v[16:17]
	v_fmac_f64_e32 v[12:13], v[22:23], v[32:33]
	s_wait_loadcnt 0x7
	s_delay_alu instid0(VALU_DEP_4) | instskip(NEXT) | instid1(VALU_DEP_4)
	v_fmac_f64_e32 v[14:15], v[38:39], v[34:35]
	v_fmac_f64_e32 v[0:1], v[40:41], v[34:35]
	s_wait_loadcnt 0x6
	s_delay_alu instid0(VALU_DEP_4) | instskip(NEXT) | instid1(VALU_DEP_4)
	v_fmac_f64_e32 v[16:17], v[42:43], v[34:35]
	v_fmac_f64_e32 v[12:13], v[44:45], v[34:35]
	s_delay_alu instid0(VALU_DEP_4) | instskip(NEXT) | instid1(VALU_DEP_4)
	v_fma_f64 v[14:15], -v[40:41], v[36:37], v[14:15]
	v_fmac_f64_e32 v[0:1], v[38:39], v[36:37]
	s_delay_alu instid0(VALU_DEP_4) | instskip(NEXT) | instid1(VALU_DEP_4)
	v_fma_f64 v[16:17], -v[44:45], v[36:37], v[16:17]
	v_fmac_f64_e32 v[12:13], v[42:43], v[36:37]
	s_wait_loadcnt 0x3
	s_delay_alu instid0(VALU_DEP_4) | instskip(NEXT) | instid1(VALU_DEP_4)
	v_fmac_f64_e32 v[14:15], v[50:51], v[54:55]
	v_fmac_f64_e32 v[0:1], v[52:53], v[54:55]
	s_delay_alu instid0(VALU_DEP_4) | instskip(NEXT) | instid1(VALU_DEP_4)
	v_fmac_f64_e32 v[16:17], v[46:47], v[54:55]
	v_fmac_f64_e32 v[12:13], v[48:49], v[54:55]
	s_delay_alu instid0(VALU_DEP_4) | instskip(NEXT) | instid1(VALU_DEP_4)
	v_fma_f64 v[14:15], -v[52:53], v[56:57], v[14:15]
	v_fmac_f64_e32 v[0:1], v[50:51], v[56:57]
	s_delay_alu instid0(VALU_DEP_4) | instskip(NEXT) | instid1(VALU_DEP_4)
	v_fma_f64 v[16:17], -v[48:49], v[56:57], v[16:17]
	v_fmac_f64_e32 v[12:13], v[46:47], v[56:57]
	s_wait_loadcnt 0x1
	s_delay_alu instid0(VALU_DEP_4) | instskip(NEXT) | instid1(VALU_DEP_4)
	v_fmac_f64_e32 v[14:15], v[62:63], v[58:59]
	v_fmac_f64_e32 v[0:1], v[64:65], v[58:59]
	s_wait_loadcnt 0x0
	s_delay_alu instid0(VALU_DEP_4) | instskip(NEXT) | instid1(VALU_DEP_4)
	v_fmac_f64_e32 v[16:17], v[66:67], v[58:59]
	v_fmac_f64_e32 v[12:13], v[68:69], v[58:59]
	s_delay_alu instid0(VALU_DEP_4) | instskip(NEXT) | instid1(VALU_DEP_4)
	v_fma_f64 v[14:15], -v[64:65], v[60:61], v[14:15]
	v_fmac_f64_e32 v[0:1], v[62:63], v[60:61]
	s_delay_alu instid0(VALU_DEP_4) | instskip(NEXT) | instid1(VALU_DEP_4)
	v_fma_f64 v[16:17], -v[68:69], v[60:61], v[16:17]
	v_fmac_f64_e32 v[12:13], v[66:67], v[60:61]
	s_and_not1_b32 exec_lo, exec_lo, s4
	s_cbranch_execnz .LBB239_7
; %bb.8:
	s_or_b32 exec_lo, exec_lo, s4
.LBB239_9:
	s_delay_alu instid0(SALU_CYCLE_1)
	s_or_b32 exec_lo, exec_lo, s3
	s_cbranch_execz .LBB239_11
	s_branch .LBB239_16
.LBB239_10:
                                        ; implicit-def: $vgpr0_vgpr1
                                        ; implicit-def: $vgpr14_vgpr15
                                        ; implicit-def: $vgpr16_vgpr17
                                        ; implicit-def: $vgpr12_vgpr13
.LBB239_11:
	v_mov_b64_e32 v[0:1], 0
	v_mov_b64_e32 v[14:15], 0
	;; [unrolled: 1-line block ×4, first 2 shown]
	s_and_saveexec_b32 s3, s2
	s_cbranch_execz .LBB239_15
; %bb.12:
	v_mov_b64_e32 v[0:1], 0
	v_mov_b64_e32 v[14:15], 0
	v_mov_b64_e32 v[16:17], 0
	v_mov_b64_e32 v[12:13], 0
	v_lshlrev_b32_e32 v20, 3, v19
	s_mov_b32 s2, 0
.LBB239_13:                             ; =>This Inner Loop Header: Depth=1
	global_load_b32 v21, v19, s[6:7] scale_offset
	s_clause 0x2
	global_load_b128 v[22:25], v20, s[8:9] offset:16 scale_offset
	global_load_b128 v[26:29], v20, s[8:9] scale_offset
	global_load_b128 v[30:33], v20, s[8:9] offset:80 scale_offset
	s_wait_xcnt 0x3
	v_add_nc_u32_e32 v19, 8, v19
	s_delay_alu instid0(VALU_DEP_1) | instskip(SKIP_3) | instid1(VALU_DEP_1)
	v_cmp_ge_i32_e32 vcc_lo, v19, v18
	s_or_b32 s2, vcc_lo, s2
	s_wait_loadcnt 0x3
	v_subrev_nc_u32_e32 v21, s12, v21
	v_lshlrev_b32_e32 v21, 2, v21
	global_load_b128 v[34:37], v20, s[8:9] offset:64 scale_offset
	s_clause 0x1
	global_load_b128 v[38:41], v21, s[10:11] scale_offset
	global_load_b128 v[42:45], v21, s[10:11] offset:16 scale_offset
	s_clause 0x3
	global_load_b128 v[46:49], v20, s[8:9] offset:48 scale_offset
	global_load_b128 v[50:53], v20, s[8:9] offset:32 scale_offset
	;; [unrolled: 1-line block ×4, first 2 shown]
	s_clause 0x1
	global_load_b128 v[62:65], v21, s[10:11] offset:32 scale_offset
	global_load_b128 v[66:69], v21, s[10:11] offset:48 scale_offset
	s_wait_xcnt 0x2
	v_add_nc_u32_e32 v20, 64, v20
	s_wait_loadcnt 0x7
	v_fmac_f64_e32 v[14:15], v[26:27], v[38:39]
	v_fmac_f64_e32 v[0:1], v[28:29], v[38:39]
	;; [unrolled: 1-line block ×4, first 2 shown]
	s_delay_alu instid0(VALU_DEP_4) | instskip(NEXT) | instid1(VALU_DEP_4)
	v_fma_f64 v[14:15], -v[28:29], v[40:41], v[14:15]
	v_fmac_f64_e32 v[0:1], v[26:27], v[40:41]
	s_delay_alu instid0(VALU_DEP_4) | instskip(NEXT) | instid1(VALU_DEP_4)
	v_fma_f64 v[16:17], -v[36:37], v[40:41], v[16:17]
	v_fmac_f64_e32 v[12:13], v[34:35], v[40:41]
	s_wait_loadcnt 0x6
	s_delay_alu instid0(VALU_DEP_4) | instskip(NEXT) | instid1(VALU_DEP_4)
	v_fmac_f64_e32 v[14:15], v[22:23], v[42:43]
	v_fmac_f64_e32 v[0:1], v[24:25], v[42:43]
	s_delay_alu instid0(VALU_DEP_4) | instskip(NEXT) | instid1(VALU_DEP_4)
	v_fmac_f64_e32 v[16:17], v[30:31], v[42:43]
	v_fmac_f64_e32 v[12:13], v[32:33], v[42:43]
	s_delay_alu instid0(VALU_DEP_4) | instskip(NEXT) | instid1(VALU_DEP_4)
	v_fma_f64 v[14:15], -v[24:25], v[44:45], v[14:15]
	v_fmac_f64_e32 v[0:1], v[22:23], v[44:45]
	s_delay_alu instid0(VALU_DEP_4) | instskip(NEXT) | instid1(VALU_DEP_4)
	v_fma_f64 v[16:17], -v[32:33], v[44:45], v[16:17]
	v_fmac_f64_e32 v[12:13], v[30:31], v[44:45]
	s_wait_loadcnt 0x1
	s_delay_alu instid0(VALU_DEP_4) | instskip(NEXT) | instid1(VALU_DEP_4)
	v_fmac_f64_e32 v[14:15], v[50:51], v[62:63]
	v_fmac_f64_e32 v[0:1], v[52:53], v[62:63]
	s_delay_alu instid0(VALU_DEP_4) | instskip(NEXT) | instid1(VALU_DEP_4)
	v_fmac_f64_e32 v[16:17], v[58:59], v[62:63]
	v_fmac_f64_e32 v[12:13], v[60:61], v[62:63]
	;; [unrolled: 13-line block ×3, first 2 shown]
	s_delay_alu instid0(VALU_DEP_4) | instskip(NEXT) | instid1(VALU_DEP_4)
	v_fma_f64 v[14:15], -v[48:49], v[68:69], v[14:15]
	v_fmac_f64_e32 v[0:1], v[46:47], v[68:69]
	s_delay_alu instid0(VALU_DEP_4) | instskip(NEXT) | instid1(VALU_DEP_4)
	v_fma_f64 v[16:17], -v[56:57], v[68:69], v[16:17]
	v_fmac_f64_e32 v[12:13], v[54:55], v[68:69]
	s_and_not1_b32 exec_lo, exec_lo, s2
	s_cbranch_execnz .LBB239_13
; %bb.14:
	s_or_b32 exec_lo, exec_lo, s2
.LBB239_15:
	s_delay_alu instid0(SALU_CYCLE_1)
	s_or_b32 exec_lo, exec_lo, s3
.LBB239_16:
	v_mbcnt_lo_u32_b32 v28, -1, 0
	s_delay_alu instid0(VALU_DEP_1) | instskip(NEXT) | instid1(VALU_DEP_1)
	v_xor_b32_e32 v18, 4, v28
	v_cmp_gt_i32_e32 vcc_lo, 32, v18
	v_cndmask_b32_e32 v18, v28, v18, vcc_lo
	s_delay_alu instid0(VALU_DEP_1)
	v_lshlrev_b32_e32 v25, 2, v18
	ds_bpermute_b32 v18, v25, v14
	ds_bpermute_b32 v19, v25, v15
	;; [unrolled: 1-line block ×4, first 2 shown]
	s_wait_dscnt 0x2
	v_add_f64_e32 v[14:15], v[14:15], v[18:19]
	s_wait_dscnt 0x0
	v_add_f64_e32 v[18:19], v[0:1], v[20:21]
	ds_bpermute_b32 v22, v25, v16
	ds_bpermute_b32 v23, v25, v17
	;; [unrolled: 1-line block ×4, first 2 shown]
	v_xor_b32_e32 v0, 2, v28
	s_delay_alu instid0(VALU_DEP_1)
	v_cmp_gt_i32_e32 vcc_lo, 32, v0
	v_cndmask_b32_e32 v0, v28, v0, vcc_lo
	s_wait_dscnt 0x2
	v_add_f64_e32 v[20:21], v[16:17], v[22:23]
	s_wait_dscnt 0x0
	v_add_f64_e32 v[22:23], v[12:13], v[24:25]
	v_lshlrev_b32_e32 v16, 2, v0
	ds_bpermute_b32 v0, v16, v14
	ds_bpermute_b32 v1, v16, v15
	;; [unrolled: 1-line block ×8, first 2 shown]
	s_wait_dscnt 0x4
	v_add_f64_e32 v[16:17], v[18:19], v[12:13]
	v_xor_b32_e32 v18, 1, v28
	s_delay_alu instid0(VALU_DEP_1) | instskip(SKIP_3) | instid1(VALU_DEP_2)
	v_cmp_gt_i32_e32 vcc_lo, 32, v18
	v_dual_add_f64 v[0:1], v[14:15], v[0:1] :: v_dual_cndmask_b32 v18, v28, v18, vcc_lo
	v_cmp_eq_u32_e32 vcc_lo, 7, v11
	s_wait_dscnt 0x2
	v_dual_add_f64 v[12:13], v[20:21], v[24:25] :: v_dual_lshlrev_b32 v21, 2, v18
	s_wait_dscnt 0x0
	v_add_f64_e32 v[14:15], v[22:23], v[26:27]
	ds_bpermute_b32 v22, v21, v16
	ds_bpermute_b32 v23, v21, v17
	;; [unrolled: 1-line block ×8, first 2 shown]
	s_and_b32 exec_lo, exec_lo, vcc_lo
	s_cbranch_execz .LBB239_21
; %bb.17:
	v_cmp_eq_f64_e32 vcc_lo, 0, v[6:7]
	v_cmp_eq_f64_e64 s2, 0, v[8:9]
	s_wait_dscnt 0x4
	v_add_f64_e32 v[0:1], v[0:1], v[24:25]
	v_add_f64_e32 v[16:17], v[16:17], v[22:23]
	s_wait_dscnt 0x2
	v_add_f64_e32 v[12:13], v[12:13], v[18:19]
	s_wait_dscnt 0x0
	v_add_f64_e32 v[14:15], v[14:15], v[20:21]
	s_load_b64 s[0:1], s[0:1], 0x48
	s_and_b32 s2, vcc_lo, s2
	s_delay_alu instid0(SALU_CYCLE_1) | instskip(NEXT) | instid1(SALU_CYCLE_1)
	s_and_saveexec_b32 s3, s2
	s_xor_b32 s2, exec_lo, s3
	s_cbranch_execz .LBB239_19
; %bb.18:
	s_delay_alu instid0(VALU_DEP_3) | instskip(SKIP_1) | instid1(VALU_DEP_3)
	v_mul_f64_e64 v[6:7], v[16:17], -v[4:5]
	v_mul_f64_e32 v[8:9], v[2:3], v[16:17]
	v_mul_f64_e64 v[16:17], v[14:15], -v[4:5]
	v_mul_f64_e32 v[18:19], v[2:3], v[14:15]
                                        ; implicit-def: $vgpr14_vgpr15
	s_delay_alu instid0(VALU_DEP_4) | instskip(NEXT) | instid1(VALU_DEP_4)
	v_fmac_f64_e32 v[6:7], v[2:3], v[0:1]
	v_fmac_f64_e32 v[8:9], v[4:5], v[0:1]
	s_delay_alu instid0(VALU_DEP_4) | instskip(NEXT) | instid1(VALU_DEP_4)
	v_fmac_f64_e32 v[16:17], v[2:3], v[12:13]
	v_fmac_f64_e32 v[18:19], v[4:5], v[12:13]
	v_lshlrev_b32_e32 v0, 1, v10
                                        ; implicit-def: $vgpr10
                                        ; implicit-def: $vgpr12_vgpr13
                                        ; implicit-def: $vgpr4_vgpr5
	s_wait_kmcnt 0x0
	s_clause 0x1
	global_store_b128 v0, v[6:9], s[0:1] scale_offset
	global_store_b128 v0, v[16:19], s[0:1] offset:16 scale_offset
                                        ; implicit-def: $vgpr0_vgpr1
                                        ; implicit-def: $vgpr16_vgpr17
                                        ; implicit-def: $vgpr8_vgpr9
.LBB239_19:
	s_wait_xcnt 0x0
	s_and_not1_saveexec_b32 s2, s2
	s_cbranch_execz .LBB239_21
; %bb.20:
	s_delay_alu instid0(VALU_DEP_3) | instskip(SKIP_1) | instid1(VALU_DEP_3)
	v_dual_mul_f64 v[26:27], v[16:17], -v[4:5] :: v_dual_lshlrev_b32 v30, 1, v10
	v_mul_f64_e32 v[16:17], v[2:3], v[16:17]
	v_mul_f64_e64 v[28:29], v[14:15], -v[4:5]
	v_mul_f64_e32 v[10:11], v[2:3], v[14:15]
	s_wait_kmcnt 0x0
	s_clause 0x1
	global_load_b128 v[18:21], v30, s[0:1] scale_offset
	global_load_b128 v[22:25], v30, s[0:1] offset:16 scale_offset
	v_fmac_f64_e32 v[26:27], v[2:3], v[0:1]
	v_fmac_f64_e32 v[16:17], v[4:5], v[0:1]
	;; [unrolled: 1-line block ×4, first 2 shown]
	s_wait_loadcnt 0x1
	s_delay_alu instid0(VALU_DEP_4) | instskip(NEXT) | instid1(VALU_DEP_4)
	v_fmac_f64_e32 v[26:27], v[6:7], v[18:19]
	v_fmac_f64_e32 v[16:17], v[8:9], v[18:19]
	s_wait_loadcnt 0x0
	s_delay_alu instid0(VALU_DEP_4) | instskip(NEXT) | instid1(VALU_DEP_4)
	v_fmac_f64_e32 v[28:29], v[6:7], v[22:23]
	v_fmac_f64_e32 v[10:11], v[8:9], v[22:23]
	s_delay_alu instid0(VALU_DEP_4) | instskip(NEXT) | instid1(VALU_DEP_4)
	v_fma_f64 v[14:15], -v[8:9], v[20:21], v[26:27]
	v_fmac_f64_e32 v[16:17], v[6:7], v[20:21]
	s_delay_alu instid0(VALU_DEP_4) | instskip(NEXT) | instid1(VALU_DEP_4)
	v_fma_f64 v[8:9], -v[8:9], v[24:25], v[28:29]
	v_fmac_f64_e32 v[10:11], v[6:7], v[24:25]
	s_clause 0x1
	global_store_b128 v30, v[14:17], s[0:1] scale_offset
	global_store_b128 v30, v[8:11], s[0:1] offset:16 scale_offset
.LBB239_21:
	s_sendmsg sendmsg(MSG_DEALLOC_VGPRS)
	s_endpgm
	.section	.rodata,"a",@progbits
	.p2align	6, 0x0
	.amdhsa_kernel _ZN9rocsparseL19gebsrmvn_2xn_kernelILj128ELj4ELj8E21rocsparse_complex_numIdEEEvi20rocsparse_direction_NS_24const_host_device_scalarIT2_EEPKiS8_PKS5_SA_S6_PS5_21rocsparse_index_base_b
		.amdhsa_group_segment_fixed_size 0
		.amdhsa_private_segment_fixed_size 0
		.amdhsa_kernarg_size 88
		.amdhsa_user_sgpr_count 2
		.amdhsa_user_sgpr_dispatch_ptr 0
		.amdhsa_user_sgpr_queue_ptr 0
		.amdhsa_user_sgpr_kernarg_segment_ptr 1
		.amdhsa_user_sgpr_dispatch_id 0
		.amdhsa_user_sgpr_kernarg_preload_length 0
		.amdhsa_user_sgpr_kernarg_preload_offset 0
		.amdhsa_user_sgpr_private_segment_size 0
		.amdhsa_wavefront_size32 1
		.amdhsa_uses_dynamic_stack 0
		.amdhsa_enable_private_segment 0
		.amdhsa_system_sgpr_workgroup_id_x 1
		.amdhsa_system_sgpr_workgroup_id_y 0
		.amdhsa_system_sgpr_workgroup_id_z 0
		.amdhsa_system_sgpr_workgroup_info 0
		.amdhsa_system_vgpr_workitem_id 0
		.amdhsa_next_free_vgpr 71
		.amdhsa_next_free_sgpr 14
		.amdhsa_named_barrier_count 0
		.amdhsa_reserve_vcc 1
		.amdhsa_float_round_mode_32 0
		.amdhsa_float_round_mode_16_64 0
		.amdhsa_float_denorm_mode_32 3
		.amdhsa_float_denorm_mode_16_64 3
		.amdhsa_fp16_overflow 0
		.amdhsa_memory_ordered 1
		.amdhsa_forward_progress 1
		.amdhsa_inst_pref_size 17
		.amdhsa_round_robin_scheduling 0
		.amdhsa_exception_fp_ieee_invalid_op 0
		.amdhsa_exception_fp_denorm_src 0
		.amdhsa_exception_fp_ieee_div_zero 0
		.amdhsa_exception_fp_ieee_overflow 0
		.amdhsa_exception_fp_ieee_underflow 0
		.amdhsa_exception_fp_ieee_inexact 0
		.amdhsa_exception_int_div_zero 0
	.end_amdhsa_kernel
	.section	.text._ZN9rocsparseL19gebsrmvn_2xn_kernelILj128ELj4ELj8E21rocsparse_complex_numIdEEEvi20rocsparse_direction_NS_24const_host_device_scalarIT2_EEPKiS8_PKS5_SA_S6_PS5_21rocsparse_index_base_b,"axG",@progbits,_ZN9rocsparseL19gebsrmvn_2xn_kernelILj128ELj4ELj8E21rocsparse_complex_numIdEEEvi20rocsparse_direction_NS_24const_host_device_scalarIT2_EEPKiS8_PKS5_SA_S6_PS5_21rocsparse_index_base_b,comdat
.Lfunc_end239:
	.size	_ZN9rocsparseL19gebsrmvn_2xn_kernelILj128ELj4ELj8E21rocsparse_complex_numIdEEEvi20rocsparse_direction_NS_24const_host_device_scalarIT2_EEPKiS8_PKS5_SA_S6_PS5_21rocsparse_index_base_b, .Lfunc_end239-_ZN9rocsparseL19gebsrmvn_2xn_kernelILj128ELj4ELj8E21rocsparse_complex_numIdEEEvi20rocsparse_direction_NS_24const_host_device_scalarIT2_EEPKiS8_PKS5_SA_S6_PS5_21rocsparse_index_base_b
                                        ; -- End function
	.set _ZN9rocsparseL19gebsrmvn_2xn_kernelILj128ELj4ELj8E21rocsparse_complex_numIdEEEvi20rocsparse_direction_NS_24const_host_device_scalarIT2_EEPKiS8_PKS5_SA_S6_PS5_21rocsparse_index_base_b.num_vgpr, 71
	.set _ZN9rocsparseL19gebsrmvn_2xn_kernelILj128ELj4ELj8E21rocsparse_complex_numIdEEEvi20rocsparse_direction_NS_24const_host_device_scalarIT2_EEPKiS8_PKS5_SA_S6_PS5_21rocsparse_index_base_b.num_agpr, 0
	.set _ZN9rocsparseL19gebsrmvn_2xn_kernelILj128ELj4ELj8E21rocsparse_complex_numIdEEEvi20rocsparse_direction_NS_24const_host_device_scalarIT2_EEPKiS8_PKS5_SA_S6_PS5_21rocsparse_index_base_b.numbered_sgpr, 14
	.set _ZN9rocsparseL19gebsrmvn_2xn_kernelILj128ELj4ELj8E21rocsparse_complex_numIdEEEvi20rocsparse_direction_NS_24const_host_device_scalarIT2_EEPKiS8_PKS5_SA_S6_PS5_21rocsparse_index_base_b.num_named_barrier, 0
	.set _ZN9rocsparseL19gebsrmvn_2xn_kernelILj128ELj4ELj8E21rocsparse_complex_numIdEEEvi20rocsparse_direction_NS_24const_host_device_scalarIT2_EEPKiS8_PKS5_SA_S6_PS5_21rocsparse_index_base_b.private_seg_size, 0
	.set _ZN9rocsparseL19gebsrmvn_2xn_kernelILj128ELj4ELj8E21rocsparse_complex_numIdEEEvi20rocsparse_direction_NS_24const_host_device_scalarIT2_EEPKiS8_PKS5_SA_S6_PS5_21rocsparse_index_base_b.uses_vcc, 1
	.set _ZN9rocsparseL19gebsrmvn_2xn_kernelILj128ELj4ELj8E21rocsparse_complex_numIdEEEvi20rocsparse_direction_NS_24const_host_device_scalarIT2_EEPKiS8_PKS5_SA_S6_PS5_21rocsparse_index_base_b.uses_flat_scratch, 0
	.set _ZN9rocsparseL19gebsrmvn_2xn_kernelILj128ELj4ELj8E21rocsparse_complex_numIdEEEvi20rocsparse_direction_NS_24const_host_device_scalarIT2_EEPKiS8_PKS5_SA_S6_PS5_21rocsparse_index_base_b.has_dyn_sized_stack, 0
	.set _ZN9rocsparseL19gebsrmvn_2xn_kernelILj128ELj4ELj8E21rocsparse_complex_numIdEEEvi20rocsparse_direction_NS_24const_host_device_scalarIT2_EEPKiS8_PKS5_SA_S6_PS5_21rocsparse_index_base_b.has_recursion, 0
	.set _ZN9rocsparseL19gebsrmvn_2xn_kernelILj128ELj4ELj8E21rocsparse_complex_numIdEEEvi20rocsparse_direction_NS_24const_host_device_scalarIT2_EEPKiS8_PKS5_SA_S6_PS5_21rocsparse_index_base_b.has_indirect_call, 0
	.section	.AMDGPU.csdata,"",@progbits
; Kernel info:
; codeLenInByte = 2064
; TotalNumSgprs: 16
; NumVgprs: 71
; ScratchSize: 0
; MemoryBound: 1
; FloatMode: 240
; IeeeMode: 1
; LDSByteSize: 0 bytes/workgroup (compile time only)
; SGPRBlocks: 0
; VGPRBlocks: 4
; NumSGPRsForWavesPerEU: 16
; NumVGPRsForWavesPerEU: 71
; NamedBarCnt: 0
; Occupancy: 12
; WaveLimiterHint : 1
; COMPUTE_PGM_RSRC2:SCRATCH_EN: 0
; COMPUTE_PGM_RSRC2:USER_SGPR: 2
; COMPUTE_PGM_RSRC2:TRAP_HANDLER: 0
; COMPUTE_PGM_RSRC2:TGID_X_EN: 1
; COMPUTE_PGM_RSRC2:TGID_Y_EN: 0
; COMPUTE_PGM_RSRC2:TGID_Z_EN: 0
; COMPUTE_PGM_RSRC2:TIDIG_COMP_CNT: 0
	.section	.text._ZN9rocsparseL19gebsrmvn_2xn_kernelILj128ELj4ELj16E21rocsparse_complex_numIdEEEvi20rocsparse_direction_NS_24const_host_device_scalarIT2_EEPKiS8_PKS5_SA_S6_PS5_21rocsparse_index_base_b,"axG",@progbits,_ZN9rocsparseL19gebsrmvn_2xn_kernelILj128ELj4ELj16E21rocsparse_complex_numIdEEEvi20rocsparse_direction_NS_24const_host_device_scalarIT2_EEPKiS8_PKS5_SA_S6_PS5_21rocsparse_index_base_b,comdat
	.globl	_ZN9rocsparseL19gebsrmvn_2xn_kernelILj128ELj4ELj16E21rocsparse_complex_numIdEEEvi20rocsparse_direction_NS_24const_host_device_scalarIT2_EEPKiS8_PKS5_SA_S6_PS5_21rocsparse_index_base_b ; -- Begin function _ZN9rocsparseL19gebsrmvn_2xn_kernelILj128ELj4ELj16E21rocsparse_complex_numIdEEEvi20rocsparse_direction_NS_24const_host_device_scalarIT2_EEPKiS8_PKS5_SA_S6_PS5_21rocsparse_index_base_b
	.p2align	8
	.type	_ZN9rocsparseL19gebsrmvn_2xn_kernelILj128ELj4ELj16E21rocsparse_complex_numIdEEEvi20rocsparse_direction_NS_24const_host_device_scalarIT2_EEPKiS8_PKS5_SA_S6_PS5_21rocsparse_index_base_b,@function
_ZN9rocsparseL19gebsrmvn_2xn_kernelILj128ELj4ELj16E21rocsparse_complex_numIdEEEvi20rocsparse_direction_NS_24const_host_device_scalarIT2_EEPKiS8_PKS5_SA_S6_PS5_21rocsparse_index_base_b: ; @_ZN9rocsparseL19gebsrmvn_2xn_kernelILj128ELj4ELj16E21rocsparse_complex_numIdEEEvi20rocsparse_direction_NS_24const_host_device_scalarIT2_EEPKiS8_PKS5_SA_S6_PS5_21rocsparse_index_base_b
; %bb.0:
	s_clause 0x1
	s_load_b64 s[12:13], s[0:1], 0x50
	s_load_b64 s[2:3], s[0:1], 0x8
	v_mov_b32_e32 v1, 0
	s_add_nc_u64 s[4:5], s[0:1], 8
	s_load_b64 s[6:7], s[0:1], 0x38
	s_wait_kmcnt 0x0
	s_bitcmp1_b32 s13, 0
	s_cselect_b32 s3, s5, s3
	s_cselect_b32 s2, s4, s2
	flat_load_b128 v[2:5], v1, s[2:3]
	s_wait_xcnt 0x0
	s_add_nc_u64 s[2:3], s[0:1], 56
	s_delay_alu instid0(SALU_CYCLE_1)
	s_cselect_b32 s3, s3, s7
	s_cselect_b32 s2, s2, s6
	flat_load_b128 v[6:9], v1, s[2:3]
	s_wait_loadcnt_dscnt 0x101
	v_cmp_eq_f64_e32 vcc_lo, 0, v[2:3]
	s_wait_xcnt 0x0
	v_cmp_eq_f64_e64 s2, 0, v[4:5]
	s_and_b32 s4, vcc_lo, s2
	s_mov_b32 s2, -1
	s_and_saveexec_b32 s3, s4
	s_cbranch_execz .LBB240_2
; %bb.1:
	s_wait_loadcnt_dscnt 0x0
	v_cmp_neq_f64_e32 vcc_lo, 1.0, v[6:7]
	v_cmp_neq_f64_e64 s2, 0, v[8:9]
	s_or_b32 s2, vcc_lo, s2
	s_delay_alu instid0(SALU_CYCLE_1)
	s_or_not1_b32 s2, s2, exec_lo
.LBB240_2:
	s_or_b32 exec_lo, exec_lo, s3
	s_and_saveexec_b32 s3, s2
	s_cbranch_execz .LBB240_21
; %bb.3:
	s_load_b64 s[2:3], s[0:1], 0x0
	s_bfe_u32 s4, ttmp6, 0x4000c
	s_and_b32 s5, ttmp6, 15
	s_add_co_i32 s4, s4, 1
	s_getreg_b32 s6, hwreg(HW_REG_IB_STS2, 6, 4)
	s_mul_i32 s4, ttmp9, s4
	v_lshrrev_b32_e32 v1, 4, v0
	s_add_co_i32 s5, s5, s4
	s_cmp_eq_u32 s6, 0
	s_cselect_b32 s4, ttmp9, s5
	s_delay_alu instid0(VALU_DEP_1) | instid1(SALU_CYCLE_1)
	v_lshl_or_b32 v10, s4, 3, v1
	s_wait_kmcnt 0x0
	s_delay_alu instid0(VALU_DEP_1)
	v_cmp_gt_i32_e32 vcc_lo, s2, v10
	s_and_b32 exec_lo, exec_lo, vcc_lo
	s_cbranch_execz .LBB240_21
; %bb.4:
	s_load_b256 s[4:11], s[0:1], 0x18
	v_ashrrev_i32_e32 v11, 31, v10
	s_cmp_lg_u32 s3, 0
	s_wait_kmcnt 0x0
	s_delay_alu instid0(VALU_DEP_1)
	v_lshl_add_u64 v[12:13], v[10:11], 2, s[4:5]
	v_and_b32_e32 v11, 15, v0
	global_load_b64 v[12:13], v[12:13], off
	s_wait_loadcnt 0x0
	v_subrev_nc_u32_e32 v0, s12, v12
	v_subrev_nc_u32_e32 v18, s12, v13
	s_delay_alu instid0(VALU_DEP_2) | instskip(NEXT) | instid1(VALU_DEP_1)
	v_add_nc_u32_e32 v19, v0, v11
	v_cmp_lt_i32_e64 s2, v19, v18
	s_cbranch_scc0 .LBB240_10
; %bb.5:
	v_mov_b64_e32 v[0:1], 0
	v_mov_b64_e32 v[14:15], 0
	;; [unrolled: 1-line block ×4, first 2 shown]
	s_and_saveexec_b32 s3, s2
	s_cbranch_execz .LBB240_9
; %bb.6:
	v_mov_b64_e32 v[0:1], 0
	v_mov_b64_e32 v[14:15], 0
	;; [unrolled: 1-line block ×4, first 2 shown]
	v_dual_mov_b32 v21, v19 :: v_dual_lshlrev_b32 v20, 3, v19
	s_mov_b32 s4, 0
.LBB240_7:                              ; =>This Inner Loop Header: Depth=1
	global_load_b32 v22, v21, s[6:7] scale_offset
	s_wait_xcnt 0x0
	v_add_nc_u32_e32 v21, 16, v21
	s_delay_alu instid0(VALU_DEP_1)
	v_cmp_ge_i32_e32 vcc_lo, v21, v18
	s_or_b32 s4, vcc_lo, s4
	s_wait_loadcnt 0x0
	v_subrev_nc_u32_e32 v26, s12, v22
	global_load_b128 v[22:25], v20, s[8:9] offset:16 scale_offset
	v_lshlrev_b32_e32 v70, 2, v26
	global_load_b128 v[26:29], v20, s[8:9] scale_offset
	s_clause 0x1
	global_load_b128 v[30:33], v70, s[10:11] scale_offset
	global_load_b128 v[34:37], v70, s[10:11] offset:16 scale_offset
	s_clause 0x3
	global_load_b128 v[38:41], v20, s[8:9] offset:32 scale_offset
	global_load_b128 v[42:45], v20, s[8:9] offset:48 scale_offset
	;; [unrolled: 1-line block ×4, first 2 shown]
	s_clause 0x1
	global_load_b128 v[54:57], v70, s[10:11] offset:32 scale_offset
	global_load_b128 v[58:61], v70, s[10:11] offset:48 scale_offset
	s_clause 0x1
	global_load_b128 v[62:65], v20, s[8:9] offset:96 scale_offset
	global_load_b128 v[66:69], v20, s[8:9] offset:112 scale_offset
	s_wait_xcnt 0x0
	v_add_nc_u32_e32 v20, 0x80, v20
	s_wait_loadcnt 0x9
	v_fmac_f64_e32 v[14:15], v[26:27], v[30:31]
	v_fmac_f64_e32 v[0:1], v[28:29], v[30:31]
	;; [unrolled: 1-line block ×4, first 2 shown]
	s_delay_alu instid0(VALU_DEP_4) | instskip(NEXT) | instid1(VALU_DEP_4)
	v_fma_f64 v[14:15], -v[28:29], v[32:33], v[14:15]
	v_fmac_f64_e32 v[0:1], v[26:27], v[32:33]
	s_delay_alu instid0(VALU_DEP_4) | instskip(NEXT) | instid1(VALU_DEP_4)
	v_fma_f64 v[16:17], -v[24:25], v[32:33], v[16:17]
	v_fmac_f64_e32 v[12:13], v[22:23], v[32:33]
	s_wait_loadcnt 0x7
	s_delay_alu instid0(VALU_DEP_4) | instskip(NEXT) | instid1(VALU_DEP_4)
	v_fmac_f64_e32 v[14:15], v[38:39], v[34:35]
	v_fmac_f64_e32 v[0:1], v[40:41], v[34:35]
	s_wait_loadcnt 0x6
	s_delay_alu instid0(VALU_DEP_4) | instskip(NEXT) | instid1(VALU_DEP_4)
	v_fmac_f64_e32 v[16:17], v[42:43], v[34:35]
	v_fmac_f64_e32 v[12:13], v[44:45], v[34:35]
	s_delay_alu instid0(VALU_DEP_4) | instskip(NEXT) | instid1(VALU_DEP_4)
	v_fma_f64 v[14:15], -v[40:41], v[36:37], v[14:15]
	v_fmac_f64_e32 v[0:1], v[38:39], v[36:37]
	s_delay_alu instid0(VALU_DEP_4) | instskip(NEXT) | instid1(VALU_DEP_4)
	v_fma_f64 v[16:17], -v[44:45], v[36:37], v[16:17]
	v_fmac_f64_e32 v[12:13], v[42:43], v[36:37]
	s_wait_loadcnt 0x3
	s_delay_alu instid0(VALU_DEP_4) | instskip(NEXT) | instid1(VALU_DEP_4)
	v_fmac_f64_e32 v[14:15], v[50:51], v[54:55]
	v_fmac_f64_e32 v[0:1], v[52:53], v[54:55]
	s_delay_alu instid0(VALU_DEP_4) | instskip(NEXT) | instid1(VALU_DEP_4)
	v_fmac_f64_e32 v[16:17], v[46:47], v[54:55]
	v_fmac_f64_e32 v[12:13], v[48:49], v[54:55]
	s_delay_alu instid0(VALU_DEP_4) | instskip(NEXT) | instid1(VALU_DEP_4)
	v_fma_f64 v[14:15], -v[52:53], v[56:57], v[14:15]
	v_fmac_f64_e32 v[0:1], v[50:51], v[56:57]
	s_delay_alu instid0(VALU_DEP_4) | instskip(NEXT) | instid1(VALU_DEP_4)
	v_fma_f64 v[16:17], -v[48:49], v[56:57], v[16:17]
	v_fmac_f64_e32 v[12:13], v[46:47], v[56:57]
	s_wait_loadcnt 0x1
	s_delay_alu instid0(VALU_DEP_4) | instskip(NEXT) | instid1(VALU_DEP_4)
	v_fmac_f64_e32 v[14:15], v[62:63], v[58:59]
	v_fmac_f64_e32 v[0:1], v[64:65], v[58:59]
	s_wait_loadcnt 0x0
	s_delay_alu instid0(VALU_DEP_4) | instskip(NEXT) | instid1(VALU_DEP_4)
	v_fmac_f64_e32 v[16:17], v[66:67], v[58:59]
	v_fmac_f64_e32 v[12:13], v[68:69], v[58:59]
	s_delay_alu instid0(VALU_DEP_4) | instskip(NEXT) | instid1(VALU_DEP_4)
	v_fma_f64 v[14:15], -v[64:65], v[60:61], v[14:15]
	v_fmac_f64_e32 v[0:1], v[62:63], v[60:61]
	s_delay_alu instid0(VALU_DEP_4) | instskip(NEXT) | instid1(VALU_DEP_4)
	v_fma_f64 v[16:17], -v[68:69], v[60:61], v[16:17]
	v_fmac_f64_e32 v[12:13], v[66:67], v[60:61]
	s_and_not1_b32 exec_lo, exec_lo, s4
	s_cbranch_execnz .LBB240_7
; %bb.8:
	s_or_b32 exec_lo, exec_lo, s4
.LBB240_9:
	s_delay_alu instid0(SALU_CYCLE_1)
	s_or_b32 exec_lo, exec_lo, s3
	s_cbranch_execz .LBB240_11
	s_branch .LBB240_16
.LBB240_10:
                                        ; implicit-def: $vgpr0_vgpr1
                                        ; implicit-def: $vgpr14_vgpr15
                                        ; implicit-def: $vgpr16_vgpr17
                                        ; implicit-def: $vgpr12_vgpr13
.LBB240_11:
	v_mov_b64_e32 v[0:1], 0
	v_mov_b64_e32 v[14:15], 0
	;; [unrolled: 1-line block ×4, first 2 shown]
	s_and_saveexec_b32 s3, s2
	s_cbranch_execz .LBB240_15
; %bb.12:
	v_mov_b64_e32 v[0:1], 0
	v_mov_b64_e32 v[14:15], 0
	v_mov_b64_e32 v[16:17], 0
	v_mov_b64_e32 v[12:13], 0
	v_lshlrev_b32_e32 v20, 3, v19
	s_mov_b32 s2, 0
.LBB240_13:                             ; =>This Inner Loop Header: Depth=1
	global_load_b32 v21, v19, s[6:7] scale_offset
	s_clause 0x2
	global_load_b128 v[22:25], v20, s[8:9] offset:16 scale_offset
	global_load_b128 v[26:29], v20, s[8:9] scale_offset
	global_load_b128 v[30:33], v20, s[8:9] offset:80 scale_offset
	s_wait_xcnt 0x3
	v_add_nc_u32_e32 v19, 16, v19
	s_delay_alu instid0(VALU_DEP_1) | instskip(SKIP_3) | instid1(VALU_DEP_1)
	v_cmp_ge_i32_e32 vcc_lo, v19, v18
	s_or_b32 s2, vcc_lo, s2
	s_wait_loadcnt 0x3
	v_subrev_nc_u32_e32 v21, s12, v21
	v_lshlrev_b32_e32 v21, 2, v21
	global_load_b128 v[34:37], v20, s[8:9] offset:64 scale_offset
	s_clause 0x1
	global_load_b128 v[38:41], v21, s[10:11] scale_offset
	global_load_b128 v[42:45], v21, s[10:11] offset:16 scale_offset
	s_clause 0x3
	global_load_b128 v[46:49], v20, s[8:9] offset:48 scale_offset
	global_load_b128 v[50:53], v20, s[8:9] offset:32 scale_offset
	;; [unrolled: 1-line block ×4, first 2 shown]
	s_clause 0x1
	global_load_b128 v[62:65], v21, s[10:11] offset:32 scale_offset
	global_load_b128 v[66:69], v21, s[10:11] offset:48 scale_offset
	s_wait_xcnt 0x2
	v_add_nc_u32_e32 v20, 0x80, v20
	s_wait_loadcnt 0x7
	v_fmac_f64_e32 v[14:15], v[26:27], v[38:39]
	v_fmac_f64_e32 v[0:1], v[28:29], v[38:39]
	;; [unrolled: 1-line block ×4, first 2 shown]
	s_delay_alu instid0(VALU_DEP_4) | instskip(NEXT) | instid1(VALU_DEP_4)
	v_fma_f64 v[14:15], -v[28:29], v[40:41], v[14:15]
	v_fmac_f64_e32 v[0:1], v[26:27], v[40:41]
	s_delay_alu instid0(VALU_DEP_4) | instskip(NEXT) | instid1(VALU_DEP_4)
	v_fma_f64 v[16:17], -v[36:37], v[40:41], v[16:17]
	v_fmac_f64_e32 v[12:13], v[34:35], v[40:41]
	s_wait_loadcnt 0x6
	s_delay_alu instid0(VALU_DEP_4) | instskip(NEXT) | instid1(VALU_DEP_4)
	v_fmac_f64_e32 v[14:15], v[22:23], v[42:43]
	v_fmac_f64_e32 v[0:1], v[24:25], v[42:43]
	s_delay_alu instid0(VALU_DEP_4) | instskip(NEXT) | instid1(VALU_DEP_4)
	v_fmac_f64_e32 v[16:17], v[30:31], v[42:43]
	v_fmac_f64_e32 v[12:13], v[32:33], v[42:43]
	s_delay_alu instid0(VALU_DEP_4) | instskip(NEXT) | instid1(VALU_DEP_4)
	v_fma_f64 v[14:15], -v[24:25], v[44:45], v[14:15]
	v_fmac_f64_e32 v[0:1], v[22:23], v[44:45]
	s_delay_alu instid0(VALU_DEP_4) | instskip(NEXT) | instid1(VALU_DEP_4)
	v_fma_f64 v[16:17], -v[32:33], v[44:45], v[16:17]
	v_fmac_f64_e32 v[12:13], v[30:31], v[44:45]
	s_wait_loadcnt 0x1
	s_delay_alu instid0(VALU_DEP_4) | instskip(NEXT) | instid1(VALU_DEP_4)
	v_fmac_f64_e32 v[14:15], v[50:51], v[62:63]
	v_fmac_f64_e32 v[0:1], v[52:53], v[62:63]
	s_delay_alu instid0(VALU_DEP_4) | instskip(NEXT) | instid1(VALU_DEP_4)
	v_fmac_f64_e32 v[16:17], v[58:59], v[62:63]
	v_fmac_f64_e32 v[12:13], v[60:61], v[62:63]
	;; [unrolled: 13-line block ×3, first 2 shown]
	s_delay_alu instid0(VALU_DEP_4) | instskip(NEXT) | instid1(VALU_DEP_4)
	v_fma_f64 v[14:15], -v[48:49], v[68:69], v[14:15]
	v_fmac_f64_e32 v[0:1], v[46:47], v[68:69]
	s_delay_alu instid0(VALU_DEP_4) | instskip(NEXT) | instid1(VALU_DEP_4)
	v_fma_f64 v[16:17], -v[56:57], v[68:69], v[16:17]
	v_fmac_f64_e32 v[12:13], v[54:55], v[68:69]
	s_and_not1_b32 exec_lo, exec_lo, s2
	s_cbranch_execnz .LBB240_13
; %bb.14:
	s_or_b32 exec_lo, exec_lo, s2
.LBB240_15:
	s_delay_alu instid0(SALU_CYCLE_1)
	s_or_b32 exec_lo, exec_lo, s3
.LBB240_16:
	v_mbcnt_lo_u32_b32 v28, -1, 0
	s_delay_alu instid0(VALU_DEP_1) | instskip(NEXT) | instid1(VALU_DEP_1)
	v_xor_b32_e32 v18, 8, v28
	v_cmp_gt_i32_e32 vcc_lo, 32, v18
	v_cndmask_b32_e32 v18, v28, v18, vcc_lo
	s_delay_alu instid0(VALU_DEP_1)
	v_lshlrev_b32_e32 v25, 2, v18
	ds_bpermute_b32 v20, v25, v0
	ds_bpermute_b32 v21, v25, v1
	s_wait_dscnt 0x0
	v_add_f64_e32 v[0:1], v[0:1], v[20:21]
	ds_bpermute_b32 v18, v25, v14
	ds_bpermute_b32 v19, v25, v15
	;; [unrolled: 1-line block ×6, first 2 shown]
	s_wait_dscnt 0x4
	v_dual_add_f64 v[14:15], v[14:15], v[18:19] :: v_dual_bitop2_b32 v18, 4, v28 bitop3:0x14
	s_wait_dscnt 0x2
	v_add_f64_e32 v[16:17], v[16:17], v[22:23]
	s_delay_alu instid0(VALU_DEP_2) | instskip(SKIP_2) | instid1(VALU_DEP_1)
	v_cmp_gt_i32_e32 vcc_lo, 32, v18
	v_cndmask_b32_e32 v18, v28, v18, vcc_lo
	s_wait_dscnt 0x0
	v_dual_add_f64 v[12:13], v[12:13], v[24:25] :: v_dual_lshlrev_b32 v25, 2, v18
	ds_bpermute_b32 v20, v25, v0
	ds_bpermute_b32 v21, v25, v1
	;; [unrolled: 1-line block ×8, first 2 shown]
	s_wait_dscnt 0x4
	v_add_f64_e32 v[14:15], v[14:15], v[18:19]
	v_add_f64_e32 v[18:19], v[0:1], v[20:21]
	s_wait_dscnt 0x2
	v_dual_add_f64 v[20:21], v[16:17], v[22:23] :: v_dual_bitop2_b32 v0, 2, v28 bitop3:0x14
	s_delay_alu instid0(VALU_DEP_1) | instskip(SKIP_3) | instid1(VALU_DEP_1)
	v_cmp_gt_i32_e32 vcc_lo, 32, v0
	s_wait_dscnt 0x0
	v_add_f64_e32 v[22:23], v[12:13], v[24:25]
	v_cndmask_b32_e32 v0, v28, v0, vcc_lo
	v_lshlrev_b32_e32 v16, 2, v0
	ds_bpermute_b32 v0, v16, v14
	ds_bpermute_b32 v12, v16, v18
	;; [unrolled: 1-line block ×8, first 2 shown]
	s_wait_dscnt 0x5
	v_add_f64_e32 v[16:17], v[18:19], v[12:13]
	v_xor_b32_e32 v18, 1, v28
	s_wait_dscnt 0x2
	v_add_f64_e32 v[12:13], v[20:21], v[24:25]
	s_delay_alu instid0(VALU_DEP_2) | instskip(SKIP_2) | instid1(VALU_DEP_2)
	v_cmp_gt_i32_e32 vcc_lo, 32, v18
	v_dual_add_f64 v[0:1], v[14:15], v[0:1] :: v_dual_cndmask_b32 v18, v28, v18, vcc_lo
	v_cmp_eq_u32_e32 vcc_lo, 15, v11
	v_lshlrev_b32_e32 v21, 2, v18
	s_wait_dscnt 0x0
	v_add_f64_e32 v[14:15], v[22:23], v[26:27]
	ds_bpermute_b32 v22, v21, v16
	ds_bpermute_b32 v23, v21, v17
	ds_bpermute_b32 v18, v21, v12
	ds_bpermute_b32 v19, v21, v13
	ds_bpermute_b32 v24, v21, v0
	ds_bpermute_b32 v25, v21, v1
	ds_bpermute_b32 v20, v21, v14
	ds_bpermute_b32 v21, v21, v15
	s_and_b32 exec_lo, exec_lo, vcc_lo
	s_cbranch_execz .LBB240_21
; %bb.17:
	v_cmp_eq_f64_e32 vcc_lo, 0, v[6:7]
	v_cmp_eq_f64_e64 s2, 0, v[8:9]
	s_wait_dscnt 0x2
	v_add_f64_e32 v[0:1], v[0:1], v[24:25]
	v_add_f64_e32 v[16:17], v[16:17], v[22:23]
	v_add_f64_e32 v[12:13], v[12:13], v[18:19]
	s_wait_dscnt 0x0
	v_add_f64_e32 v[14:15], v[14:15], v[20:21]
	s_load_b64 s[0:1], s[0:1], 0x48
	s_and_b32 s2, vcc_lo, s2
	s_delay_alu instid0(SALU_CYCLE_1) | instskip(NEXT) | instid1(SALU_CYCLE_1)
	s_and_saveexec_b32 s3, s2
	s_xor_b32 s2, exec_lo, s3
	s_cbranch_execz .LBB240_19
; %bb.18:
	s_delay_alu instid0(VALU_DEP_3) | instskip(SKIP_1) | instid1(VALU_DEP_3)
	v_mul_f64_e64 v[6:7], v[16:17], -v[4:5]
	v_mul_f64_e32 v[8:9], v[2:3], v[16:17]
	v_mul_f64_e64 v[16:17], v[14:15], -v[4:5]
	v_mul_f64_e32 v[18:19], v[2:3], v[14:15]
                                        ; implicit-def: $vgpr14_vgpr15
	s_delay_alu instid0(VALU_DEP_4) | instskip(NEXT) | instid1(VALU_DEP_4)
	v_fmac_f64_e32 v[6:7], v[2:3], v[0:1]
	v_fmac_f64_e32 v[8:9], v[4:5], v[0:1]
	s_delay_alu instid0(VALU_DEP_4) | instskip(NEXT) | instid1(VALU_DEP_4)
	v_fmac_f64_e32 v[16:17], v[2:3], v[12:13]
	v_fmac_f64_e32 v[18:19], v[4:5], v[12:13]
	v_lshlrev_b32_e32 v0, 1, v10
                                        ; implicit-def: $vgpr10
                                        ; implicit-def: $vgpr12_vgpr13
                                        ; implicit-def: $vgpr4_vgpr5
	s_wait_kmcnt 0x0
	s_clause 0x1
	global_store_b128 v0, v[6:9], s[0:1] scale_offset
	global_store_b128 v0, v[16:19], s[0:1] offset:16 scale_offset
                                        ; implicit-def: $vgpr0_vgpr1
                                        ; implicit-def: $vgpr16_vgpr17
                                        ; implicit-def: $vgpr8_vgpr9
.LBB240_19:
	s_wait_xcnt 0x0
	s_and_not1_saveexec_b32 s2, s2
	s_cbranch_execz .LBB240_21
; %bb.20:
	s_delay_alu instid0(VALU_DEP_3) | instskip(SKIP_1) | instid1(VALU_DEP_3)
	v_dual_mul_f64 v[26:27], v[16:17], -v[4:5] :: v_dual_lshlrev_b32 v30, 1, v10
	v_mul_f64_e32 v[16:17], v[2:3], v[16:17]
	v_mul_f64_e64 v[28:29], v[14:15], -v[4:5]
	v_mul_f64_e32 v[10:11], v[2:3], v[14:15]
	s_wait_kmcnt 0x0
	s_clause 0x1
	global_load_b128 v[18:21], v30, s[0:1] scale_offset
	global_load_b128 v[22:25], v30, s[0:1] offset:16 scale_offset
	v_fmac_f64_e32 v[26:27], v[2:3], v[0:1]
	v_fmac_f64_e32 v[16:17], v[4:5], v[0:1]
	;; [unrolled: 1-line block ×4, first 2 shown]
	s_wait_loadcnt 0x1
	s_delay_alu instid0(VALU_DEP_4) | instskip(NEXT) | instid1(VALU_DEP_4)
	v_fmac_f64_e32 v[26:27], v[6:7], v[18:19]
	v_fmac_f64_e32 v[16:17], v[8:9], v[18:19]
	s_wait_loadcnt 0x0
	s_delay_alu instid0(VALU_DEP_4) | instskip(NEXT) | instid1(VALU_DEP_4)
	v_fmac_f64_e32 v[28:29], v[6:7], v[22:23]
	v_fmac_f64_e32 v[10:11], v[8:9], v[22:23]
	s_delay_alu instid0(VALU_DEP_4) | instskip(NEXT) | instid1(VALU_DEP_4)
	v_fma_f64 v[14:15], -v[8:9], v[20:21], v[26:27]
	v_fmac_f64_e32 v[16:17], v[6:7], v[20:21]
	s_delay_alu instid0(VALU_DEP_4) | instskip(NEXT) | instid1(VALU_DEP_4)
	v_fma_f64 v[8:9], -v[8:9], v[24:25], v[28:29]
	v_fmac_f64_e32 v[10:11], v[6:7], v[24:25]
	s_clause 0x1
	global_store_b128 v30, v[14:17], s[0:1] scale_offset
	global_store_b128 v30, v[8:11], s[0:1] offset:16 scale_offset
.LBB240_21:
	s_sendmsg sendmsg(MSG_DEALLOC_VGPRS)
	s_endpgm
	.section	.rodata,"a",@progbits
	.p2align	6, 0x0
	.amdhsa_kernel _ZN9rocsparseL19gebsrmvn_2xn_kernelILj128ELj4ELj16E21rocsparse_complex_numIdEEEvi20rocsparse_direction_NS_24const_host_device_scalarIT2_EEPKiS8_PKS5_SA_S6_PS5_21rocsparse_index_base_b
		.amdhsa_group_segment_fixed_size 0
		.amdhsa_private_segment_fixed_size 0
		.amdhsa_kernarg_size 88
		.amdhsa_user_sgpr_count 2
		.amdhsa_user_sgpr_dispatch_ptr 0
		.amdhsa_user_sgpr_queue_ptr 0
		.amdhsa_user_sgpr_kernarg_segment_ptr 1
		.amdhsa_user_sgpr_dispatch_id 0
		.amdhsa_user_sgpr_kernarg_preload_length 0
		.amdhsa_user_sgpr_kernarg_preload_offset 0
		.amdhsa_user_sgpr_private_segment_size 0
		.amdhsa_wavefront_size32 1
		.amdhsa_uses_dynamic_stack 0
		.amdhsa_enable_private_segment 0
		.amdhsa_system_sgpr_workgroup_id_x 1
		.amdhsa_system_sgpr_workgroup_id_y 0
		.amdhsa_system_sgpr_workgroup_id_z 0
		.amdhsa_system_sgpr_workgroup_info 0
		.amdhsa_system_vgpr_workitem_id 0
		.amdhsa_next_free_vgpr 71
		.amdhsa_next_free_sgpr 14
		.amdhsa_named_barrier_count 0
		.amdhsa_reserve_vcc 1
		.amdhsa_float_round_mode_32 0
		.amdhsa_float_round_mode_16_64 0
		.amdhsa_float_denorm_mode_32 3
		.amdhsa_float_denorm_mode_16_64 3
		.amdhsa_fp16_overflow 0
		.amdhsa_memory_ordered 1
		.amdhsa_forward_progress 1
		.amdhsa_inst_pref_size 18
		.amdhsa_round_robin_scheduling 0
		.amdhsa_exception_fp_ieee_invalid_op 0
		.amdhsa_exception_fp_denorm_src 0
		.amdhsa_exception_fp_ieee_div_zero 0
		.amdhsa_exception_fp_ieee_overflow 0
		.amdhsa_exception_fp_ieee_underflow 0
		.amdhsa_exception_fp_ieee_inexact 0
		.amdhsa_exception_int_div_zero 0
	.end_amdhsa_kernel
	.section	.text._ZN9rocsparseL19gebsrmvn_2xn_kernelILj128ELj4ELj16E21rocsparse_complex_numIdEEEvi20rocsparse_direction_NS_24const_host_device_scalarIT2_EEPKiS8_PKS5_SA_S6_PS5_21rocsparse_index_base_b,"axG",@progbits,_ZN9rocsparseL19gebsrmvn_2xn_kernelILj128ELj4ELj16E21rocsparse_complex_numIdEEEvi20rocsparse_direction_NS_24const_host_device_scalarIT2_EEPKiS8_PKS5_SA_S6_PS5_21rocsparse_index_base_b,comdat
.Lfunc_end240:
	.size	_ZN9rocsparseL19gebsrmvn_2xn_kernelILj128ELj4ELj16E21rocsparse_complex_numIdEEEvi20rocsparse_direction_NS_24const_host_device_scalarIT2_EEPKiS8_PKS5_SA_S6_PS5_21rocsparse_index_base_b, .Lfunc_end240-_ZN9rocsparseL19gebsrmvn_2xn_kernelILj128ELj4ELj16E21rocsparse_complex_numIdEEEvi20rocsparse_direction_NS_24const_host_device_scalarIT2_EEPKiS8_PKS5_SA_S6_PS5_21rocsparse_index_base_b
                                        ; -- End function
	.set _ZN9rocsparseL19gebsrmvn_2xn_kernelILj128ELj4ELj16E21rocsparse_complex_numIdEEEvi20rocsparse_direction_NS_24const_host_device_scalarIT2_EEPKiS8_PKS5_SA_S6_PS5_21rocsparse_index_base_b.num_vgpr, 71
	.set _ZN9rocsparseL19gebsrmvn_2xn_kernelILj128ELj4ELj16E21rocsparse_complex_numIdEEEvi20rocsparse_direction_NS_24const_host_device_scalarIT2_EEPKiS8_PKS5_SA_S6_PS5_21rocsparse_index_base_b.num_agpr, 0
	.set _ZN9rocsparseL19gebsrmvn_2xn_kernelILj128ELj4ELj16E21rocsparse_complex_numIdEEEvi20rocsparse_direction_NS_24const_host_device_scalarIT2_EEPKiS8_PKS5_SA_S6_PS5_21rocsparse_index_base_b.numbered_sgpr, 14
	.set _ZN9rocsparseL19gebsrmvn_2xn_kernelILj128ELj4ELj16E21rocsparse_complex_numIdEEEvi20rocsparse_direction_NS_24const_host_device_scalarIT2_EEPKiS8_PKS5_SA_S6_PS5_21rocsparse_index_base_b.num_named_barrier, 0
	.set _ZN9rocsparseL19gebsrmvn_2xn_kernelILj128ELj4ELj16E21rocsparse_complex_numIdEEEvi20rocsparse_direction_NS_24const_host_device_scalarIT2_EEPKiS8_PKS5_SA_S6_PS5_21rocsparse_index_base_b.private_seg_size, 0
	.set _ZN9rocsparseL19gebsrmvn_2xn_kernelILj128ELj4ELj16E21rocsparse_complex_numIdEEEvi20rocsparse_direction_NS_24const_host_device_scalarIT2_EEPKiS8_PKS5_SA_S6_PS5_21rocsparse_index_base_b.uses_vcc, 1
	.set _ZN9rocsparseL19gebsrmvn_2xn_kernelILj128ELj4ELj16E21rocsparse_complex_numIdEEEvi20rocsparse_direction_NS_24const_host_device_scalarIT2_EEPKiS8_PKS5_SA_S6_PS5_21rocsparse_index_base_b.uses_flat_scratch, 0
	.set _ZN9rocsparseL19gebsrmvn_2xn_kernelILj128ELj4ELj16E21rocsparse_complex_numIdEEEvi20rocsparse_direction_NS_24const_host_device_scalarIT2_EEPKiS8_PKS5_SA_S6_PS5_21rocsparse_index_base_b.has_dyn_sized_stack, 0
	.set _ZN9rocsparseL19gebsrmvn_2xn_kernelILj128ELj4ELj16E21rocsparse_complex_numIdEEEvi20rocsparse_direction_NS_24const_host_device_scalarIT2_EEPKiS8_PKS5_SA_S6_PS5_21rocsparse_index_base_b.has_recursion, 0
	.set _ZN9rocsparseL19gebsrmvn_2xn_kernelILj128ELj4ELj16E21rocsparse_complex_numIdEEEvi20rocsparse_direction_NS_24const_host_device_scalarIT2_EEPKiS8_PKS5_SA_S6_PS5_21rocsparse_index_base_b.has_indirect_call, 0
	.section	.AMDGPU.csdata,"",@progbits
; Kernel info:
; codeLenInByte = 2192
; TotalNumSgprs: 16
; NumVgprs: 71
; ScratchSize: 0
; MemoryBound: 1
; FloatMode: 240
; IeeeMode: 1
; LDSByteSize: 0 bytes/workgroup (compile time only)
; SGPRBlocks: 0
; VGPRBlocks: 4
; NumSGPRsForWavesPerEU: 16
; NumVGPRsForWavesPerEU: 71
; NamedBarCnt: 0
; Occupancy: 12
; WaveLimiterHint : 1
; COMPUTE_PGM_RSRC2:SCRATCH_EN: 0
; COMPUTE_PGM_RSRC2:USER_SGPR: 2
; COMPUTE_PGM_RSRC2:TRAP_HANDLER: 0
; COMPUTE_PGM_RSRC2:TGID_X_EN: 1
; COMPUTE_PGM_RSRC2:TGID_Y_EN: 0
; COMPUTE_PGM_RSRC2:TGID_Z_EN: 0
; COMPUTE_PGM_RSRC2:TIDIG_COMP_CNT: 0
	.section	.text._ZN9rocsparseL19gebsrmvn_2xn_kernelILj128ELj4ELj32E21rocsparse_complex_numIdEEEvi20rocsparse_direction_NS_24const_host_device_scalarIT2_EEPKiS8_PKS5_SA_S6_PS5_21rocsparse_index_base_b,"axG",@progbits,_ZN9rocsparseL19gebsrmvn_2xn_kernelILj128ELj4ELj32E21rocsparse_complex_numIdEEEvi20rocsparse_direction_NS_24const_host_device_scalarIT2_EEPKiS8_PKS5_SA_S6_PS5_21rocsparse_index_base_b,comdat
	.globl	_ZN9rocsparseL19gebsrmvn_2xn_kernelILj128ELj4ELj32E21rocsparse_complex_numIdEEEvi20rocsparse_direction_NS_24const_host_device_scalarIT2_EEPKiS8_PKS5_SA_S6_PS5_21rocsparse_index_base_b ; -- Begin function _ZN9rocsparseL19gebsrmvn_2xn_kernelILj128ELj4ELj32E21rocsparse_complex_numIdEEEvi20rocsparse_direction_NS_24const_host_device_scalarIT2_EEPKiS8_PKS5_SA_S6_PS5_21rocsparse_index_base_b
	.p2align	8
	.type	_ZN9rocsparseL19gebsrmvn_2xn_kernelILj128ELj4ELj32E21rocsparse_complex_numIdEEEvi20rocsparse_direction_NS_24const_host_device_scalarIT2_EEPKiS8_PKS5_SA_S6_PS5_21rocsparse_index_base_b,@function
_ZN9rocsparseL19gebsrmvn_2xn_kernelILj128ELj4ELj32E21rocsparse_complex_numIdEEEvi20rocsparse_direction_NS_24const_host_device_scalarIT2_EEPKiS8_PKS5_SA_S6_PS5_21rocsparse_index_base_b: ; @_ZN9rocsparseL19gebsrmvn_2xn_kernelILj128ELj4ELj32E21rocsparse_complex_numIdEEEvi20rocsparse_direction_NS_24const_host_device_scalarIT2_EEPKiS8_PKS5_SA_S6_PS5_21rocsparse_index_base_b
; %bb.0:
	s_clause 0x1
	s_load_b64 s[12:13], s[0:1], 0x50
	s_load_b64 s[2:3], s[0:1], 0x8
	v_mov_b32_e32 v1, 0
	s_add_nc_u64 s[4:5], s[0:1], 8
	s_load_b64 s[6:7], s[0:1], 0x38
	s_wait_kmcnt 0x0
	s_bitcmp1_b32 s13, 0
	s_cselect_b32 s3, s5, s3
	s_cselect_b32 s2, s4, s2
	flat_load_b128 v[2:5], v1, s[2:3]
	s_wait_xcnt 0x0
	s_add_nc_u64 s[2:3], s[0:1], 56
	s_delay_alu instid0(SALU_CYCLE_1)
	s_cselect_b32 s3, s3, s7
	s_cselect_b32 s2, s2, s6
	flat_load_b128 v[6:9], v1, s[2:3]
	s_wait_loadcnt_dscnt 0x101
	v_cmp_eq_f64_e32 vcc_lo, 0, v[2:3]
	s_wait_xcnt 0x0
	v_cmp_eq_f64_e64 s2, 0, v[4:5]
	s_and_b32 s4, vcc_lo, s2
	s_mov_b32 s2, -1
	s_and_saveexec_b32 s3, s4
	s_cbranch_execz .LBB241_2
; %bb.1:
	s_wait_loadcnt_dscnt 0x0
	v_cmp_neq_f64_e32 vcc_lo, 1.0, v[6:7]
	v_cmp_neq_f64_e64 s2, 0, v[8:9]
	s_or_b32 s2, vcc_lo, s2
	s_delay_alu instid0(SALU_CYCLE_1)
	s_or_not1_b32 s2, s2, exec_lo
.LBB241_2:
	s_or_b32 exec_lo, exec_lo, s3
	s_and_saveexec_b32 s3, s2
	s_cbranch_execz .LBB241_21
; %bb.3:
	s_load_b64 s[2:3], s[0:1], 0x0
	s_bfe_u32 s4, ttmp6, 0x4000c
	s_and_b32 s5, ttmp6, 15
	s_add_co_i32 s4, s4, 1
	s_getreg_b32 s6, hwreg(HW_REG_IB_STS2, 6, 4)
	s_mul_i32 s4, ttmp9, s4
	v_lshrrev_b32_e32 v1, 5, v0
	s_add_co_i32 s5, s5, s4
	s_cmp_eq_u32 s6, 0
	s_cselect_b32 s4, ttmp9, s5
	s_delay_alu instid0(VALU_DEP_1) | instid1(SALU_CYCLE_1)
	v_lshl_or_b32 v10, s4, 2, v1
	s_wait_kmcnt 0x0
	s_delay_alu instid0(VALU_DEP_1)
	v_cmp_gt_i32_e32 vcc_lo, s2, v10
	s_and_b32 exec_lo, exec_lo, vcc_lo
	s_cbranch_execz .LBB241_21
; %bb.4:
	s_load_b256 s[4:11], s[0:1], 0x18
	v_ashrrev_i32_e32 v11, 31, v10
	s_cmp_lg_u32 s3, 0
	s_wait_kmcnt 0x0
	s_delay_alu instid0(VALU_DEP_1)
	v_lshl_add_u64 v[12:13], v[10:11], 2, s[4:5]
	v_and_b32_e32 v11, 31, v0
	global_load_b64 v[12:13], v[12:13], off
	s_wait_loadcnt 0x0
	v_subrev_nc_u32_e32 v0, s12, v12
	v_subrev_nc_u32_e32 v18, s12, v13
	s_delay_alu instid0(VALU_DEP_2) | instskip(NEXT) | instid1(VALU_DEP_1)
	v_add_nc_u32_e32 v19, v0, v11
	v_cmp_lt_i32_e64 s2, v19, v18
	s_cbranch_scc0 .LBB241_10
; %bb.5:
	v_mov_b64_e32 v[0:1], 0
	v_mov_b64_e32 v[14:15], 0
	v_mov_b64_e32 v[16:17], 0
	v_mov_b64_e32 v[12:13], 0
	s_and_saveexec_b32 s3, s2
	s_cbranch_execz .LBB241_9
; %bb.6:
	v_mov_b64_e32 v[0:1], 0
	v_mov_b64_e32 v[14:15], 0
	;; [unrolled: 1-line block ×4, first 2 shown]
	v_dual_mov_b32 v21, v19 :: v_dual_lshlrev_b32 v20, 3, v19
	s_mov_b32 s4, 0
.LBB241_7:                              ; =>This Inner Loop Header: Depth=1
	global_load_b32 v22, v21, s[6:7] scale_offset
	s_wait_xcnt 0x0
	v_add_nc_u32_e32 v21, 32, v21
	s_delay_alu instid0(VALU_DEP_1)
	v_cmp_ge_i32_e32 vcc_lo, v21, v18
	s_or_b32 s4, vcc_lo, s4
	s_wait_loadcnt 0x0
	v_subrev_nc_u32_e32 v26, s12, v22
	global_load_b128 v[22:25], v20, s[8:9] offset:16 scale_offset
	v_lshlrev_b32_e32 v70, 2, v26
	global_load_b128 v[26:29], v20, s[8:9] scale_offset
	s_clause 0x1
	global_load_b128 v[30:33], v70, s[10:11] scale_offset
	global_load_b128 v[34:37], v70, s[10:11] offset:16 scale_offset
	s_clause 0x3
	global_load_b128 v[38:41], v20, s[8:9] offset:32 scale_offset
	global_load_b128 v[42:45], v20, s[8:9] offset:48 scale_offset
	;; [unrolled: 1-line block ×4, first 2 shown]
	s_clause 0x1
	global_load_b128 v[54:57], v70, s[10:11] offset:32 scale_offset
	global_load_b128 v[58:61], v70, s[10:11] offset:48 scale_offset
	s_clause 0x1
	global_load_b128 v[62:65], v20, s[8:9] offset:96 scale_offset
	global_load_b128 v[66:69], v20, s[8:9] offset:112 scale_offset
	s_wait_xcnt 0x0
	v_add_nc_u32_e32 v20, 0x100, v20
	s_wait_loadcnt 0x9
	v_fmac_f64_e32 v[14:15], v[26:27], v[30:31]
	v_fmac_f64_e32 v[0:1], v[28:29], v[30:31]
	;; [unrolled: 1-line block ×4, first 2 shown]
	s_delay_alu instid0(VALU_DEP_4) | instskip(NEXT) | instid1(VALU_DEP_4)
	v_fma_f64 v[14:15], -v[28:29], v[32:33], v[14:15]
	v_fmac_f64_e32 v[0:1], v[26:27], v[32:33]
	s_delay_alu instid0(VALU_DEP_4) | instskip(NEXT) | instid1(VALU_DEP_4)
	v_fma_f64 v[16:17], -v[24:25], v[32:33], v[16:17]
	v_fmac_f64_e32 v[12:13], v[22:23], v[32:33]
	s_wait_loadcnt 0x7
	s_delay_alu instid0(VALU_DEP_4) | instskip(NEXT) | instid1(VALU_DEP_4)
	v_fmac_f64_e32 v[14:15], v[38:39], v[34:35]
	v_fmac_f64_e32 v[0:1], v[40:41], v[34:35]
	s_wait_loadcnt 0x6
	s_delay_alu instid0(VALU_DEP_4) | instskip(NEXT) | instid1(VALU_DEP_4)
	v_fmac_f64_e32 v[16:17], v[42:43], v[34:35]
	v_fmac_f64_e32 v[12:13], v[44:45], v[34:35]
	s_delay_alu instid0(VALU_DEP_4) | instskip(NEXT) | instid1(VALU_DEP_4)
	v_fma_f64 v[14:15], -v[40:41], v[36:37], v[14:15]
	v_fmac_f64_e32 v[0:1], v[38:39], v[36:37]
	s_delay_alu instid0(VALU_DEP_4) | instskip(NEXT) | instid1(VALU_DEP_4)
	v_fma_f64 v[16:17], -v[44:45], v[36:37], v[16:17]
	v_fmac_f64_e32 v[12:13], v[42:43], v[36:37]
	s_wait_loadcnt 0x3
	s_delay_alu instid0(VALU_DEP_4) | instskip(NEXT) | instid1(VALU_DEP_4)
	v_fmac_f64_e32 v[14:15], v[50:51], v[54:55]
	v_fmac_f64_e32 v[0:1], v[52:53], v[54:55]
	s_delay_alu instid0(VALU_DEP_4) | instskip(NEXT) | instid1(VALU_DEP_4)
	v_fmac_f64_e32 v[16:17], v[46:47], v[54:55]
	v_fmac_f64_e32 v[12:13], v[48:49], v[54:55]
	s_delay_alu instid0(VALU_DEP_4) | instskip(NEXT) | instid1(VALU_DEP_4)
	v_fma_f64 v[14:15], -v[52:53], v[56:57], v[14:15]
	v_fmac_f64_e32 v[0:1], v[50:51], v[56:57]
	s_delay_alu instid0(VALU_DEP_4) | instskip(NEXT) | instid1(VALU_DEP_4)
	v_fma_f64 v[16:17], -v[48:49], v[56:57], v[16:17]
	v_fmac_f64_e32 v[12:13], v[46:47], v[56:57]
	s_wait_loadcnt 0x1
	s_delay_alu instid0(VALU_DEP_4) | instskip(NEXT) | instid1(VALU_DEP_4)
	v_fmac_f64_e32 v[14:15], v[62:63], v[58:59]
	v_fmac_f64_e32 v[0:1], v[64:65], v[58:59]
	s_wait_loadcnt 0x0
	s_delay_alu instid0(VALU_DEP_4) | instskip(NEXT) | instid1(VALU_DEP_4)
	v_fmac_f64_e32 v[16:17], v[66:67], v[58:59]
	v_fmac_f64_e32 v[12:13], v[68:69], v[58:59]
	s_delay_alu instid0(VALU_DEP_4) | instskip(NEXT) | instid1(VALU_DEP_4)
	v_fma_f64 v[14:15], -v[64:65], v[60:61], v[14:15]
	v_fmac_f64_e32 v[0:1], v[62:63], v[60:61]
	s_delay_alu instid0(VALU_DEP_4) | instskip(NEXT) | instid1(VALU_DEP_4)
	v_fma_f64 v[16:17], -v[68:69], v[60:61], v[16:17]
	v_fmac_f64_e32 v[12:13], v[66:67], v[60:61]
	s_and_not1_b32 exec_lo, exec_lo, s4
	s_cbranch_execnz .LBB241_7
; %bb.8:
	s_or_b32 exec_lo, exec_lo, s4
.LBB241_9:
	s_delay_alu instid0(SALU_CYCLE_1)
	s_or_b32 exec_lo, exec_lo, s3
	s_cbranch_execz .LBB241_11
	s_branch .LBB241_16
.LBB241_10:
                                        ; implicit-def: $vgpr0_vgpr1
                                        ; implicit-def: $vgpr14_vgpr15
                                        ; implicit-def: $vgpr16_vgpr17
                                        ; implicit-def: $vgpr12_vgpr13
.LBB241_11:
	v_mov_b64_e32 v[0:1], 0
	v_mov_b64_e32 v[14:15], 0
	;; [unrolled: 1-line block ×4, first 2 shown]
	s_and_saveexec_b32 s3, s2
	s_cbranch_execz .LBB241_15
; %bb.12:
	v_mov_b64_e32 v[0:1], 0
	v_mov_b64_e32 v[14:15], 0
	;; [unrolled: 1-line block ×4, first 2 shown]
	v_lshlrev_b32_e32 v20, 3, v19
	s_mov_b32 s2, 0
.LBB241_13:                             ; =>This Inner Loop Header: Depth=1
	global_load_b32 v21, v19, s[6:7] scale_offset
	s_clause 0x2
	global_load_b128 v[22:25], v20, s[8:9] offset:16 scale_offset
	global_load_b128 v[26:29], v20, s[8:9] scale_offset
	global_load_b128 v[30:33], v20, s[8:9] offset:80 scale_offset
	s_wait_xcnt 0x3
	v_add_nc_u32_e32 v19, 32, v19
	s_delay_alu instid0(VALU_DEP_1) | instskip(SKIP_3) | instid1(VALU_DEP_1)
	v_cmp_ge_i32_e32 vcc_lo, v19, v18
	s_or_b32 s2, vcc_lo, s2
	s_wait_loadcnt 0x3
	v_subrev_nc_u32_e32 v21, s12, v21
	v_lshlrev_b32_e32 v21, 2, v21
	global_load_b128 v[34:37], v20, s[8:9] offset:64 scale_offset
	s_clause 0x1
	global_load_b128 v[38:41], v21, s[10:11] scale_offset
	global_load_b128 v[42:45], v21, s[10:11] offset:16 scale_offset
	s_clause 0x3
	global_load_b128 v[46:49], v20, s[8:9] offset:48 scale_offset
	global_load_b128 v[50:53], v20, s[8:9] offset:32 scale_offset
	;; [unrolled: 1-line block ×4, first 2 shown]
	s_clause 0x1
	global_load_b128 v[62:65], v21, s[10:11] offset:32 scale_offset
	global_load_b128 v[66:69], v21, s[10:11] offset:48 scale_offset
	s_wait_xcnt 0x2
	v_add_nc_u32_e32 v20, 0x100, v20
	s_wait_loadcnt 0x7
	v_fmac_f64_e32 v[14:15], v[26:27], v[38:39]
	v_fmac_f64_e32 v[0:1], v[28:29], v[38:39]
	;; [unrolled: 1-line block ×4, first 2 shown]
	s_delay_alu instid0(VALU_DEP_4) | instskip(NEXT) | instid1(VALU_DEP_4)
	v_fma_f64 v[14:15], -v[28:29], v[40:41], v[14:15]
	v_fmac_f64_e32 v[0:1], v[26:27], v[40:41]
	s_delay_alu instid0(VALU_DEP_4) | instskip(NEXT) | instid1(VALU_DEP_4)
	v_fma_f64 v[16:17], -v[36:37], v[40:41], v[16:17]
	v_fmac_f64_e32 v[12:13], v[34:35], v[40:41]
	s_wait_loadcnt 0x6
	s_delay_alu instid0(VALU_DEP_4) | instskip(NEXT) | instid1(VALU_DEP_4)
	v_fmac_f64_e32 v[14:15], v[22:23], v[42:43]
	v_fmac_f64_e32 v[0:1], v[24:25], v[42:43]
	s_delay_alu instid0(VALU_DEP_4) | instskip(NEXT) | instid1(VALU_DEP_4)
	v_fmac_f64_e32 v[16:17], v[30:31], v[42:43]
	v_fmac_f64_e32 v[12:13], v[32:33], v[42:43]
	s_delay_alu instid0(VALU_DEP_4) | instskip(NEXT) | instid1(VALU_DEP_4)
	v_fma_f64 v[14:15], -v[24:25], v[44:45], v[14:15]
	v_fmac_f64_e32 v[0:1], v[22:23], v[44:45]
	s_delay_alu instid0(VALU_DEP_4) | instskip(NEXT) | instid1(VALU_DEP_4)
	v_fma_f64 v[16:17], -v[32:33], v[44:45], v[16:17]
	v_fmac_f64_e32 v[12:13], v[30:31], v[44:45]
	s_wait_loadcnt 0x1
	s_delay_alu instid0(VALU_DEP_4) | instskip(NEXT) | instid1(VALU_DEP_4)
	v_fmac_f64_e32 v[14:15], v[50:51], v[62:63]
	v_fmac_f64_e32 v[0:1], v[52:53], v[62:63]
	s_delay_alu instid0(VALU_DEP_4) | instskip(NEXT) | instid1(VALU_DEP_4)
	v_fmac_f64_e32 v[16:17], v[58:59], v[62:63]
	v_fmac_f64_e32 v[12:13], v[60:61], v[62:63]
	;; [unrolled: 13-line block ×3, first 2 shown]
	s_delay_alu instid0(VALU_DEP_4) | instskip(NEXT) | instid1(VALU_DEP_4)
	v_fma_f64 v[14:15], -v[48:49], v[68:69], v[14:15]
	v_fmac_f64_e32 v[0:1], v[46:47], v[68:69]
	s_delay_alu instid0(VALU_DEP_4) | instskip(NEXT) | instid1(VALU_DEP_4)
	v_fma_f64 v[16:17], -v[56:57], v[68:69], v[16:17]
	v_fmac_f64_e32 v[12:13], v[54:55], v[68:69]
	s_and_not1_b32 exec_lo, exec_lo, s2
	s_cbranch_execnz .LBB241_13
; %bb.14:
	s_or_b32 exec_lo, exec_lo, s2
.LBB241_15:
	s_delay_alu instid0(SALU_CYCLE_1)
	s_or_b32 exec_lo, exec_lo, s3
.LBB241_16:
	v_mbcnt_lo_u32_b32 v28, -1, 0
	s_delay_alu instid0(VALU_DEP_1) | instskip(NEXT) | instid1(VALU_DEP_1)
	v_xor_b32_e32 v18, 16, v28
	v_cmp_gt_i32_e32 vcc_lo, 32, v18
	v_cndmask_b32_e32 v18, v28, v18, vcc_lo
	s_delay_alu instid0(VALU_DEP_1)
	v_lshlrev_b32_e32 v25, 2, v18
	ds_bpermute_b32 v20, v25, v0
	ds_bpermute_b32 v21, v25, v1
	s_wait_dscnt 0x0
	v_add_f64_e32 v[0:1], v[0:1], v[20:21]
	ds_bpermute_b32 v18, v25, v14
	ds_bpermute_b32 v19, v25, v15
	ds_bpermute_b32 v22, v25, v16
	ds_bpermute_b32 v23, v25, v17
	ds_bpermute_b32 v24, v25, v12
	ds_bpermute_b32 v25, v25, v13
	s_wait_dscnt 0x4
	v_dual_add_f64 v[14:15], v[14:15], v[18:19] :: v_dual_bitop2_b32 v18, 8, v28 bitop3:0x14
	s_wait_dscnt 0x2
	v_add_f64_e32 v[16:17], v[16:17], v[22:23]
	s_delay_alu instid0(VALU_DEP_2) | instskip(SKIP_2) | instid1(VALU_DEP_1)
	v_cmp_gt_i32_e32 vcc_lo, 32, v18
	v_cndmask_b32_e32 v18, v28, v18, vcc_lo
	s_wait_dscnt 0x0
	v_dual_add_f64 v[12:13], v[12:13], v[24:25] :: v_dual_lshlrev_b32 v25, 2, v18
	ds_bpermute_b32 v20, v25, v0
	ds_bpermute_b32 v21, v25, v1
	;; [unrolled: 1-line block ×8, first 2 shown]
	s_wait_dscnt 0x4
	v_dual_add_f64 v[14:15], v[14:15], v[18:19] :: v_dual_bitop2_b32 v18, 4, v28 bitop3:0x14
	s_wait_dscnt 0x2
	v_add_f64_e32 v[16:17], v[16:17], v[22:23]
	s_delay_alu instid0(VALU_DEP_2) | instskip(SKIP_3) | instid1(VALU_DEP_2)
	v_cmp_gt_i32_e32 vcc_lo, 32, v18
	v_cndmask_b32_e32 v18, v28, v18, vcc_lo
	v_add_f64_e32 v[0:1], v[0:1], v[20:21]
	s_wait_dscnt 0x0
	v_dual_add_f64 v[12:13], v[12:13], v[24:25] :: v_dual_lshlrev_b32 v25, 2, v18
	ds_bpermute_b32 v18, v25, v14
	ds_bpermute_b32 v19, v25, v15
	;; [unrolled: 1-line block ×8, first 2 shown]
	s_wait_dscnt 0x6
	v_add_f64_e32 v[14:15], v[14:15], v[18:19]
	s_wait_dscnt 0x2
	v_add_f64_e32 v[18:19], v[0:1], v[20:21]
	v_add_f64_e32 v[20:21], v[16:17], v[22:23]
	s_wait_dscnt 0x0
	v_add_f64_e32 v[22:23], v[12:13], v[24:25]
	v_xor_b32_e32 v0, 2, v28
	s_delay_alu instid0(VALU_DEP_1) | instskip(SKIP_1) | instid1(VALU_DEP_1)
	v_cmp_gt_i32_e32 vcc_lo, 32, v0
	v_cndmask_b32_e32 v0, v28, v0, vcc_lo
	v_lshlrev_b32_e32 v16, 2, v0
	ds_bpermute_b32 v0, v16, v14
	ds_bpermute_b32 v1, v16, v15
	;; [unrolled: 1-line block ×8, first 2 shown]
	s_wait_dscnt 0x4
	v_add_f64_e32 v[16:17], v[18:19], v[12:13]
	v_xor_b32_e32 v18, 1, v28
	s_wait_dscnt 0x2
	v_add_f64_e32 v[12:13], v[20:21], v[24:25]
	s_delay_alu instid0(VALU_DEP_2)
	v_cmp_gt_i32_e32 vcc_lo, 32, v18
	v_add_f64_e32 v[0:1], v[14:15], v[0:1]
	s_wait_dscnt 0x0
	v_add_f64_e32 v[14:15], v[22:23], v[26:27]
	v_cndmask_b32_e32 v18, v28, v18, vcc_lo
	v_cmp_eq_u32_e32 vcc_lo, 31, v11
	s_delay_alu instid0(VALU_DEP_2)
	v_lshlrev_b32_e32 v21, 2, v18
	ds_bpermute_b32 v22, v21, v16
	ds_bpermute_b32 v23, v21, v17
	;; [unrolled: 1-line block ×8, first 2 shown]
	s_and_b32 exec_lo, exec_lo, vcc_lo
	s_cbranch_execz .LBB241_21
; %bb.17:
	v_cmp_eq_f64_e32 vcc_lo, 0, v[6:7]
	v_cmp_eq_f64_e64 s2, 0, v[8:9]
	s_wait_dscnt 0x2
	v_add_f64_e32 v[0:1], v[0:1], v[24:25]
	v_add_f64_e32 v[16:17], v[16:17], v[22:23]
	;; [unrolled: 1-line block ×3, first 2 shown]
	s_wait_dscnt 0x0
	v_add_f64_e32 v[14:15], v[14:15], v[20:21]
	s_load_b64 s[0:1], s[0:1], 0x48
	s_and_b32 s2, vcc_lo, s2
	s_delay_alu instid0(SALU_CYCLE_1) | instskip(NEXT) | instid1(SALU_CYCLE_1)
	s_and_saveexec_b32 s3, s2
	s_xor_b32 s2, exec_lo, s3
	s_cbranch_execz .LBB241_19
; %bb.18:
	s_delay_alu instid0(VALU_DEP_3) | instskip(SKIP_1) | instid1(VALU_DEP_3)
	v_mul_f64_e64 v[6:7], v[16:17], -v[4:5]
	v_mul_f64_e32 v[8:9], v[2:3], v[16:17]
	v_mul_f64_e64 v[16:17], v[14:15], -v[4:5]
	v_mul_f64_e32 v[18:19], v[2:3], v[14:15]
                                        ; implicit-def: $vgpr14_vgpr15
	s_delay_alu instid0(VALU_DEP_4) | instskip(NEXT) | instid1(VALU_DEP_4)
	v_fmac_f64_e32 v[6:7], v[2:3], v[0:1]
	v_fmac_f64_e32 v[8:9], v[4:5], v[0:1]
	s_delay_alu instid0(VALU_DEP_4) | instskip(NEXT) | instid1(VALU_DEP_4)
	v_fmac_f64_e32 v[16:17], v[2:3], v[12:13]
	v_fmac_f64_e32 v[18:19], v[4:5], v[12:13]
	v_lshlrev_b32_e32 v0, 1, v10
                                        ; implicit-def: $vgpr10
                                        ; implicit-def: $vgpr12_vgpr13
                                        ; implicit-def: $vgpr4_vgpr5
	s_wait_kmcnt 0x0
	s_clause 0x1
	global_store_b128 v0, v[6:9], s[0:1] scale_offset
	global_store_b128 v0, v[16:19], s[0:1] offset:16 scale_offset
                                        ; implicit-def: $vgpr0_vgpr1
                                        ; implicit-def: $vgpr16_vgpr17
                                        ; implicit-def: $vgpr8_vgpr9
.LBB241_19:
	s_wait_xcnt 0x0
	s_and_not1_saveexec_b32 s2, s2
	s_cbranch_execz .LBB241_21
; %bb.20:
	s_delay_alu instid0(VALU_DEP_3) | instskip(SKIP_1) | instid1(VALU_DEP_3)
	v_dual_mul_f64 v[26:27], v[16:17], -v[4:5] :: v_dual_lshlrev_b32 v30, 1, v10
	v_mul_f64_e32 v[16:17], v[2:3], v[16:17]
	v_mul_f64_e64 v[28:29], v[14:15], -v[4:5]
	v_mul_f64_e32 v[10:11], v[2:3], v[14:15]
	s_wait_kmcnt 0x0
	s_clause 0x1
	global_load_b128 v[18:21], v30, s[0:1] scale_offset
	global_load_b128 v[22:25], v30, s[0:1] offset:16 scale_offset
	v_fmac_f64_e32 v[26:27], v[2:3], v[0:1]
	v_fmac_f64_e32 v[16:17], v[4:5], v[0:1]
	;; [unrolled: 1-line block ×4, first 2 shown]
	s_wait_loadcnt 0x1
	s_delay_alu instid0(VALU_DEP_4) | instskip(NEXT) | instid1(VALU_DEP_4)
	v_fmac_f64_e32 v[26:27], v[6:7], v[18:19]
	v_fmac_f64_e32 v[16:17], v[8:9], v[18:19]
	s_wait_loadcnt 0x0
	s_delay_alu instid0(VALU_DEP_4) | instskip(NEXT) | instid1(VALU_DEP_4)
	v_fmac_f64_e32 v[28:29], v[6:7], v[22:23]
	v_fmac_f64_e32 v[10:11], v[8:9], v[22:23]
	s_delay_alu instid0(VALU_DEP_4) | instskip(NEXT) | instid1(VALU_DEP_4)
	v_fma_f64 v[14:15], -v[8:9], v[20:21], v[26:27]
	v_fmac_f64_e32 v[16:17], v[6:7], v[20:21]
	s_delay_alu instid0(VALU_DEP_4) | instskip(NEXT) | instid1(VALU_DEP_4)
	v_fma_f64 v[8:9], -v[8:9], v[24:25], v[28:29]
	v_fmac_f64_e32 v[10:11], v[6:7], v[24:25]
	s_clause 0x1
	global_store_b128 v30, v[14:17], s[0:1] scale_offset
	global_store_b128 v30, v[8:11], s[0:1] offset:16 scale_offset
.LBB241_21:
	s_sendmsg sendmsg(MSG_DEALLOC_VGPRS)
	s_endpgm
	.section	.rodata,"a",@progbits
	.p2align	6, 0x0
	.amdhsa_kernel _ZN9rocsparseL19gebsrmvn_2xn_kernelILj128ELj4ELj32E21rocsparse_complex_numIdEEEvi20rocsparse_direction_NS_24const_host_device_scalarIT2_EEPKiS8_PKS5_SA_S6_PS5_21rocsparse_index_base_b
		.amdhsa_group_segment_fixed_size 0
		.amdhsa_private_segment_fixed_size 0
		.amdhsa_kernarg_size 88
		.amdhsa_user_sgpr_count 2
		.amdhsa_user_sgpr_dispatch_ptr 0
		.amdhsa_user_sgpr_queue_ptr 0
		.amdhsa_user_sgpr_kernarg_segment_ptr 1
		.amdhsa_user_sgpr_dispatch_id 0
		.amdhsa_user_sgpr_kernarg_preload_length 0
		.amdhsa_user_sgpr_kernarg_preload_offset 0
		.amdhsa_user_sgpr_private_segment_size 0
		.amdhsa_wavefront_size32 1
		.amdhsa_uses_dynamic_stack 0
		.amdhsa_enable_private_segment 0
		.amdhsa_system_sgpr_workgroup_id_x 1
		.amdhsa_system_sgpr_workgroup_id_y 0
		.amdhsa_system_sgpr_workgroup_id_z 0
		.amdhsa_system_sgpr_workgroup_info 0
		.amdhsa_system_vgpr_workitem_id 0
		.amdhsa_next_free_vgpr 71
		.amdhsa_next_free_sgpr 14
		.amdhsa_named_barrier_count 0
		.amdhsa_reserve_vcc 1
		.amdhsa_float_round_mode_32 0
		.amdhsa_float_round_mode_16_64 0
		.amdhsa_float_denorm_mode_32 3
		.amdhsa_float_denorm_mode_16_64 3
		.amdhsa_fp16_overflow 0
		.amdhsa_memory_ordered 1
		.amdhsa_forward_progress 1
		.amdhsa_inst_pref_size 19
		.amdhsa_round_robin_scheduling 0
		.amdhsa_exception_fp_ieee_invalid_op 0
		.amdhsa_exception_fp_denorm_src 0
		.amdhsa_exception_fp_ieee_div_zero 0
		.amdhsa_exception_fp_ieee_overflow 0
		.amdhsa_exception_fp_ieee_underflow 0
		.amdhsa_exception_fp_ieee_inexact 0
		.amdhsa_exception_int_div_zero 0
	.end_amdhsa_kernel
	.section	.text._ZN9rocsparseL19gebsrmvn_2xn_kernelILj128ELj4ELj32E21rocsparse_complex_numIdEEEvi20rocsparse_direction_NS_24const_host_device_scalarIT2_EEPKiS8_PKS5_SA_S6_PS5_21rocsparse_index_base_b,"axG",@progbits,_ZN9rocsparseL19gebsrmvn_2xn_kernelILj128ELj4ELj32E21rocsparse_complex_numIdEEEvi20rocsparse_direction_NS_24const_host_device_scalarIT2_EEPKiS8_PKS5_SA_S6_PS5_21rocsparse_index_base_b,comdat
.Lfunc_end241:
	.size	_ZN9rocsparseL19gebsrmvn_2xn_kernelILj128ELj4ELj32E21rocsparse_complex_numIdEEEvi20rocsparse_direction_NS_24const_host_device_scalarIT2_EEPKiS8_PKS5_SA_S6_PS5_21rocsparse_index_base_b, .Lfunc_end241-_ZN9rocsparseL19gebsrmvn_2xn_kernelILj128ELj4ELj32E21rocsparse_complex_numIdEEEvi20rocsparse_direction_NS_24const_host_device_scalarIT2_EEPKiS8_PKS5_SA_S6_PS5_21rocsparse_index_base_b
                                        ; -- End function
	.set _ZN9rocsparseL19gebsrmvn_2xn_kernelILj128ELj4ELj32E21rocsparse_complex_numIdEEEvi20rocsparse_direction_NS_24const_host_device_scalarIT2_EEPKiS8_PKS5_SA_S6_PS5_21rocsparse_index_base_b.num_vgpr, 71
	.set _ZN9rocsparseL19gebsrmvn_2xn_kernelILj128ELj4ELj32E21rocsparse_complex_numIdEEEvi20rocsparse_direction_NS_24const_host_device_scalarIT2_EEPKiS8_PKS5_SA_S6_PS5_21rocsparse_index_base_b.num_agpr, 0
	.set _ZN9rocsparseL19gebsrmvn_2xn_kernelILj128ELj4ELj32E21rocsparse_complex_numIdEEEvi20rocsparse_direction_NS_24const_host_device_scalarIT2_EEPKiS8_PKS5_SA_S6_PS5_21rocsparse_index_base_b.numbered_sgpr, 14
	.set _ZN9rocsparseL19gebsrmvn_2xn_kernelILj128ELj4ELj32E21rocsparse_complex_numIdEEEvi20rocsparse_direction_NS_24const_host_device_scalarIT2_EEPKiS8_PKS5_SA_S6_PS5_21rocsparse_index_base_b.num_named_barrier, 0
	.set _ZN9rocsparseL19gebsrmvn_2xn_kernelILj128ELj4ELj32E21rocsparse_complex_numIdEEEvi20rocsparse_direction_NS_24const_host_device_scalarIT2_EEPKiS8_PKS5_SA_S6_PS5_21rocsparse_index_base_b.private_seg_size, 0
	.set _ZN9rocsparseL19gebsrmvn_2xn_kernelILj128ELj4ELj32E21rocsparse_complex_numIdEEEvi20rocsparse_direction_NS_24const_host_device_scalarIT2_EEPKiS8_PKS5_SA_S6_PS5_21rocsparse_index_base_b.uses_vcc, 1
	.set _ZN9rocsparseL19gebsrmvn_2xn_kernelILj128ELj4ELj32E21rocsparse_complex_numIdEEEvi20rocsparse_direction_NS_24const_host_device_scalarIT2_EEPKiS8_PKS5_SA_S6_PS5_21rocsparse_index_base_b.uses_flat_scratch, 0
	.set _ZN9rocsparseL19gebsrmvn_2xn_kernelILj128ELj4ELj32E21rocsparse_complex_numIdEEEvi20rocsparse_direction_NS_24const_host_device_scalarIT2_EEPKiS8_PKS5_SA_S6_PS5_21rocsparse_index_base_b.has_dyn_sized_stack, 0
	.set _ZN9rocsparseL19gebsrmvn_2xn_kernelILj128ELj4ELj32E21rocsparse_complex_numIdEEEvi20rocsparse_direction_NS_24const_host_device_scalarIT2_EEPKiS8_PKS5_SA_S6_PS5_21rocsparse_index_base_b.has_recursion, 0
	.set _ZN9rocsparseL19gebsrmvn_2xn_kernelILj128ELj4ELj32E21rocsparse_complex_numIdEEEvi20rocsparse_direction_NS_24const_host_device_scalarIT2_EEPKiS8_PKS5_SA_S6_PS5_21rocsparse_index_base_b.has_indirect_call, 0
	.section	.AMDGPU.csdata,"",@progbits
; Kernel info:
; codeLenInByte = 2308
; TotalNumSgprs: 16
; NumVgprs: 71
; ScratchSize: 0
; MemoryBound: 1
; FloatMode: 240
; IeeeMode: 1
; LDSByteSize: 0 bytes/workgroup (compile time only)
; SGPRBlocks: 0
; VGPRBlocks: 4
; NumSGPRsForWavesPerEU: 16
; NumVGPRsForWavesPerEU: 71
; NamedBarCnt: 0
; Occupancy: 12
; WaveLimiterHint : 1
; COMPUTE_PGM_RSRC2:SCRATCH_EN: 0
; COMPUTE_PGM_RSRC2:USER_SGPR: 2
; COMPUTE_PGM_RSRC2:TRAP_HANDLER: 0
; COMPUTE_PGM_RSRC2:TGID_X_EN: 1
; COMPUTE_PGM_RSRC2:TGID_Y_EN: 0
; COMPUTE_PGM_RSRC2:TGID_Z_EN: 0
; COMPUTE_PGM_RSRC2:TIDIG_COMP_CNT: 0
	.section	.text._ZN9rocsparseL19gebsrmvn_2xn_kernelILj128ELj4ELj64E21rocsparse_complex_numIdEEEvi20rocsparse_direction_NS_24const_host_device_scalarIT2_EEPKiS8_PKS5_SA_S6_PS5_21rocsparse_index_base_b,"axG",@progbits,_ZN9rocsparseL19gebsrmvn_2xn_kernelILj128ELj4ELj64E21rocsparse_complex_numIdEEEvi20rocsparse_direction_NS_24const_host_device_scalarIT2_EEPKiS8_PKS5_SA_S6_PS5_21rocsparse_index_base_b,comdat
	.globl	_ZN9rocsparseL19gebsrmvn_2xn_kernelILj128ELj4ELj64E21rocsparse_complex_numIdEEEvi20rocsparse_direction_NS_24const_host_device_scalarIT2_EEPKiS8_PKS5_SA_S6_PS5_21rocsparse_index_base_b ; -- Begin function _ZN9rocsparseL19gebsrmvn_2xn_kernelILj128ELj4ELj64E21rocsparse_complex_numIdEEEvi20rocsparse_direction_NS_24const_host_device_scalarIT2_EEPKiS8_PKS5_SA_S6_PS5_21rocsparse_index_base_b
	.p2align	8
	.type	_ZN9rocsparseL19gebsrmvn_2xn_kernelILj128ELj4ELj64E21rocsparse_complex_numIdEEEvi20rocsparse_direction_NS_24const_host_device_scalarIT2_EEPKiS8_PKS5_SA_S6_PS5_21rocsparse_index_base_b,@function
_ZN9rocsparseL19gebsrmvn_2xn_kernelILj128ELj4ELj64E21rocsparse_complex_numIdEEEvi20rocsparse_direction_NS_24const_host_device_scalarIT2_EEPKiS8_PKS5_SA_S6_PS5_21rocsparse_index_base_b: ; @_ZN9rocsparseL19gebsrmvn_2xn_kernelILj128ELj4ELj64E21rocsparse_complex_numIdEEEvi20rocsparse_direction_NS_24const_host_device_scalarIT2_EEPKiS8_PKS5_SA_S6_PS5_21rocsparse_index_base_b
; %bb.0:
	s_clause 0x1
	s_load_b64 s[12:13], s[0:1], 0x50
	s_load_b64 s[2:3], s[0:1], 0x8
	v_mov_b32_e32 v1, 0
	s_add_nc_u64 s[4:5], s[0:1], 8
	s_load_b64 s[6:7], s[0:1], 0x38
	s_wait_kmcnt 0x0
	s_bitcmp1_b32 s13, 0
	s_cselect_b32 s3, s5, s3
	s_cselect_b32 s2, s4, s2
	flat_load_b128 v[2:5], v1, s[2:3]
	s_wait_xcnt 0x0
	s_add_nc_u64 s[2:3], s[0:1], 56
	s_delay_alu instid0(SALU_CYCLE_1)
	s_cselect_b32 s3, s3, s7
	s_cselect_b32 s2, s2, s6
	flat_load_b128 v[6:9], v1, s[2:3]
	s_wait_loadcnt_dscnt 0x101
	v_cmp_eq_f64_e32 vcc_lo, 0, v[2:3]
	s_wait_xcnt 0x0
	v_cmp_eq_f64_e64 s2, 0, v[4:5]
	s_and_b32 s4, vcc_lo, s2
	s_mov_b32 s2, -1
	s_and_saveexec_b32 s3, s4
	s_cbranch_execz .LBB242_2
; %bb.1:
	s_wait_loadcnt_dscnt 0x0
	v_cmp_neq_f64_e32 vcc_lo, 1.0, v[6:7]
	v_cmp_neq_f64_e64 s2, 0, v[8:9]
	s_or_b32 s2, vcc_lo, s2
	s_delay_alu instid0(SALU_CYCLE_1)
	s_or_not1_b32 s2, s2, exec_lo
.LBB242_2:
	s_or_b32 exec_lo, exec_lo, s3
	s_and_saveexec_b32 s3, s2
	s_cbranch_execz .LBB242_21
; %bb.3:
	s_load_b64 s[2:3], s[0:1], 0x0
	s_bfe_u32 s4, ttmp6, 0x4000c
	s_and_b32 s5, ttmp6, 15
	s_add_co_i32 s4, s4, 1
	s_getreg_b32 s6, hwreg(HW_REG_IB_STS2, 6, 4)
	s_mul_i32 s4, ttmp9, s4
	v_lshrrev_b32_e32 v1, 6, v0
	s_add_co_i32 s5, s5, s4
	s_cmp_eq_u32 s6, 0
	s_cselect_b32 s4, ttmp9, s5
	s_delay_alu instid0(VALU_DEP_1) | instid1(SALU_CYCLE_1)
	v_lshl_or_b32 v10, s4, 1, v1
	s_wait_kmcnt 0x0
	s_delay_alu instid0(VALU_DEP_1)
	v_cmp_gt_i32_e32 vcc_lo, s2, v10
	s_and_b32 exec_lo, exec_lo, vcc_lo
	s_cbranch_execz .LBB242_21
; %bb.4:
	s_load_b256 s[4:11], s[0:1], 0x18
	v_ashrrev_i32_e32 v11, 31, v10
	s_cmp_lg_u32 s3, 0
	s_wait_kmcnt 0x0
	s_delay_alu instid0(VALU_DEP_1)
	v_lshl_add_u64 v[12:13], v[10:11], 2, s[4:5]
	v_and_b32_e32 v11, 63, v0
	global_load_b64 v[12:13], v[12:13], off
	s_wait_loadcnt 0x0
	v_subrev_nc_u32_e32 v0, s12, v12
	v_subrev_nc_u32_e32 v18, s12, v13
	s_delay_alu instid0(VALU_DEP_2) | instskip(NEXT) | instid1(VALU_DEP_1)
	v_add_nc_u32_e32 v19, v0, v11
	v_cmp_lt_i32_e64 s2, v19, v18
	s_cbranch_scc0 .LBB242_10
; %bb.5:
	v_mov_b64_e32 v[0:1], 0
	v_mov_b64_e32 v[14:15], 0
	;; [unrolled: 1-line block ×4, first 2 shown]
	s_and_saveexec_b32 s3, s2
	s_cbranch_execz .LBB242_9
; %bb.6:
	v_mov_b64_e32 v[0:1], 0
	v_mov_b64_e32 v[14:15], 0
	;; [unrolled: 1-line block ×4, first 2 shown]
	v_dual_mov_b32 v21, v19 :: v_dual_lshlrev_b32 v20, 3, v19
	s_mov_b32 s4, 0
.LBB242_7:                              ; =>This Inner Loop Header: Depth=1
	global_load_b32 v22, v21, s[6:7] scale_offset
	s_wait_xcnt 0x0
	v_add_nc_u32_e32 v21, 64, v21
	s_delay_alu instid0(VALU_DEP_1)
	v_cmp_ge_i32_e32 vcc_lo, v21, v18
	s_or_b32 s4, vcc_lo, s4
	s_wait_loadcnt 0x0
	v_subrev_nc_u32_e32 v26, s12, v22
	global_load_b128 v[22:25], v20, s[8:9] offset:16 scale_offset
	v_lshlrev_b32_e32 v70, 2, v26
	global_load_b128 v[26:29], v20, s[8:9] scale_offset
	s_clause 0x1
	global_load_b128 v[30:33], v70, s[10:11] scale_offset
	global_load_b128 v[34:37], v70, s[10:11] offset:16 scale_offset
	s_clause 0x3
	global_load_b128 v[38:41], v20, s[8:9] offset:32 scale_offset
	global_load_b128 v[42:45], v20, s[8:9] offset:48 scale_offset
	;; [unrolled: 1-line block ×4, first 2 shown]
	s_clause 0x1
	global_load_b128 v[54:57], v70, s[10:11] offset:32 scale_offset
	global_load_b128 v[58:61], v70, s[10:11] offset:48 scale_offset
	s_clause 0x1
	global_load_b128 v[62:65], v20, s[8:9] offset:96 scale_offset
	global_load_b128 v[66:69], v20, s[8:9] offset:112 scale_offset
	s_wait_xcnt 0x0
	v_add_nc_u32_e32 v20, 0x200, v20
	s_wait_loadcnt 0x9
	v_fmac_f64_e32 v[14:15], v[26:27], v[30:31]
	v_fmac_f64_e32 v[0:1], v[28:29], v[30:31]
	;; [unrolled: 1-line block ×4, first 2 shown]
	s_delay_alu instid0(VALU_DEP_4) | instskip(NEXT) | instid1(VALU_DEP_4)
	v_fma_f64 v[14:15], -v[28:29], v[32:33], v[14:15]
	v_fmac_f64_e32 v[0:1], v[26:27], v[32:33]
	s_delay_alu instid0(VALU_DEP_4) | instskip(NEXT) | instid1(VALU_DEP_4)
	v_fma_f64 v[16:17], -v[24:25], v[32:33], v[16:17]
	v_fmac_f64_e32 v[12:13], v[22:23], v[32:33]
	s_wait_loadcnt 0x7
	s_delay_alu instid0(VALU_DEP_4) | instskip(NEXT) | instid1(VALU_DEP_4)
	v_fmac_f64_e32 v[14:15], v[38:39], v[34:35]
	v_fmac_f64_e32 v[0:1], v[40:41], v[34:35]
	s_wait_loadcnt 0x6
	s_delay_alu instid0(VALU_DEP_4) | instskip(NEXT) | instid1(VALU_DEP_4)
	v_fmac_f64_e32 v[16:17], v[42:43], v[34:35]
	v_fmac_f64_e32 v[12:13], v[44:45], v[34:35]
	s_delay_alu instid0(VALU_DEP_4) | instskip(NEXT) | instid1(VALU_DEP_4)
	v_fma_f64 v[14:15], -v[40:41], v[36:37], v[14:15]
	v_fmac_f64_e32 v[0:1], v[38:39], v[36:37]
	s_delay_alu instid0(VALU_DEP_4) | instskip(NEXT) | instid1(VALU_DEP_4)
	v_fma_f64 v[16:17], -v[44:45], v[36:37], v[16:17]
	v_fmac_f64_e32 v[12:13], v[42:43], v[36:37]
	s_wait_loadcnt 0x3
	s_delay_alu instid0(VALU_DEP_4) | instskip(NEXT) | instid1(VALU_DEP_4)
	v_fmac_f64_e32 v[14:15], v[50:51], v[54:55]
	v_fmac_f64_e32 v[0:1], v[52:53], v[54:55]
	s_delay_alu instid0(VALU_DEP_4) | instskip(NEXT) | instid1(VALU_DEP_4)
	v_fmac_f64_e32 v[16:17], v[46:47], v[54:55]
	v_fmac_f64_e32 v[12:13], v[48:49], v[54:55]
	s_delay_alu instid0(VALU_DEP_4) | instskip(NEXT) | instid1(VALU_DEP_4)
	v_fma_f64 v[14:15], -v[52:53], v[56:57], v[14:15]
	v_fmac_f64_e32 v[0:1], v[50:51], v[56:57]
	s_delay_alu instid0(VALU_DEP_4) | instskip(NEXT) | instid1(VALU_DEP_4)
	v_fma_f64 v[16:17], -v[48:49], v[56:57], v[16:17]
	v_fmac_f64_e32 v[12:13], v[46:47], v[56:57]
	s_wait_loadcnt 0x1
	s_delay_alu instid0(VALU_DEP_4) | instskip(NEXT) | instid1(VALU_DEP_4)
	v_fmac_f64_e32 v[14:15], v[62:63], v[58:59]
	v_fmac_f64_e32 v[0:1], v[64:65], v[58:59]
	s_wait_loadcnt 0x0
	s_delay_alu instid0(VALU_DEP_4) | instskip(NEXT) | instid1(VALU_DEP_4)
	v_fmac_f64_e32 v[16:17], v[66:67], v[58:59]
	v_fmac_f64_e32 v[12:13], v[68:69], v[58:59]
	s_delay_alu instid0(VALU_DEP_4) | instskip(NEXT) | instid1(VALU_DEP_4)
	v_fma_f64 v[14:15], -v[64:65], v[60:61], v[14:15]
	v_fmac_f64_e32 v[0:1], v[62:63], v[60:61]
	s_delay_alu instid0(VALU_DEP_4) | instskip(NEXT) | instid1(VALU_DEP_4)
	v_fma_f64 v[16:17], -v[68:69], v[60:61], v[16:17]
	v_fmac_f64_e32 v[12:13], v[66:67], v[60:61]
	s_and_not1_b32 exec_lo, exec_lo, s4
	s_cbranch_execnz .LBB242_7
; %bb.8:
	s_or_b32 exec_lo, exec_lo, s4
.LBB242_9:
	s_delay_alu instid0(SALU_CYCLE_1)
	s_or_b32 exec_lo, exec_lo, s3
	s_cbranch_execz .LBB242_11
	s_branch .LBB242_16
.LBB242_10:
                                        ; implicit-def: $vgpr0_vgpr1
                                        ; implicit-def: $vgpr14_vgpr15
                                        ; implicit-def: $vgpr16_vgpr17
                                        ; implicit-def: $vgpr12_vgpr13
.LBB242_11:
	v_mov_b64_e32 v[0:1], 0
	v_mov_b64_e32 v[14:15], 0
	;; [unrolled: 1-line block ×4, first 2 shown]
	s_and_saveexec_b32 s3, s2
	s_cbranch_execz .LBB242_15
; %bb.12:
	v_mov_b64_e32 v[0:1], 0
	v_mov_b64_e32 v[14:15], 0
	;; [unrolled: 1-line block ×4, first 2 shown]
	v_lshlrev_b32_e32 v20, 3, v19
	s_mov_b32 s2, 0
.LBB242_13:                             ; =>This Inner Loop Header: Depth=1
	global_load_b32 v21, v19, s[6:7] scale_offset
	s_clause 0x2
	global_load_b128 v[22:25], v20, s[8:9] offset:16 scale_offset
	global_load_b128 v[26:29], v20, s[8:9] scale_offset
	global_load_b128 v[30:33], v20, s[8:9] offset:80 scale_offset
	s_wait_xcnt 0x3
	v_add_nc_u32_e32 v19, 64, v19
	s_delay_alu instid0(VALU_DEP_1) | instskip(SKIP_3) | instid1(VALU_DEP_1)
	v_cmp_ge_i32_e32 vcc_lo, v19, v18
	s_or_b32 s2, vcc_lo, s2
	s_wait_loadcnt 0x3
	v_subrev_nc_u32_e32 v21, s12, v21
	v_lshlrev_b32_e32 v21, 2, v21
	global_load_b128 v[34:37], v20, s[8:9] offset:64 scale_offset
	s_clause 0x1
	global_load_b128 v[38:41], v21, s[10:11] scale_offset
	global_load_b128 v[42:45], v21, s[10:11] offset:16 scale_offset
	s_clause 0x3
	global_load_b128 v[46:49], v20, s[8:9] offset:48 scale_offset
	global_load_b128 v[50:53], v20, s[8:9] offset:32 scale_offset
	;; [unrolled: 1-line block ×4, first 2 shown]
	s_clause 0x1
	global_load_b128 v[62:65], v21, s[10:11] offset:32 scale_offset
	global_load_b128 v[66:69], v21, s[10:11] offset:48 scale_offset
	s_wait_xcnt 0x2
	v_add_nc_u32_e32 v20, 0x200, v20
	s_wait_loadcnt 0x7
	v_fmac_f64_e32 v[14:15], v[26:27], v[38:39]
	v_fmac_f64_e32 v[0:1], v[28:29], v[38:39]
	;; [unrolled: 1-line block ×4, first 2 shown]
	s_delay_alu instid0(VALU_DEP_4) | instskip(NEXT) | instid1(VALU_DEP_4)
	v_fma_f64 v[14:15], -v[28:29], v[40:41], v[14:15]
	v_fmac_f64_e32 v[0:1], v[26:27], v[40:41]
	s_delay_alu instid0(VALU_DEP_4) | instskip(NEXT) | instid1(VALU_DEP_4)
	v_fma_f64 v[16:17], -v[36:37], v[40:41], v[16:17]
	v_fmac_f64_e32 v[12:13], v[34:35], v[40:41]
	s_wait_loadcnt 0x6
	s_delay_alu instid0(VALU_DEP_4) | instskip(NEXT) | instid1(VALU_DEP_4)
	v_fmac_f64_e32 v[14:15], v[22:23], v[42:43]
	v_fmac_f64_e32 v[0:1], v[24:25], v[42:43]
	s_delay_alu instid0(VALU_DEP_4) | instskip(NEXT) | instid1(VALU_DEP_4)
	v_fmac_f64_e32 v[16:17], v[30:31], v[42:43]
	v_fmac_f64_e32 v[12:13], v[32:33], v[42:43]
	s_delay_alu instid0(VALU_DEP_4) | instskip(NEXT) | instid1(VALU_DEP_4)
	v_fma_f64 v[14:15], -v[24:25], v[44:45], v[14:15]
	v_fmac_f64_e32 v[0:1], v[22:23], v[44:45]
	s_delay_alu instid0(VALU_DEP_4) | instskip(NEXT) | instid1(VALU_DEP_4)
	v_fma_f64 v[16:17], -v[32:33], v[44:45], v[16:17]
	v_fmac_f64_e32 v[12:13], v[30:31], v[44:45]
	s_wait_loadcnt 0x1
	s_delay_alu instid0(VALU_DEP_4) | instskip(NEXT) | instid1(VALU_DEP_4)
	v_fmac_f64_e32 v[14:15], v[50:51], v[62:63]
	v_fmac_f64_e32 v[0:1], v[52:53], v[62:63]
	s_delay_alu instid0(VALU_DEP_4) | instskip(NEXT) | instid1(VALU_DEP_4)
	v_fmac_f64_e32 v[16:17], v[58:59], v[62:63]
	v_fmac_f64_e32 v[12:13], v[60:61], v[62:63]
	;; [unrolled: 13-line block ×3, first 2 shown]
	s_delay_alu instid0(VALU_DEP_4) | instskip(NEXT) | instid1(VALU_DEP_4)
	v_fma_f64 v[14:15], -v[48:49], v[68:69], v[14:15]
	v_fmac_f64_e32 v[0:1], v[46:47], v[68:69]
	s_delay_alu instid0(VALU_DEP_4) | instskip(NEXT) | instid1(VALU_DEP_4)
	v_fma_f64 v[16:17], -v[56:57], v[68:69], v[16:17]
	v_fmac_f64_e32 v[12:13], v[54:55], v[68:69]
	s_and_not1_b32 exec_lo, exec_lo, s2
	s_cbranch_execnz .LBB242_13
; %bb.14:
	s_or_b32 exec_lo, exec_lo, s2
.LBB242_15:
	s_delay_alu instid0(SALU_CYCLE_1)
	s_or_b32 exec_lo, exec_lo, s3
.LBB242_16:
	v_mbcnt_lo_u32_b32 v28, -1, 0
	s_delay_alu instid0(VALU_DEP_1) | instskip(NEXT) | instid1(VALU_DEP_1)
	v_or_b32_e32 v18, 32, v28
	v_cmp_gt_i32_e32 vcc_lo, 32, v18
	v_cndmask_b32_e32 v18, v28, v18, vcc_lo
	s_delay_alu instid0(VALU_DEP_1)
	v_lshlrev_b32_e32 v25, 2, v18
	ds_bpermute_b32 v20, v25, v0
	ds_bpermute_b32 v21, v25, v1
	s_wait_dscnt 0x0
	v_add_f64_e32 v[0:1], v[0:1], v[20:21]
	ds_bpermute_b32 v18, v25, v14
	ds_bpermute_b32 v19, v25, v15
	;; [unrolled: 1-line block ×6, first 2 shown]
	s_wait_dscnt 0x4
	v_dual_add_f64 v[14:15], v[14:15], v[18:19] :: v_dual_bitop2_b32 v18, 16, v28 bitop3:0x14
	s_wait_dscnt 0x2
	v_add_f64_e32 v[16:17], v[16:17], v[22:23]
	s_delay_alu instid0(VALU_DEP_2) | instskip(SKIP_2) | instid1(VALU_DEP_1)
	v_cmp_gt_i32_e32 vcc_lo, 32, v18
	v_cndmask_b32_e32 v18, v28, v18, vcc_lo
	s_wait_dscnt 0x0
	v_dual_add_f64 v[12:13], v[12:13], v[24:25] :: v_dual_lshlrev_b32 v25, 2, v18
	ds_bpermute_b32 v20, v25, v0
	ds_bpermute_b32 v21, v25, v1
	;; [unrolled: 1-line block ×8, first 2 shown]
	s_wait_dscnt 0x4
	v_dual_add_f64 v[14:15], v[14:15], v[18:19] :: v_dual_bitop2_b32 v18, 8, v28 bitop3:0x14
	s_wait_dscnt 0x2
	v_add_f64_e32 v[16:17], v[16:17], v[22:23]
	s_delay_alu instid0(VALU_DEP_2) | instskip(SKIP_3) | instid1(VALU_DEP_2)
	v_cmp_gt_i32_e32 vcc_lo, 32, v18
	v_cndmask_b32_e32 v18, v28, v18, vcc_lo
	v_add_f64_e32 v[0:1], v[0:1], v[20:21]
	s_wait_dscnt 0x0
	v_dual_add_f64 v[12:13], v[12:13], v[24:25] :: v_dual_lshlrev_b32 v25, 2, v18
	ds_bpermute_b32 v18, v25, v14
	ds_bpermute_b32 v19, v25, v15
	;; [unrolled: 1-line block ×5, first 2 shown]
	s_wait_dscnt 0x3
	v_dual_add_f64 v[14:15], v[14:15], v[18:19] :: v_dual_bitop2_b32 v18, 4, v28 bitop3:0x14
	ds_bpermute_b32 v22, v25, v16
	ds_bpermute_b32 v23, v25, v17
	;; [unrolled: 1-line block ×3, first 2 shown]
	v_cmp_gt_i32_e32 vcc_lo, 32, v18
	v_cndmask_b32_e32 v18, v28, v18, vcc_lo
	s_wait_dscnt 0x4
	v_add_f64_e32 v[0:1], v[0:1], v[20:21]
	s_wait_dscnt 0x1
	v_add_f64_e32 v[16:17], v[16:17], v[22:23]
	s_wait_dscnt 0x0
	v_dual_add_f64 v[12:13], v[12:13], v[24:25] :: v_dual_lshlrev_b32 v25, 2, v18
	ds_bpermute_b32 v18, v25, v14
	ds_bpermute_b32 v19, v25, v15
	;; [unrolled: 1-line block ×4, first 2 shown]
	s_wait_dscnt 0x2
	v_add_f64_e32 v[14:15], v[14:15], v[18:19]
	ds_bpermute_b32 v22, v25, v16
	ds_bpermute_b32 v23, v25, v17
	;; [unrolled: 1-line block ×4, first 2 shown]
	s_wait_dscnt 0x4
	v_add_f64_e32 v[18:19], v[0:1], v[20:21]
	v_xor_b32_e32 v0, 2, v28
	s_delay_alu instid0(VALU_DEP_1)
	v_cmp_gt_i32_e32 vcc_lo, 32, v0
	s_wait_dscnt 0x2
	v_add_f64_e32 v[20:21], v[16:17], v[22:23]
	v_cndmask_b32_e32 v0, v28, v0, vcc_lo
	s_wait_dscnt 0x0
	v_add_f64_e32 v[22:23], v[12:13], v[24:25]
	s_delay_alu instid0(VALU_DEP_2)
	v_lshlrev_b32_e32 v16, 2, v0
	ds_bpermute_b32 v0, v16, v14
	ds_bpermute_b32 v1, v16, v15
	;; [unrolled: 1-line block ×8, first 2 shown]
	s_wait_dscnt 0x6
	v_add_f64_e32 v[0:1], v[14:15], v[0:1]
	s_wait_dscnt 0x4
	v_add_f64_e32 v[16:17], v[18:19], v[12:13]
	v_xor_b32_e32 v18, 1, v28
	s_delay_alu instid0(VALU_DEP_1)
	v_cmp_gt_i32_e32 vcc_lo, 32, v18
	s_wait_dscnt 0x2
	v_add_f64_e32 v[12:13], v[20:21], v[24:25]
	v_cndmask_b32_e32 v18, v28, v18, vcc_lo
	s_wait_dscnt 0x0
	v_add_f64_e32 v[14:15], v[22:23], v[26:27]
	v_cmp_eq_u32_e32 vcc_lo, 63, v11
	s_delay_alu instid0(VALU_DEP_3)
	v_lshlrev_b32_e32 v21, 2, v18
	ds_bpermute_b32 v24, v21, v0
	ds_bpermute_b32 v25, v21, v1
	;; [unrolled: 1-line block ×8, first 2 shown]
	s_and_b32 exec_lo, exec_lo, vcc_lo
	s_cbranch_execz .LBB242_21
; %bb.17:
	v_cmp_eq_f64_e32 vcc_lo, 0, v[6:7]
	v_cmp_eq_f64_e64 s2, 0, v[8:9]
	s_wait_dscnt 0x6
	v_add_f64_e32 v[0:1], v[0:1], v[24:25]
	s_wait_dscnt 0x4
	v_add_f64_e32 v[16:17], v[16:17], v[22:23]
	;; [unrolled: 2-line block ×4, first 2 shown]
	s_load_b64 s[0:1], s[0:1], 0x48
	s_and_b32 s2, vcc_lo, s2
	s_delay_alu instid0(SALU_CYCLE_1) | instskip(NEXT) | instid1(SALU_CYCLE_1)
	s_and_saveexec_b32 s3, s2
	s_xor_b32 s2, exec_lo, s3
	s_cbranch_execz .LBB242_19
; %bb.18:
	s_delay_alu instid0(VALU_DEP_3) | instskip(SKIP_1) | instid1(VALU_DEP_3)
	v_mul_f64_e64 v[6:7], v[16:17], -v[4:5]
	v_mul_f64_e32 v[8:9], v[2:3], v[16:17]
	v_mul_f64_e64 v[16:17], v[14:15], -v[4:5]
	v_mul_f64_e32 v[18:19], v[2:3], v[14:15]
                                        ; implicit-def: $vgpr14_vgpr15
	s_delay_alu instid0(VALU_DEP_4) | instskip(NEXT) | instid1(VALU_DEP_4)
	v_fmac_f64_e32 v[6:7], v[2:3], v[0:1]
	v_fmac_f64_e32 v[8:9], v[4:5], v[0:1]
	s_delay_alu instid0(VALU_DEP_4) | instskip(NEXT) | instid1(VALU_DEP_4)
	v_fmac_f64_e32 v[16:17], v[2:3], v[12:13]
	v_fmac_f64_e32 v[18:19], v[4:5], v[12:13]
	v_lshlrev_b32_e32 v0, 1, v10
                                        ; implicit-def: $vgpr10
                                        ; implicit-def: $vgpr12_vgpr13
                                        ; implicit-def: $vgpr4_vgpr5
	s_wait_kmcnt 0x0
	s_clause 0x1
	global_store_b128 v0, v[6:9], s[0:1] scale_offset
	global_store_b128 v0, v[16:19], s[0:1] offset:16 scale_offset
                                        ; implicit-def: $vgpr0_vgpr1
                                        ; implicit-def: $vgpr16_vgpr17
                                        ; implicit-def: $vgpr8_vgpr9
.LBB242_19:
	s_wait_xcnt 0x0
	s_and_not1_saveexec_b32 s2, s2
	s_cbranch_execz .LBB242_21
; %bb.20:
	s_delay_alu instid0(VALU_DEP_3) | instskip(SKIP_1) | instid1(VALU_DEP_3)
	v_dual_mul_f64 v[26:27], v[16:17], -v[4:5] :: v_dual_lshlrev_b32 v30, 1, v10
	v_mul_f64_e32 v[16:17], v[2:3], v[16:17]
	v_mul_f64_e64 v[28:29], v[14:15], -v[4:5]
	v_mul_f64_e32 v[10:11], v[2:3], v[14:15]
	s_wait_kmcnt 0x0
	s_clause 0x1
	global_load_b128 v[18:21], v30, s[0:1] scale_offset
	global_load_b128 v[22:25], v30, s[0:1] offset:16 scale_offset
	v_fmac_f64_e32 v[26:27], v[2:3], v[0:1]
	v_fmac_f64_e32 v[16:17], v[4:5], v[0:1]
	;; [unrolled: 1-line block ×4, first 2 shown]
	s_wait_loadcnt 0x1
	s_delay_alu instid0(VALU_DEP_4) | instskip(NEXT) | instid1(VALU_DEP_4)
	v_fmac_f64_e32 v[26:27], v[6:7], v[18:19]
	v_fmac_f64_e32 v[16:17], v[8:9], v[18:19]
	s_wait_loadcnt 0x0
	s_delay_alu instid0(VALU_DEP_4) | instskip(NEXT) | instid1(VALU_DEP_4)
	v_fmac_f64_e32 v[28:29], v[6:7], v[22:23]
	v_fmac_f64_e32 v[10:11], v[8:9], v[22:23]
	s_delay_alu instid0(VALU_DEP_4) | instskip(NEXT) | instid1(VALU_DEP_4)
	v_fma_f64 v[14:15], -v[8:9], v[20:21], v[26:27]
	v_fmac_f64_e32 v[16:17], v[6:7], v[20:21]
	s_delay_alu instid0(VALU_DEP_4) | instskip(NEXT) | instid1(VALU_DEP_4)
	v_fma_f64 v[8:9], -v[8:9], v[24:25], v[28:29]
	v_fmac_f64_e32 v[10:11], v[6:7], v[24:25]
	s_clause 0x1
	global_store_b128 v30, v[14:17], s[0:1] scale_offset
	global_store_b128 v30, v[8:11], s[0:1] offset:16 scale_offset
.LBB242_21:
	s_sendmsg sendmsg(MSG_DEALLOC_VGPRS)
	s_endpgm
	.section	.rodata,"a",@progbits
	.p2align	6, 0x0
	.amdhsa_kernel _ZN9rocsparseL19gebsrmvn_2xn_kernelILj128ELj4ELj64E21rocsparse_complex_numIdEEEvi20rocsparse_direction_NS_24const_host_device_scalarIT2_EEPKiS8_PKS5_SA_S6_PS5_21rocsparse_index_base_b
		.amdhsa_group_segment_fixed_size 0
		.amdhsa_private_segment_fixed_size 0
		.amdhsa_kernarg_size 88
		.amdhsa_user_sgpr_count 2
		.amdhsa_user_sgpr_dispatch_ptr 0
		.amdhsa_user_sgpr_queue_ptr 0
		.amdhsa_user_sgpr_kernarg_segment_ptr 1
		.amdhsa_user_sgpr_dispatch_id 0
		.amdhsa_user_sgpr_kernarg_preload_length 0
		.amdhsa_user_sgpr_kernarg_preload_offset 0
		.amdhsa_user_sgpr_private_segment_size 0
		.amdhsa_wavefront_size32 1
		.amdhsa_uses_dynamic_stack 0
		.amdhsa_enable_private_segment 0
		.amdhsa_system_sgpr_workgroup_id_x 1
		.amdhsa_system_sgpr_workgroup_id_y 0
		.amdhsa_system_sgpr_workgroup_id_z 0
		.amdhsa_system_sgpr_workgroup_info 0
		.amdhsa_system_vgpr_workitem_id 0
		.amdhsa_next_free_vgpr 71
		.amdhsa_next_free_sgpr 14
		.amdhsa_named_barrier_count 0
		.amdhsa_reserve_vcc 1
		.amdhsa_float_round_mode_32 0
		.amdhsa_float_round_mode_16_64 0
		.amdhsa_float_denorm_mode_32 3
		.amdhsa_float_denorm_mode_16_64 3
		.amdhsa_fp16_overflow 0
		.amdhsa_memory_ordered 1
		.amdhsa_forward_progress 1
		.amdhsa_inst_pref_size 20
		.amdhsa_round_robin_scheduling 0
		.amdhsa_exception_fp_ieee_invalid_op 0
		.amdhsa_exception_fp_denorm_src 0
		.amdhsa_exception_fp_ieee_div_zero 0
		.amdhsa_exception_fp_ieee_overflow 0
		.amdhsa_exception_fp_ieee_underflow 0
		.amdhsa_exception_fp_ieee_inexact 0
		.amdhsa_exception_int_div_zero 0
	.end_amdhsa_kernel
	.section	.text._ZN9rocsparseL19gebsrmvn_2xn_kernelILj128ELj4ELj64E21rocsparse_complex_numIdEEEvi20rocsparse_direction_NS_24const_host_device_scalarIT2_EEPKiS8_PKS5_SA_S6_PS5_21rocsparse_index_base_b,"axG",@progbits,_ZN9rocsparseL19gebsrmvn_2xn_kernelILj128ELj4ELj64E21rocsparse_complex_numIdEEEvi20rocsparse_direction_NS_24const_host_device_scalarIT2_EEPKiS8_PKS5_SA_S6_PS5_21rocsparse_index_base_b,comdat
.Lfunc_end242:
	.size	_ZN9rocsparseL19gebsrmvn_2xn_kernelILj128ELj4ELj64E21rocsparse_complex_numIdEEEvi20rocsparse_direction_NS_24const_host_device_scalarIT2_EEPKiS8_PKS5_SA_S6_PS5_21rocsparse_index_base_b, .Lfunc_end242-_ZN9rocsparseL19gebsrmvn_2xn_kernelILj128ELj4ELj64E21rocsparse_complex_numIdEEEvi20rocsparse_direction_NS_24const_host_device_scalarIT2_EEPKiS8_PKS5_SA_S6_PS5_21rocsparse_index_base_b
                                        ; -- End function
	.set _ZN9rocsparseL19gebsrmvn_2xn_kernelILj128ELj4ELj64E21rocsparse_complex_numIdEEEvi20rocsparse_direction_NS_24const_host_device_scalarIT2_EEPKiS8_PKS5_SA_S6_PS5_21rocsparse_index_base_b.num_vgpr, 71
	.set _ZN9rocsparseL19gebsrmvn_2xn_kernelILj128ELj4ELj64E21rocsparse_complex_numIdEEEvi20rocsparse_direction_NS_24const_host_device_scalarIT2_EEPKiS8_PKS5_SA_S6_PS5_21rocsparse_index_base_b.num_agpr, 0
	.set _ZN9rocsparseL19gebsrmvn_2xn_kernelILj128ELj4ELj64E21rocsparse_complex_numIdEEEvi20rocsparse_direction_NS_24const_host_device_scalarIT2_EEPKiS8_PKS5_SA_S6_PS5_21rocsparse_index_base_b.numbered_sgpr, 14
	.set _ZN9rocsparseL19gebsrmvn_2xn_kernelILj128ELj4ELj64E21rocsparse_complex_numIdEEEvi20rocsparse_direction_NS_24const_host_device_scalarIT2_EEPKiS8_PKS5_SA_S6_PS5_21rocsparse_index_base_b.num_named_barrier, 0
	.set _ZN9rocsparseL19gebsrmvn_2xn_kernelILj128ELj4ELj64E21rocsparse_complex_numIdEEEvi20rocsparse_direction_NS_24const_host_device_scalarIT2_EEPKiS8_PKS5_SA_S6_PS5_21rocsparse_index_base_b.private_seg_size, 0
	.set _ZN9rocsparseL19gebsrmvn_2xn_kernelILj128ELj4ELj64E21rocsparse_complex_numIdEEEvi20rocsparse_direction_NS_24const_host_device_scalarIT2_EEPKiS8_PKS5_SA_S6_PS5_21rocsparse_index_base_b.uses_vcc, 1
	.set _ZN9rocsparseL19gebsrmvn_2xn_kernelILj128ELj4ELj64E21rocsparse_complex_numIdEEEvi20rocsparse_direction_NS_24const_host_device_scalarIT2_EEPKiS8_PKS5_SA_S6_PS5_21rocsparse_index_base_b.uses_flat_scratch, 0
	.set _ZN9rocsparseL19gebsrmvn_2xn_kernelILj128ELj4ELj64E21rocsparse_complex_numIdEEEvi20rocsparse_direction_NS_24const_host_device_scalarIT2_EEPKiS8_PKS5_SA_S6_PS5_21rocsparse_index_base_b.has_dyn_sized_stack, 0
	.set _ZN9rocsparseL19gebsrmvn_2xn_kernelILj128ELj4ELj64E21rocsparse_complex_numIdEEEvi20rocsparse_direction_NS_24const_host_device_scalarIT2_EEPKiS8_PKS5_SA_S6_PS5_21rocsparse_index_base_b.has_recursion, 0
	.set _ZN9rocsparseL19gebsrmvn_2xn_kernelILj128ELj4ELj64E21rocsparse_complex_numIdEEEvi20rocsparse_direction_NS_24const_host_device_scalarIT2_EEPKiS8_PKS5_SA_S6_PS5_21rocsparse_index_base_b.has_indirect_call, 0
	.section	.AMDGPU.csdata,"",@progbits
; Kernel info:
; codeLenInByte = 2448
; TotalNumSgprs: 16
; NumVgprs: 71
; ScratchSize: 0
; MemoryBound: 1
; FloatMode: 240
; IeeeMode: 1
; LDSByteSize: 0 bytes/workgroup (compile time only)
; SGPRBlocks: 0
; VGPRBlocks: 4
; NumSGPRsForWavesPerEU: 16
; NumVGPRsForWavesPerEU: 71
; NamedBarCnt: 0
; Occupancy: 12
; WaveLimiterHint : 1
; COMPUTE_PGM_RSRC2:SCRATCH_EN: 0
; COMPUTE_PGM_RSRC2:USER_SGPR: 2
; COMPUTE_PGM_RSRC2:TRAP_HANDLER: 0
; COMPUTE_PGM_RSRC2:TGID_X_EN: 1
; COMPUTE_PGM_RSRC2:TGID_Y_EN: 0
; COMPUTE_PGM_RSRC2:TGID_Z_EN: 0
; COMPUTE_PGM_RSRC2:TIDIG_COMP_CNT: 0
	.section	.text._ZN9rocsparseL19gebsrmvn_2xn_kernelILj128ELj5ELj4E21rocsparse_complex_numIdEEEvi20rocsparse_direction_NS_24const_host_device_scalarIT2_EEPKiS8_PKS5_SA_S6_PS5_21rocsparse_index_base_b,"axG",@progbits,_ZN9rocsparseL19gebsrmvn_2xn_kernelILj128ELj5ELj4E21rocsparse_complex_numIdEEEvi20rocsparse_direction_NS_24const_host_device_scalarIT2_EEPKiS8_PKS5_SA_S6_PS5_21rocsparse_index_base_b,comdat
	.globl	_ZN9rocsparseL19gebsrmvn_2xn_kernelILj128ELj5ELj4E21rocsparse_complex_numIdEEEvi20rocsparse_direction_NS_24const_host_device_scalarIT2_EEPKiS8_PKS5_SA_S6_PS5_21rocsparse_index_base_b ; -- Begin function _ZN9rocsparseL19gebsrmvn_2xn_kernelILj128ELj5ELj4E21rocsparse_complex_numIdEEEvi20rocsparse_direction_NS_24const_host_device_scalarIT2_EEPKiS8_PKS5_SA_S6_PS5_21rocsparse_index_base_b
	.p2align	8
	.type	_ZN9rocsparseL19gebsrmvn_2xn_kernelILj128ELj5ELj4E21rocsparse_complex_numIdEEEvi20rocsparse_direction_NS_24const_host_device_scalarIT2_EEPKiS8_PKS5_SA_S6_PS5_21rocsparse_index_base_b,@function
_ZN9rocsparseL19gebsrmvn_2xn_kernelILj128ELj5ELj4E21rocsparse_complex_numIdEEEvi20rocsparse_direction_NS_24const_host_device_scalarIT2_EEPKiS8_PKS5_SA_S6_PS5_21rocsparse_index_base_b: ; @_ZN9rocsparseL19gebsrmvn_2xn_kernelILj128ELj5ELj4E21rocsparse_complex_numIdEEEvi20rocsparse_direction_NS_24const_host_device_scalarIT2_EEPKiS8_PKS5_SA_S6_PS5_21rocsparse_index_base_b
; %bb.0:
	s_clause 0x1
	s_load_b64 s[12:13], s[0:1], 0x50
	s_load_b64 s[2:3], s[0:1], 0x8
	v_mov_b32_e32 v1, 0
	s_add_nc_u64 s[4:5], s[0:1], 8
	s_load_b64 s[6:7], s[0:1], 0x38
	s_wait_kmcnt 0x0
	s_bitcmp1_b32 s13, 0
	s_cselect_b32 s3, s5, s3
	s_cselect_b32 s2, s4, s2
	flat_load_b128 v[2:5], v1, s[2:3]
	s_wait_xcnt 0x0
	s_add_nc_u64 s[2:3], s[0:1], 56
	s_delay_alu instid0(SALU_CYCLE_1)
	s_cselect_b32 s3, s3, s7
	s_cselect_b32 s2, s2, s6
	flat_load_b128 v[6:9], v1, s[2:3]
	s_wait_loadcnt_dscnt 0x101
	v_cmp_eq_f64_e32 vcc_lo, 0, v[2:3]
	s_wait_xcnt 0x0
	v_cmp_eq_f64_e64 s2, 0, v[4:5]
	s_and_b32 s4, vcc_lo, s2
	s_mov_b32 s2, -1
	s_and_saveexec_b32 s3, s4
	s_cbranch_execz .LBB243_2
; %bb.1:
	s_wait_loadcnt_dscnt 0x0
	v_cmp_neq_f64_e32 vcc_lo, 1.0, v[6:7]
	v_cmp_neq_f64_e64 s2, 0, v[8:9]
	s_or_b32 s2, vcc_lo, s2
	s_delay_alu instid0(SALU_CYCLE_1)
	s_or_not1_b32 s2, s2, exec_lo
.LBB243_2:
	s_or_b32 exec_lo, exec_lo, s3
	s_and_saveexec_b32 s3, s2
	s_cbranch_execz .LBB243_21
; %bb.3:
	s_load_b64 s[2:3], s[0:1], 0x0
	s_bfe_u32 s4, ttmp6, 0x4000c
	s_and_b32 s5, ttmp6, 15
	s_add_co_i32 s4, s4, 1
	s_getreg_b32 s6, hwreg(HW_REG_IB_STS2, 6, 4)
	s_mul_i32 s4, ttmp9, s4
	v_lshrrev_b32_e32 v1, 2, v0
	s_add_co_i32 s5, s5, s4
	s_cmp_eq_u32 s6, 0
	s_cselect_b32 s4, ttmp9, s5
	s_delay_alu instid0(VALU_DEP_1) | instid1(SALU_CYCLE_1)
	v_lshl_or_b32 v10, s4, 5, v1
	s_wait_kmcnt 0x0
	s_delay_alu instid0(VALU_DEP_1)
	v_cmp_gt_i32_e32 vcc_lo, s2, v10
	s_and_b32 exec_lo, exec_lo, vcc_lo
	s_cbranch_execz .LBB243_21
; %bb.4:
	s_load_b256 s[4:11], s[0:1], 0x18
	v_ashrrev_i32_e32 v11, 31, v10
	s_cmp_lg_u32 s3, 0
	s_wait_kmcnt 0x0
	s_delay_alu instid0(VALU_DEP_1)
	v_lshl_add_u64 v[12:13], v[10:11], 2, s[4:5]
	v_and_b32_e32 v11, 3, v0
	global_load_b64 v[12:13], v[12:13], off
	s_wait_loadcnt 0x0
	v_subrev_nc_u32_e32 v0, s12, v12
	v_subrev_nc_u32_e32 v18, s12, v13
	s_delay_alu instid0(VALU_DEP_2) | instskip(NEXT) | instid1(VALU_DEP_1)
	v_add_nc_u32_e32 v19, v0, v11
	v_cmp_lt_i32_e64 s2, v19, v18
	s_cbranch_scc0 .LBB243_10
; %bb.5:
	v_mov_b64_e32 v[0:1], 0
	v_mov_b64_e32 v[14:15], 0
	;; [unrolled: 1-line block ×4, first 2 shown]
	s_and_saveexec_b32 s3, s2
	s_cbranch_execz .LBB243_9
; %bb.6:
	v_mad_u32 v20, v19, 10, 8
	v_mov_b64_e32 v[0:1], 0
	v_mov_b64_e32 v[14:15], 0
	;; [unrolled: 1-line block ×4, first 2 shown]
	v_mov_b32_e32 v21, v19
	s_mov_b32 s4, 0
.LBB243_7:                              ; =>This Inner Loop Header: Depth=1
	global_load_b32 v22, v21, s[6:7] scale_offset
	v_dual_add_nc_u32 v34, -8, v20 :: v_dual_add_nc_u32 v46, -6, v20
	s_wait_xcnt 0x0
	v_dual_add_nc_u32 v21, 4, v21 :: v_dual_add_nc_u32 v58, -4, v20
	v_add_nc_u32_e32 v75, -2, v20
	s_wait_loadcnt 0x0
	v_subrev_nc_u32_e32 v26, s12, v22
	global_load_b128 v[22:25], v34, s[8:9] offset:16 scale_offset
	v_lshl_add_u32 v74, v26, 2, v26
	global_load_b128 v[26:29], v34, s[8:9] scale_offset
	global_load_b128 v[30:33], v74, s[10:11] scale_offset
	v_add_nc_u32_e32 v47, 1, v74
	global_load_b128 v[34:37], v46, s[8:9] offset:16 scale_offset
	v_dual_add_nc_u32 v59, 2, v74 :: v_dual_add_nc_u32 v76, 3, v74
	v_add_nc_u32_e32 v82, 4, v74
	global_load_b128 v[38:41], v46, s[8:9] scale_offset
	global_load_b128 v[42:45], v47, s[10:11] scale_offset
	s_clause 0x1
	global_load_b128 v[46:49], v58, s[8:9] offset:16 scale_offset
	global_load_b128 v[50:53], v58, s[8:9] scale_offset
	global_load_b128 v[54:57], v59, s[10:11] scale_offset
	s_clause 0x1
	global_load_b128 v[58:61], v75, s[8:9] offset:16 scale_offset
	global_load_b128 v[62:65], v75, s[8:9] scale_offset
	global_load_b128 v[66:69], v76, s[10:11] scale_offset
	s_clause 0x1
	global_load_b128 v[70:73], v20, s[8:9] offset:16 scale_offset
	global_load_b128 v[74:77], v20, s[8:9] scale_offset
	global_load_b128 v[78:81], v82, s[10:11] scale_offset
	s_wait_xcnt 0x1
	v_add_nc_u32_e32 v20, 40, v20
	v_cmp_ge_i32_e32 vcc_lo, v21, v18
	s_or_b32 s4, vcc_lo, s4
	s_wait_loadcnt 0xc
	v_fmac_f64_e32 v[14:15], v[26:27], v[30:31]
	v_fmac_f64_e32 v[0:1], v[28:29], v[30:31]
	;; [unrolled: 1-line block ×4, first 2 shown]
	s_delay_alu instid0(VALU_DEP_4) | instskip(NEXT) | instid1(VALU_DEP_4)
	v_fma_f64 v[14:15], -v[28:29], v[32:33], v[14:15]
	v_fmac_f64_e32 v[0:1], v[26:27], v[32:33]
	s_delay_alu instid0(VALU_DEP_4) | instskip(NEXT) | instid1(VALU_DEP_4)
	v_fma_f64 v[16:17], -v[24:25], v[32:33], v[16:17]
	v_fmac_f64_e32 v[12:13], v[22:23], v[32:33]
	s_wait_loadcnt 0x9
	s_delay_alu instid0(VALU_DEP_4) | instskip(NEXT) | instid1(VALU_DEP_4)
	v_fmac_f64_e32 v[14:15], v[38:39], v[42:43]
	v_fmac_f64_e32 v[0:1], v[40:41], v[42:43]
	s_delay_alu instid0(VALU_DEP_4) | instskip(NEXT) | instid1(VALU_DEP_4)
	v_fmac_f64_e32 v[16:17], v[34:35], v[42:43]
	v_fmac_f64_e32 v[12:13], v[36:37], v[42:43]
	s_delay_alu instid0(VALU_DEP_4) | instskip(NEXT) | instid1(VALU_DEP_4)
	v_fma_f64 v[14:15], -v[40:41], v[44:45], v[14:15]
	v_fmac_f64_e32 v[0:1], v[38:39], v[44:45]
	s_delay_alu instid0(VALU_DEP_4) | instskip(NEXT) | instid1(VALU_DEP_4)
	v_fma_f64 v[16:17], -v[36:37], v[44:45], v[16:17]
	v_fmac_f64_e32 v[12:13], v[34:35], v[44:45]
	s_wait_loadcnt 0x6
	s_delay_alu instid0(VALU_DEP_4) | instskip(NEXT) | instid1(VALU_DEP_4)
	v_fmac_f64_e32 v[14:15], v[50:51], v[54:55]
	v_fmac_f64_e32 v[0:1], v[52:53], v[54:55]
	s_delay_alu instid0(VALU_DEP_4) | instskip(NEXT) | instid1(VALU_DEP_4)
	v_fmac_f64_e32 v[16:17], v[46:47], v[54:55]
	v_fmac_f64_e32 v[12:13], v[48:49], v[54:55]
	;; [unrolled: 13-line block ×4, first 2 shown]
	s_delay_alu instid0(VALU_DEP_4) | instskip(NEXT) | instid1(VALU_DEP_4)
	v_fma_f64 v[14:15], -v[76:77], v[80:81], v[14:15]
	v_fmac_f64_e32 v[0:1], v[74:75], v[80:81]
	s_delay_alu instid0(VALU_DEP_4) | instskip(NEXT) | instid1(VALU_DEP_4)
	v_fma_f64 v[16:17], -v[72:73], v[80:81], v[16:17]
	v_fmac_f64_e32 v[12:13], v[70:71], v[80:81]
	s_and_not1_b32 exec_lo, exec_lo, s4
	s_cbranch_execnz .LBB243_7
; %bb.8:
	s_or_b32 exec_lo, exec_lo, s4
.LBB243_9:
	s_delay_alu instid0(SALU_CYCLE_1)
	s_or_b32 exec_lo, exec_lo, s3
	s_cbranch_execz .LBB243_11
	s_branch .LBB243_16
.LBB243_10:
                                        ; implicit-def: $vgpr0_vgpr1
                                        ; implicit-def: $vgpr14_vgpr15
                                        ; implicit-def: $vgpr16_vgpr17
                                        ; implicit-def: $vgpr12_vgpr13
.LBB243_11:
	v_mov_b64_e32 v[0:1], 0
	v_mov_b64_e32 v[14:15], 0
	;; [unrolled: 1-line block ×4, first 2 shown]
	s_and_saveexec_b32 s3, s2
	s_cbranch_execz .LBB243_15
; %bb.12:
	v_mad_u32 v20, v19, 10, 9
	v_mov_b64_e32 v[0:1], 0
	v_mov_b64_e32 v[14:15], 0
	;; [unrolled: 1-line block ×4, first 2 shown]
	s_mov_b32 s2, 0
.LBB243_13:                             ; =>This Inner Loop Header: Depth=1
	global_load_b32 v21, v19, s[6:7] scale_offset
	v_dual_add_nc_u32 v26, -9, v20 :: v_dual_add_nc_u32 v38, -4, v20
	s_wait_xcnt 0x0
	v_dual_add_nc_u32 v58, -2, v20 :: v_dual_add_nc_u32 v19, 4, v19
	s_clause 0x1
	global_load_b128 v[22:25], v26, s[8:9] offset:16 scale_offset
	global_load_b128 v[26:29], v26, s[8:9] scale_offset
	v_cmp_ge_i32_e32 vcc_lo, v19, v18
	s_or_b32 s2, vcc_lo, s2
	s_wait_loadcnt 0x2
	v_subrev_nc_u32_e32 v21, s12, v21
	s_delay_alu instid0(VALU_DEP_1)
	v_lshl_add_u32 v21, v21, 2, v21
	global_load_b128 v[30:33], v38, s[8:9] scale_offset
	global_load_b128 v[34:37], v21, s[10:11] scale_offset
	v_dual_add_nc_u32 v46, -3, v20 :: v_dual_add_nc_u32 v47, 1, v21
	global_load_b128 v[38:41], v46, s[8:9] scale_offset
	global_load_b128 v[42:45], v47, s[10:11] scale_offset
	s_wait_xcnt 0x1
	v_dual_add_nc_u32 v46, -7, v20 :: v_dual_add_nc_u32 v59, 2, v21
	v_dual_add_nc_u32 v70, -1, v20 :: v_dual_add_nc_u32 v71, 3, v21
	;; [unrolled: 1-line block ×3, first 2 shown]
	s_clause 0x1
	global_load_b128 v[46:49], v46, s[8:9] scale_offset
	global_load_b128 v[50:53], v58, s[8:9] scale_offset
	;; [unrolled: 1-line block ×3, first 2 shown]
	s_wait_xcnt 0x1
	v_add_nc_u32_e32 v58, -6, v20
	s_clause 0x1
	global_load_b128 v[58:61], v58, s[8:9] scale_offset
	global_load_b128 v[62:65], v70, s[8:9] scale_offset
	;; [unrolled: 1-line block ×3, first 2 shown]
	s_clause 0x1
	global_load_b128 v[70:73], v20, s[8:9] scale_offset
	global_load_b128 v[74:77], v82, s[8:9] scale_offset
	;; [unrolled: 1-line block ×3, first 2 shown]
	s_wait_xcnt 0x2
	v_add_nc_u32_e32 v20, 40, v20
	s_wait_loadcnt 0xb
	v_fmac_f64_e32 v[14:15], v[26:27], v[34:35]
	v_fmac_f64_e32 v[0:1], v[28:29], v[34:35]
	;; [unrolled: 1-line block ×4, first 2 shown]
	s_delay_alu instid0(VALU_DEP_4) | instskip(NEXT) | instid1(VALU_DEP_4)
	v_fma_f64 v[14:15], -v[28:29], v[36:37], v[14:15]
	v_fmac_f64_e32 v[0:1], v[26:27], v[36:37]
	s_delay_alu instid0(VALU_DEP_4) | instskip(NEXT) | instid1(VALU_DEP_4)
	v_fma_f64 v[16:17], -v[32:33], v[36:37], v[16:17]
	v_fmac_f64_e32 v[12:13], v[30:31], v[36:37]
	s_wait_loadcnt 0x9
	s_delay_alu instid0(VALU_DEP_4) | instskip(NEXT) | instid1(VALU_DEP_4)
	v_fmac_f64_e32 v[14:15], v[22:23], v[42:43]
	v_fmac_f64_e32 v[0:1], v[24:25], v[42:43]
	s_delay_alu instid0(VALU_DEP_4) | instskip(NEXT) | instid1(VALU_DEP_4)
	v_fmac_f64_e32 v[16:17], v[38:39], v[42:43]
	v_fmac_f64_e32 v[12:13], v[40:41], v[42:43]
	s_delay_alu instid0(VALU_DEP_4) | instskip(NEXT) | instid1(VALU_DEP_4)
	v_fma_f64 v[14:15], -v[24:25], v[44:45], v[14:15]
	v_fmac_f64_e32 v[0:1], v[22:23], v[44:45]
	s_delay_alu instid0(VALU_DEP_4) | instskip(NEXT) | instid1(VALU_DEP_4)
	v_fma_f64 v[16:17], -v[40:41], v[44:45], v[16:17]
	v_fmac_f64_e32 v[12:13], v[38:39], v[44:45]
	s_wait_loadcnt 0x6
	s_delay_alu instid0(VALU_DEP_4) | instskip(NEXT) | instid1(VALU_DEP_4)
	v_fmac_f64_e32 v[14:15], v[46:47], v[54:55]
	v_fmac_f64_e32 v[0:1], v[48:49], v[54:55]
	s_delay_alu instid0(VALU_DEP_4) | instskip(NEXT) | instid1(VALU_DEP_4)
	v_fmac_f64_e32 v[16:17], v[50:51], v[54:55]
	v_fmac_f64_e32 v[12:13], v[52:53], v[54:55]
	;; [unrolled: 13-line block ×4, first 2 shown]
	s_delay_alu instid0(VALU_DEP_4) | instskip(NEXT) | instid1(VALU_DEP_4)
	v_fma_f64 v[14:15], -v[76:77], v[80:81], v[14:15]
	v_fmac_f64_e32 v[0:1], v[74:75], v[80:81]
	s_delay_alu instid0(VALU_DEP_4) | instskip(NEXT) | instid1(VALU_DEP_4)
	v_fma_f64 v[16:17], -v[72:73], v[80:81], v[16:17]
	v_fmac_f64_e32 v[12:13], v[70:71], v[80:81]
	s_and_not1_b32 exec_lo, exec_lo, s2
	s_cbranch_execnz .LBB243_13
; %bb.14:
	s_or_b32 exec_lo, exec_lo, s2
.LBB243_15:
	s_delay_alu instid0(SALU_CYCLE_1)
	s_or_b32 exec_lo, exec_lo, s3
.LBB243_16:
	v_mbcnt_lo_u32_b32 v28, -1, 0
	s_delay_alu instid0(VALU_DEP_1) | instskip(NEXT) | instid1(VALU_DEP_1)
	v_xor_b32_e32 v18, 2, v28
	v_cmp_gt_i32_e32 vcc_lo, 32, v18
	v_cndmask_b32_e32 v18, v28, v18, vcc_lo
	s_delay_alu instid0(VALU_DEP_1)
	v_lshlrev_b32_e32 v22, 2, v18
	ds_bpermute_b32 v20, v22, v0
	ds_bpermute_b32 v21, v22, v1
	s_wait_dscnt 0x0
	v_add_f64_e32 v[20:21], v[0:1], v[20:21]
	ds_bpermute_b32 v18, v22, v14
	ds_bpermute_b32 v19, v22, v15
	;; [unrolled: 1-line block ×6, first 2 shown]
	v_xor_b32_e32 v0, 1, v28
	s_delay_alu instid0(VALU_DEP_1)
	v_cmp_gt_i32_e32 vcc_lo, 32, v0
	v_cndmask_b32_e32 v0, v28, v0, vcc_lo
	v_cmp_eq_u32_e32 vcc_lo, 3, v11
	s_wait_dscnt 0x4
	v_add_f64_e32 v[22:23], v[14:15], v[18:19]
	s_wait_dscnt 0x2
	v_add_f64_e32 v[14:15], v[16:17], v[24:25]
	s_wait_dscnt 0x0
	v_dual_add_f64 v[18:19], v[12:13], v[26:27] :: v_dual_lshlrev_b32 v25, 2, v0
	ds_bpermute_b32 v16, v25, v20
	ds_bpermute_b32 v17, v25, v21
	;; [unrolled: 1-line block ×8, first 2 shown]
	s_and_b32 exec_lo, exec_lo, vcc_lo
	s_cbranch_execz .LBB243_21
; %bb.17:
	v_cmp_eq_f64_e32 vcc_lo, 0, v[6:7]
	v_cmp_eq_f64_e64 s2, 0, v[8:9]
	s_wait_dscnt 0x4
	v_add_f64_e32 v[0:1], v[22:23], v[0:1]
	v_add_f64_e32 v[16:17], v[20:21], v[16:17]
	s_wait_dscnt 0x2
	v_add_f64_e32 v[12:13], v[14:15], v[12:13]
	s_wait_dscnt 0x0
	v_add_f64_e32 v[14:15], v[18:19], v[24:25]
	s_load_b64 s[0:1], s[0:1], 0x48
	s_and_b32 s2, vcc_lo, s2
	s_delay_alu instid0(SALU_CYCLE_1) | instskip(NEXT) | instid1(SALU_CYCLE_1)
	s_and_saveexec_b32 s3, s2
	s_xor_b32 s2, exec_lo, s3
	s_cbranch_execz .LBB243_19
; %bb.18:
	s_delay_alu instid0(VALU_DEP_3) | instskip(SKIP_1) | instid1(VALU_DEP_3)
	v_mul_f64_e64 v[6:7], v[16:17], -v[4:5]
	v_mul_f64_e32 v[8:9], v[2:3], v[16:17]
	v_mul_f64_e64 v[16:17], v[14:15], -v[4:5]
	v_mul_f64_e32 v[18:19], v[2:3], v[14:15]
                                        ; implicit-def: $vgpr14_vgpr15
	s_delay_alu instid0(VALU_DEP_4) | instskip(NEXT) | instid1(VALU_DEP_4)
	v_fmac_f64_e32 v[6:7], v[2:3], v[0:1]
	v_fmac_f64_e32 v[8:9], v[4:5], v[0:1]
	s_delay_alu instid0(VALU_DEP_4) | instskip(NEXT) | instid1(VALU_DEP_4)
	v_fmac_f64_e32 v[16:17], v[2:3], v[12:13]
	v_fmac_f64_e32 v[18:19], v[4:5], v[12:13]
	v_lshlrev_b32_e32 v0, 1, v10
                                        ; implicit-def: $vgpr10
                                        ; implicit-def: $vgpr12_vgpr13
                                        ; implicit-def: $vgpr4_vgpr5
	s_wait_kmcnt 0x0
	s_clause 0x1
	global_store_b128 v0, v[6:9], s[0:1] scale_offset
	global_store_b128 v0, v[16:19], s[0:1] offset:16 scale_offset
                                        ; implicit-def: $vgpr0_vgpr1
                                        ; implicit-def: $vgpr16_vgpr17
                                        ; implicit-def: $vgpr8_vgpr9
.LBB243_19:
	s_wait_xcnt 0x0
	s_and_not1_saveexec_b32 s2, s2
	s_cbranch_execz .LBB243_21
; %bb.20:
	s_delay_alu instid0(VALU_DEP_3) | instskip(SKIP_1) | instid1(VALU_DEP_3)
	v_dual_mul_f64 v[26:27], v[16:17], -v[4:5] :: v_dual_lshlrev_b32 v30, 1, v10
	v_mul_f64_e32 v[16:17], v[2:3], v[16:17]
	v_mul_f64_e64 v[28:29], v[14:15], -v[4:5]
	v_mul_f64_e32 v[10:11], v[2:3], v[14:15]
	s_wait_kmcnt 0x0
	s_clause 0x1
	global_load_b128 v[18:21], v30, s[0:1] scale_offset
	global_load_b128 v[22:25], v30, s[0:1] offset:16 scale_offset
	v_fmac_f64_e32 v[26:27], v[2:3], v[0:1]
	v_fmac_f64_e32 v[16:17], v[4:5], v[0:1]
	;; [unrolled: 1-line block ×4, first 2 shown]
	s_wait_loadcnt 0x1
	s_delay_alu instid0(VALU_DEP_4) | instskip(NEXT) | instid1(VALU_DEP_4)
	v_fmac_f64_e32 v[26:27], v[6:7], v[18:19]
	v_fmac_f64_e32 v[16:17], v[8:9], v[18:19]
	s_wait_loadcnt 0x0
	s_delay_alu instid0(VALU_DEP_4) | instskip(NEXT) | instid1(VALU_DEP_4)
	v_fmac_f64_e32 v[28:29], v[6:7], v[22:23]
	v_fmac_f64_e32 v[10:11], v[8:9], v[22:23]
	s_delay_alu instid0(VALU_DEP_4) | instskip(NEXT) | instid1(VALU_DEP_4)
	v_fma_f64 v[14:15], -v[8:9], v[20:21], v[26:27]
	v_fmac_f64_e32 v[16:17], v[6:7], v[20:21]
	s_delay_alu instid0(VALU_DEP_4) | instskip(NEXT) | instid1(VALU_DEP_4)
	v_fma_f64 v[8:9], -v[8:9], v[24:25], v[28:29]
	v_fmac_f64_e32 v[10:11], v[6:7], v[24:25]
	s_clause 0x1
	global_store_b128 v30, v[14:17], s[0:1] scale_offset
	global_store_b128 v30, v[8:11], s[0:1] offset:16 scale_offset
.LBB243_21:
	s_sendmsg sendmsg(MSG_DEALLOC_VGPRS)
	s_endpgm
	.section	.rodata,"a",@progbits
	.p2align	6, 0x0
	.amdhsa_kernel _ZN9rocsparseL19gebsrmvn_2xn_kernelILj128ELj5ELj4E21rocsparse_complex_numIdEEEvi20rocsparse_direction_NS_24const_host_device_scalarIT2_EEPKiS8_PKS5_SA_S6_PS5_21rocsparse_index_base_b
		.amdhsa_group_segment_fixed_size 0
		.amdhsa_private_segment_fixed_size 0
		.amdhsa_kernarg_size 88
		.amdhsa_user_sgpr_count 2
		.amdhsa_user_sgpr_dispatch_ptr 0
		.amdhsa_user_sgpr_queue_ptr 0
		.amdhsa_user_sgpr_kernarg_segment_ptr 1
		.amdhsa_user_sgpr_dispatch_id 0
		.amdhsa_user_sgpr_kernarg_preload_length 0
		.amdhsa_user_sgpr_kernarg_preload_offset 0
		.amdhsa_user_sgpr_private_segment_size 0
		.amdhsa_wavefront_size32 1
		.amdhsa_uses_dynamic_stack 0
		.amdhsa_enable_private_segment 0
		.amdhsa_system_sgpr_workgroup_id_x 1
		.amdhsa_system_sgpr_workgroup_id_y 0
		.amdhsa_system_sgpr_workgroup_id_z 0
		.amdhsa_system_sgpr_workgroup_info 0
		.amdhsa_system_vgpr_workitem_id 0
		.amdhsa_next_free_vgpr 83
		.amdhsa_next_free_sgpr 14
		.amdhsa_named_barrier_count 0
		.amdhsa_reserve_vcc 1
		.amdhsa_float_round_mode_32 0
		.amdhsa_float_round_mode_16_64 0
		.amdhsa_float_denorm_mode_32 3
		.amdhsa_float_denorm_mode_16_64 3
		.amdhsa_fp16_overflow 0
		.amdhsa_memory_ordered 1
		.amdhsa_forward_progress 1
		.amdhsa_inst_pref_size 18
		.amdhsa_round_robin_scheduling 0
		.amdhsa_exception_fp_ieee_invalid_op 0
		.amdhsa_exception_fp_denorm_src 0
		.amdhsa_exception_fp_ieee_div_zero 0
		.amdhsa_exception_fp_ieee_overflow 0
		.amdhsa_exception_fp_ieee_underflow 0
		.amdhsa_exception_fp_ieee_inexact 0
		.amdhsa_exception_int_div_zero 0
	.end_amdhsa_kernel
	.section	.text._ZN9rocsparseL19gebsrmvn_2xn_kernelILj128ELj5ELj4E21rocsparse_complex_numIdEEEvi20rocsparse_direction_NS_24const_host_device_scalarIT2_EEPKiS8_PKS5_SA_S6_PS5_21rocsparse_index_base_b,"axG",@progbits,_ZN9rocsparseL19gebsrmvn_2xn_kernelILj128ELj5ELj4E21rocsparse_complex_numIdEEEvi20rocsparse_direction_NS_24const_host_device_scalarIT2_EEPKiS8_PKS5_SA_S6_PS5_21rocsparse_index_base_b,comdat
.Lfunc_end243:
	.size	_ZN9rocsparseL19gebsrmvn_2xn_kernelILj128ELj5ELj4E21rocsparse_complex_numIdEEEvi20rocsparse_direction_NS_24const_host_device_scalarIT2_EEPKiS8_PKS5_SA_S6_PS5_21rocsparse_index_base_b, .Lfunc_end243-_ZN9rocsparseL19gebsrmvn_2xn_kernelILj128ELj5ELj4E21rocsparse_complex_numIdEEEvi20rocsparse_direction_NS_24const_host_device_scalarIT2_EEPKiS8_PKS5_SA_S6_PS5_21rocsparse_index_base_b
                                        ; -- End function
	.set _ZN9rocsparseL19gebsrmvn_2xn_kernelILj128ELj5ELj4E21rocsparse_complex_numIdEEEvi20rocsparse_direction_NS_24const_host_device_scalarIT2_EEPKiS8_PKS5_SA_S6_PS5_21rocsparse_index_base_b.num_vgpr, 83
	.set _ZN9rocsparseL19gebsrmvn_2xn_kernelILj128ELj5ELj4E21rocsparse_complex_numIdEEEvi20rocsparse_direction_NS_24const_host_device_scalarIT2_EEPKiS8_PKS5_SA_S6_PS5_21rocsparse_index_base_b.num_agpr, 0
	.set _ZN9rocsparseL19gebsrmvn_2xn_kernelILj128ELj5ELj4E21rocsparse_complex_numIdEEEvi20rocsparse_direction_NS_24const_host_device_scalarIT2_EEPKiS8_PKS5_SA_S6_PS5_21rocsparse_index_base_b.numbered_sgpr, 14
	.set _ZN9rocsparseL19gebsrmvn_2xn_kernelILj128ELj5ELj4E21rocsparse_complex_numIdEEEvi20rocsparse_direction_NS_24const_host_device_scalarIT2_EEPKiS8_PKS5_SA_S6_PS5_21rocsparse_index_base_b.num_named_barrier, 0
	.set _ZN9rocsparseL19gebsrmvn_2xn_kernelILj128ELj5ELj4E21rocsparse_complex_numIdEEEvi20rocsparse_direction_NS_24const_host_device_scalarIT2_EEPKiS8_PKS5_SA_S6_PS5_21rocsparse_index_base_b.private_seg_size, 0
	.set _ZN9rocsparseL19gebsrmvn_2xn_kernelILj128ELj5ELj4E21rocsparse_complex_numIdEEEvi20rocsparse_direction_NS_24const_host_device_scalarIT2_EEPKiS8_PKS5_SA_S6_PS5_21rocsparse_index_base_b.uses_vcc, 1
	.set _ZN9rocsparseL19gebsrmvn_2xn_kernelILj128ELj5ELj4E21rocsparse_complex_numIdEEEvi20rocsparse_direction_NS_24const_host_device_scalarIT2_EEPKiS8_PKS5_SA_S6_PS5_21rocsparse_index_base_b.uses_flat_scratch, 0
	.set _ZN9rocsparseL19gebsrmvn_2xn_kernelILj128ELj5ELj4E21rocsparse_complex_numIdEEEvi20rocsparse_direction_NS_24const_host_device_scalarIT2_EEPKiS8_PKS5_SA_S6_PS5_21rocsparse_index_base_b.has_dyn_sized_stack, 0
	.set _ZN9rocsparseL19gebsrmvn_2xn_kernelILj128ELj5ELj4E21rocsparse_complex_numIdEEEvi20rocsparse_direction_NS_24const_host_device_scalarIT2_EEPKiS8_PKS5_SA_S6_PS5_21rocsparse_index_base_b.has_recursion, 0
	.set _ZN9rocsparseL19gebsrmvn_2xn_kernelILj128ELj5ELj4E21rocsparse_complex_numIdEEEvi20rocsparse_direction_NS_24const_host_device_scalarIT2_EEPKiS8_PKS5_SA_S6_PS5_21rocsparse_index_base_b.has_indirect_call, 0
	.section	.AMDGPU.csdata,"",@progbits
; Kernel info:
; codeLenInByte = 2268
; TotalNumSgprs: 16
; NumVgprs: 83
; ScratchSize: 0
; MemoryBound: 0
; FloatMode: 240
; IeeeMode: 1
; LDSByteSize: 0 bytes/workgroup (compile time only)
; SGPRBlocks: 0
; VGPRBlocks: 5
; NumSGPRsForWavesPerEU: 16
; NumVGPRsForWavesPerEU: 83
; NamedBarCnt: 0
; Occupancy: 10
; WaveLimiterHint : 1
; COMPUTE_PGM_RSRC2:SCRATCH_EN: 0
; COMPUTE_PGM_RSRC2:USER_SGPR: 2
; COMPUTE_PGM_RSRC2:TRAP_HANDLER: 0
; COMPUTE_PGM_RSRC2:TGID_X_EN: 1
; COMPUTE_PGM_RSRC2:TGID_Y_EN: 0
; COMPUTE_PGM_RSRC2:TGID_Z_EN: 0
; COMPUTE_PGM_RSRC2:TIDIG_COMP_CNT: 0
	.section	.text._ZN9rocsparseL19gebsrmvn_2xn_kernelILj128ELj5ELj8E21rocsparse_complex_numIdEEEvi20rocsparse_direction_NS_24const_host_device_scalarIT2_EEPKiS8_PKS5_SA_S6_PS5_21rocsparse_index_base_b,"axG",@progbits,_ZN9rocsparseL19gebsrmvn_2xn_kernelILj128ELj5ELj8E21rocsparse_complex_numIdEEEvi20rocsparse_direction_NS_24const_host_device_scalarIT2_EEPKiS8_PKS5_SA_S6_PS5_21rocsparse_index_base_b,comdat
	.globl	_ZN9rocsparseL19gebsrmvn_2xn_kernelILj128ELj5ELj8E21rocsparse_complex_numIdEEEvi20rocsparse_direction_NS_24const_host_device_scalarIT2_EEPKiS8_PKS5_SA_S6_PS5_21rocsparse_index_base_b ; -- Begin function _ZN9rocsparseL19gebsrmvn_2xn_kernelILj128ELj5ELj8E21rocsparse_complex_numIdEEEvi20rocsparse_direction_NS_24const_host_device_scalarIT2_EEPKiS8_PKS5_SA_S6_PS5_21rocsparse_index_base_b
	.p2align	8
	.type	_ZN9rocsparseL19gebsrmvn_2xn_kernelILj128ELj5ELj8E21rocsparse_complex_numIdEEEvi20rocsparse_direction_NS_24const_host_device_scalarIT2_EEPKiS8_PKS5_SA_S6_PS5_21rocsparse_index_base_b,@function
_ZN9rocsparseL19gebsrmvn_2xn_kernelILj128ELj5ELj8E21rocsparse_complex_numIdEEEvi20rocsparse_direction_NS_24const_host_device_scalarIT2_EEPKiS8_PKS5_SA_S6_PS5_21rocsparse_index_base_b: ; @_ZN9rocsparseL19gebsrmvn_2xn_kernelILj128ELj5ELj8E21rocsparse_complex_numIdEEEvi20rocsparse_direction_NS_24const_host_device_scalarIT2_EEPKiS8_PKS5_SA_S6_PS5_21rocsparse_index_base_b
; %bb.0:
	s_clause 0x1
	s_load_b64 s[12:13], s[0:1], 0x50
	s_load_b64 s[2:3], s[0:1], 0x8
	v_mov_b32_e32 v1, 0
	s_add_nc_u64 s[4:5], s[0:1], 8
	s_load_b64 s[6:7], s[0:1], 0x38
	s_wait_kmcnt 0x0
	s_bitcmp1_b32 s13, 0
	s_cselect_b32 s3, s5, s3
	s_cselect_b32 s2, s4, s2
	flat_load_b128 v[2:5], v1, s[2:3]
	s_wait_xcnt 0x0
	s_add_nc_u64 s[2:3], s[0:1], 56
	s_delay_alu instid0(SALU_CYCLE_1)
	s_cselect_b32 s3, s3, s7
	s_cselect_b32 s2, s2, s6
	flat_load_b128 v[6:9], v1, s[2:3]
	s_wait_loadcnt_dscnt 0x101
	v_cmp_eq_f64_e32 vcc_lo, 0, v[2:3]
	s_wait_xcnt 0x0
	v_cmp_eq_f64_e64 s2, 0, v[4:5]
	s_and_b32 s4, vcc_lo, s2
	s_mov_b32 s2, -1
	s_and_saveexec_b32 s3, s4
	s_cbranch_execz .LBB244_2
; %bb.1:
	s_wait_loadcnt_dscnt 0x0
	v_cmp_neq_f64_e32 vcc_lo, 1.0, v[6:7]
	v_cmp_neq_f64_e64 s2, 0, v[8:9]
	s_or_b32 s2, vcc_lo, s2
	s_delay_alu instid0(SALU_CYCLE_1)
	s_or_not1_b32 s2, s2, exec_lo
.LBB244_2:
	s_or_b32 exec_lo, exec_lo, s3
	s_and_saveexec_b32 s3, s2
	s_cbranch_execz .LBB244_21
; %bb.3:
	s_load_b64 s[2:3], s[0:1], 0x0
	s_bfe_u32 s4, ttmp6, 0x4000c
	s_and_b32 s5, ttmp6, 15
	s_add_co_i32 s4, s4, 1
	s_getreg_b32 s6, hwreg(HW_REG_IB_STS2, 6, 4)
	s_mul_i32 s4, ttmp9, s4
	v_lshrrev_b32_e32 v1, 3, v0
	s_add_co_i32 s5, s5, s4
	s_cmp_eq_u32 s6, 0
	s_cselect_b32 s4, ttmp9, s5
	s_delay_alu instid0(VALU_DEP_1) | instid1(SALU_CYCLE_1)
	v_lshl_or_b32 v10, s4, 4, v1
	s_wait_kmcnt 0x0
	s_delay_alu instid0(VALU_DEP_1)
	v_cmp_gt_i32_e32 vcc_lo, s2, v10
	s_and_b32 exec_lo, exec_lo, vcc_lo
	s_cbranch_execz .LBB244_21
; %bb.4:
	s_load_b256 s[4:11], s[0:1], 0x18
	v_ashrrev_i32_e32 v11, 31, v10
	s_cmp_lg_u32 s3, 0
	s_wait_kmcnt 0x0
	s_delay_alu instid0(VALU_DEP_1)
	v_lshl_add_u64 v[12:13], v[10:11], 2, s[4:5]
	v_and_b32_e32 v11, 7, v0
	global_load_b64 v[12:13], v[12:13], off
	s_wait_loadcnt 0x0
	v_subrev_nc_u32_e32 v0, s12, v12
	v_subrev_nc_u32_e32 v18, s12, v13
	s_delay_alu instid0(VALU_DEP_2) | instskip(NEXT) | instid1(VALU_DEP_1)
	v_add_nc_u32_e32 v19, v0, v11
	v_cmp_lt_i32_e64 s2, v19, v18
	s_cbranch_scc0 .LBB244_10
; %bb.5:
	v_mov_b64_e32 v[0:1], 0
	v_mov_b64_e32 v[14:15], 0
	;; [unrolled: 1-line block ×4, first 2 shown]
	s_and_saveexec_b32 s3, s2
	s_cbranch_execz .LBB244_9
; %bb.6:
	v_mad_u32 v20, v19, 10, 8
	v_mov_b64_e32 v[0:1], 0
	v_mov_b64_e32 v[14:15], 0
	;; [unrolled: 1-line block ×4, first 2 shown]
	v_mov_b32_e32 v21, v19
	s_mov_b32 s4, 0
.LBB244_7:                              ; =>This Inner Loop Header: Depth=1
	global_load_b32 v22, v21, s[6:7] scale_offset
	v_dual_add_nc_u32 v34, -8, v20 :: v_dual_add_nc_u32 v46, -6, v20
	s_wait_xcnt 0x0
	v_dual_add_nc_u32 v21, 8, v21 :: v_dual_add_nc_u32 v58, -4, v20
	v_add_nc_u32_e32 v75, -2, v20
	s_delay_alu instid0(VALU_DEP_2)
	v_cmp_ge_i32_e32 vcc_lo, v21, v18
	s_or_b32 s4, vcc_lo, s4
	s_wait_loadcnt 0x0
	v_subrev_nc_u32_e32 v26, s12, v22
	global_load_b128 v[22:25], v34, s[8:9] offset:16 scale_offset
	v_lshl_add_u32 v74, v26, 2, v26
	global_load_b128 v[26:29], v34, s[8:9] scale_offset
	global_load_b128 v[30:33], v74, s[10:11] scale_offset
	v_add_nc_u32_e32 v47, 1, v74
	global_load_b128 v[34:37], v46, s[8:9] offset:16 scale_offset
	v_dual_add_nc_u32 v59, 2, v74 :: v_dual_add_nc_u32 v76, 3, v74
	v_add_nc_u32_e32 v82, 4, v74
	global_load_b128 v[38:41], v46, s[8:9] scale_offset
	global_load_b128 v[42:45], v47, s[10:11] scale_offset
	s_clause 0x1
	global_load_b128 v[46:49], v58, s[8:9] offset:16 scale_offset
	global_load_b128 v[50:53], v58, s[8:9] scale_offset
	global_load_b128 v[54:57], v59, s[10:11] scale_offset
	s_clause 0x1
	global_load_b128 v[58:61], v75, s[8:9] offset:16 scale_offset
	;; [unrolled: 4-line block ×3, first 2 shown]
	global_load_b128 v[74:77], v20, s[8:9] scale_offset
	global_load_b128 v[78:81], v82, s[10:11] scale_offset
	s_wait_xcnt 0x1
	v_add_nc_u32_e32 v20, 0x50, v20
	s_wait_loadcnt 0xc
	v_fmac_f64_e32 v[14:15], v[26:27], v[30:31]
	v_fmac_f64_e32 v[0:1], v[28:29], v[30:31]
	;; [unrolled: 1-line block ×4, first 2 shown]
	s_delay_alu instid0(VALU_DEP_4) | instskip(NEXT) | instid1(VALU_DEP_4)
	v_fma_f64 v[14:15], -v[28:29], v[32:33], v[14:15]
	v_fmac_f64_e32 v[0:1], v[26:27], v[32:33]
	s_delay_alu instid0(VALU_DEP_4) | instskip(NEXT) | instid1(VALU_DEP_4)
	v_fma_f64 v[16:17], -v[24:25], v[32:33], v[16:17]
	v_fmac_f64_e32 v[12:13], v[22:23], v[32:33]
	s_wait_loadcnt 0x9
	s_delay_alu instid0(VALU_DEP_4) | instskip(NEXT) | instid1(VALU_DEP_4)
	v_fmac_f64_e32 v[14:15], v[38:39], v[42:43]
	v_fmac_f64_e32 v[0:1], v[40:41], v[42:43]
	s_delay_alu instid0(VALU_DEP_4) | instskip(NEXT) | instid1(VALU_DEP_4)
	v_fmac_f64_e32 v[16:17], v[34:35], v[42:43]
	v_fmac_f64_e32 v[12:13], v[36:37], v[42:43]
	s_delay_alu instid0(VALU_DEP_4) | instskip(NEXT) | instid1(VALU_DEP_4)
	v_fma_f64 v[14:15], -v[40:41], v[44:45], v[14:15]
	v_fmac_f64_e32 v[0:1], v[38:39], v[44:45]
	s_delay_alu instid0(VALU_DEP_4) | instskip(NEXT) | instid1(VALU_DEP_4)
	v_fma_f64 v[16:17], -v[36:37], v[44:45], v[16:17]
	v_fmac_f64_e32 v[12:13], v[34:35], v[44:45]
	s_wait_loadcnt 0x6
	s_delay_alu instid0(VALU_DEP_4) | instskip(NEXT) | instid1(VALU_DEP_4)
	v_fmac_f64_e32 v[14:15], v[50:51], v[54:55]
	v_fmac_f64_e32 v[0:1], v[52:53], v[54:55]
	s_delay_alu instid0(VALU_DEP_4) | instskip(NEXT) | instid1(VALU_DEP_4)
	v_fmac_f64_e32 v[16:17], v[46:47], v[54:55]
	v_fmac_f64_e32 v[12:13], v[48:49], v[54:55]
	;; [unrolled: 13-line block ×4, first 2 shown]
	s_delay_alu instid0(VALU_DEP_4) | instskip(NEXT) | instid1(VALU_DEP_4)
	v_fma_f64 v[14:15], -v[76:77], v[80:81], v[14:15]
	v_fmac_f64_e32 v[0:1], v[74:75], v[80:81]
	s_delay_alu instid0(VALU_DEP_4) | instskip(NEXT) | instid1(VALU_DEP_4)
	v_fma_f64 v[16:17], -v[72:73], v[80:81], v[16:17]
	v_fmac_f64_e32 v[12:13], v[70:71], v[80:81]
	s_and_not1_b32 exec_lo, exec_lo, s4
	s_cbranch_execnz .LBB244_7
; %bb.8:
	s_or_b32 exec_lo, exec_lo, s4
.LBB244_9:
	s_delay_alu instid0(SALU_CYCLE_1)
	s_or_b32 exec_lo, exec_lo, s3
	s_cbranch_execz .LBB244_11
	s_branch .LBB244_16
.LBB244_10:
                                        ; implicit-def: $vgpr0_vgpr1
                                        ; implicit-def: $vgpr14_vgpr15
                                        ; implicit-def: $vgpr16_vgpr17
                                        ; implicit-def: $vgpr12_vgpr13
.LBB244_11:
	v_mov_b64_e32 v[0:1], 0
	v_mov_b64_e32 v[14:15], 0
	;; [unrolled: 1-line block ×4, first 2 shown]
	s_and_saveexec_b32 s3, s2
	s_cbranch_execz .LBB244_15
; %bb.12:
	v_mad_u32 v20, v19, 10, 9
	v_mov_b64_e32 v[0:1], 0
	v_mov_b64_e32 v[14:15], 0
	;; [unrolled: 1-line block ×4, first 2 shown]
	s_mov_b32 s2, 0
.LBB244_13:                             ; =>This Inner Loop Header: Depth=1
	global_load_b32 v21, v19, s[6:7] scale_offset
	v_dual_add_nc_u32 v26, -9, v20 :: v_dual_add_nc_u32 v38, -4, v20
	s_wait_xcnt 0x0
	v_dual_add_nc_u32 v58, -2, v20 :: v_dual_add_nc_u32 v19, 8, v19
	s_clause 0x1
	global_load_b128 v[22:25], v26, s[8:9] offset:16 scale_offset
	global_load_b128 v[26:29], v26, s[8:9] scale_offset
	v_cmp_ge_i32_e32 vcc_lo, v19, v18
	s_or_b32 s2, vcc_lo, s2
	s_wait_loadcnt 0x2
	v_subrev_nc_u32_e32 v21, s12, v21
	s_delay_alu instid0(VALU_DEP_1)
	v_lshl_add_u32 v21, v21, 2, v21
	global_load_b128 v[30:33], v38, s[8:9] scale_offset
	global_load_b128 v[34:37], v21, s[10:11] scale_offset
	v_dual_add_nc_u32 v46, -3, v20 :: v_dual_add_nc_u32 v47, 1, v21
	global_load_b128 v[38:41], v46, s[8:9] scale_offset
	global_load_b128 v[42:45], v47, s[10:11] scale_offset
	s_wait_xcnt 0x1
	v_dual_add_nc_u32 v46, -7, v20 :: v_dual_add_nc_u32 v59, 2, v21
	v_dual_add_nc_u32 v70, -1, v20 :: v_dual_add_nc_u32 v71, 3, v21
	;; [unrolled: 1-line block ×3, first 2 shown]
	s_clause 0x1
	global_load_b128 v[46:49], v46, s[8:9] scale_offset
	global_load_b128 v[50:53], v58, s[8:9] scale_offset
	global_load_b128 v[54:57], v59, s[10:11] scale_offset
	s_wait_xcnt 0x1
	v_add_nc_u32_e32 v58, -6, v20
	s_clause 0x1
	global_load_b128 v[58:61], v58, s[8:9] scale_offset
	global_load_b128 v[62:65], v70, s[8:9] scale_offset
	;; [unrolled: 1-line block ×3, first 2 shown]
	s_clause 0x1
	global_load_b128 v[70:73], v20, s[8:9] scale_offset
	global_load_b128 v[74:77], v82, s[8:9] scale_offset
	;; [unrolled: 1-line block ×3, first 2 shown]
	s_wait_xcnt 0x2
	v_add_nc_u32_e32 v20, 0x50, v20
	s_wait_loadcnt 0xb
	v_fmac_f64_e32 v[14:15], v[26:27], v[34:35]
	v_fmac_f64_e32 v[0:1], v[28:29], v[34:35]
	;; [unrolled: 1-line block ×4, first 2 shown]
	s_delay_alu instid0(VALU_DEP_4) | instskip(NEXT) | instid1(VALU_DEP_4)
	v_fma_f64 v[14:15], -v[28:29], v[36:37], v[14:15]
	v_fmac_f64_e32 v[0:1], v[26:27], v[36:37]
	s_delay_alu instid0(VALU_DEP_4) | instskip(NEXT) | instid1(VALU_DEP_4)
	v_fma_f64 v[16:17], -v[32:33], v[36:37], v[16:17]
	v_fmac_f64_e32 v[12:13], v[30:31], v[36:37]
	s_wait_loadcnt 0x9
	s_delay_alu instid0(VALU_DEP_4) | instskip(NEXT) | instid1(VALU_DEP_4)
	v_fmac_f64_e32 v[14:15], v[22:23], v[42:43]
	v_fmac_f64_e32 v[0:1], v[24:25], v[42:43]
	s_delay_alu instid0(VALU_DEP_4) | instskip(NEXT) | instid1(VALU_DEP_4)
	v_fmac_f64_e32 v[16:17], v[38:39], v[42:43]
	v_fmac_f64_e32 v[12:13], v[40:41], v[42:43]
	s_delay_alu instid0(VALU_DEP_4) | instskip(NEXT) | instid1(VALU_DEP_4)
	v_fma_f64 v[14:15], -v[24:25], v[44:45], v[14:15]
	v_fmac_f64_e32 v[0:1], v[22:23], v[44:45]
	s_delay_alu instid0(VALU_DEP_4) | instskip(NEXT) | instid1(VALU_DEP_4)
	v_fma_f64 v[16:17], -v[40:41], v[44:45], v[16:17]
	v_fmac_f64_e32 v[12:13], v[38:39], v[44:45]
	s_wait_loadcnt 0x6
	s_delay_alu instid0(VALU_DEP_4) | instskip(NEXT) | instid1(VALU_DEP_4)
	v_fmac_f64_e32 v[14:15], v[46:47], v[54:55]
	v_fmac_f64_e32 v[0:1], v[48:49], v[54:55]
	s_delay_alu instid0(VALU_DEP_4) | instskip(NEXT) | instid1(VALU_DEP_4)
	v_fmac_f64_e32 v[16:17], v[50:51], v[54:55]
	v_fmac_f64_e32 v[12:13], v[52:53], v[54:55]
	;; [unrolled: 13-line block ×4, first 2 shown]
	s_delay_alu instid0(VALU_DEP_4) | instskip(NEXT) | instid1(VALU_DEP_4)
	v_fma_f64 v[14:15], -v[76:77], v[80:81], v[14:15]
	v_fmac_f64_e32 v[0:1], v[74:75], v[80:81]
	s_delay_alu instid0(VALU_DEP_4) | instskip(NEXT) | instid1(VALU_DEP_4)
	v_fma_f64 v[16:17], -v[72:73], v[80:81], v[16:17]
	v_fmac_f64_e32 v[12:13], v[70:71], v[80:81]
	s_and_not1_b32 exec_lo, exec_lo, s2
	s_cbranch_execnz .LBB244_13
; %bb.14:
	s_or_b32 exec_lo, exec_lo, s2
.LBB244_15:
	s_delay_alu instid0(SALU_CYCLE_1)
	s_or_b32 exec_lo, exec_lo, s3
.LBB244_16:
	v_mbcnt_lo_u32_b32 v28, -1, 0
	s_delay_alu instid0(VALU_DEP_1) | instskip(NEXT) | instid1(VALU_DEP_1)
	v_xor_b32_e32 v18, 4, v28
	v_cmp_gt_i32_e32 vcc_lo, 32, v18
	v_cndmask_b32_e32 v18, v28, v18, vcc_lo
	s_delay_alu instid0(VALU_DEP_1)
	v_lshlrev_b32_e32 v25, 2, v18
	ds_bpermute_b32 v18, v25, v14
	ds_bpermute_b32 v19, v25, v15
	;; [unrolled: 1-line block ×4, first 2 shown]
	s_wait_dscnt 0x2
	v_add_f64_e32 v[14:15], v[14:15], v[18:19]
	s_wait_dscnt 0x0
	v_add_f64_e32 v[18:19], v[0:1], v[20:21]
	ds_bpermute_b32 v22, v25, v16
	ds_bpermute_b32 v23, v25, v17
	;; [unrolled: 1-line block ×4, first 2 shown]
	v_xor_b32_e32 v0, 2, v28
	s_delay_alu instid0(VALU_DEP_1)
	v_cmp_gt_i32_e32 vcc_lo, 32, v0
	v_cndmask_b32_e32 v0, v28, v0, vcc_lo
	s_wait_dscnt 0x2
	v_add_f64_e32 v[20:21], v[16:17], v[22:23]
	s_wait_dscnt 0x0
	v_add_f64_e32 v[22:23], v[12:13], v[24:25]
	v_lshlrev_b32_e32 v16, 2, v0
	ds_bpermute_b32 v0, v16, v14
	ds_bpermute_b32 v1, v16, v15
	;; [unrolled: 1-line block ×8, first 2 shown]
	s_wait_dscnt 0x4
	v_add_f64_e32 v[16:17], v[18:19], v[12:13]
	v_xor_b32_e32 v18, 1, v28
	s_delay_alu instid0(VALU_DEP_1) | instskip(SKIP_3) | instid1(VALU_DEP_2)
	v_cmp_gt_i32_e32 vcc_lo, 32, v18
	v_dual_add_f64 v[0:1], v[14:15], v[0:1] :: v_dual_cndmask_b32 v18, v28, v18, vcc_lo
	v_cmp_eq_u32_e32 vcc_lo, 7, v11
	s_wait_dscnt 0x2
	v_dual_add_f64 v[12:13], v[20:21], v[24:25] :: v_dual_lshlrev_b32 v21, 2, v18
	s_wait_dscnt 0x0
	v_add_f64_e32 v[14:15], v[22:23], v[26:27]
	ds_bpermute_b32 v22, v21, v16
	ds_bpermute_b32 v23, v21, v17
	;; [unrolled: 1-line block ×8, first 2 shown]
	s_and_b32 exec_lo, exec_lo, vcc_lo
	s_cbranch_execz .LBB244_21
; %bb.17:
	v_cmp_eq_f64_e32 vcc_lo, 0, v[6:7]
	v_cmp_eq_f64_e64 s2, 0, v[8:9]
	s_wait_dscnt 0x4
	v_add_f64_e32 v[0:1], v[0:1], v[24:25]
	v_add_f64_e32 v[16:17], v[16:17], v[22:23]
	s_wait_dscnt 0x2
	v_add_f64_e32 v[12:13], v[12:13], v[18:19]
	s_wait_dscnt 0x0
	v_add_f64_e32 v[14:15], v[14:15], v[20:21]
	s_load_b64 s[0:1], s[0:1], 0x48
	s_and_b32 s2, vcc_lo, s2
	s_delay_alu instid0(SALU_CYCLE_1) | instskip(NEXT) | instid1(SALU_CYCLE_1)
	s_and_saveexec_b32 s3, s2
	s_xor_b32 s2, exec_lo, s3
	s_cbranch_execz .LBB244_19
; %bb.18:
	s_delay_alu instid0(VALU_DEP_3) | instskip(SKIP_1) | instid1(VALU_DEP_3)
	v_mul_f64_e64 v[6:7], v[16:17], -v[4:5]
	v_mul_f64_e32 v[8:9], v[2:3], v[16:17]
	v_mul_f64_e64 v[16:17], v[14:15], -v[4:5]
	v_mul_f64_e32 v[18:19], v[2:3], v[14:15]
                                        ; implicit-def: $vgpr14_vgpr15
	s_delay_alu instid0(VALU_DEP_4) | instskip(NEXT) | instid1(VALU_DEP_4)
	v_fmac_f64_e32 v[6:7], v[2:3], v[0:1]
	v_fmac_f64_e32 v[8:9], v[4:5], v[0:1]
	s_delay_alu instid0(VALU_DEP_4) | instskip(NEXT) | instid1(VALU_DEP_4)
	v_fmac_f64_e32 v[16:17], v[2:3], v[12:13]
	v_fmac_f64_e32 v[18:19], v[4:5], v[12:13]
	v_lshlrev_b32_e32 v0, 1, v10
                                        ; implicit-def: $vgpr10
                                        ; implicit-def: $vgpr12_vgpr13
                                        ; implicit-def: $vgpr4_vgpr5
	s_wait_kmcnt 0x0
	s_clause 0x1
	global_store_b128 v0, v[6:9], s[0:1] scale_offset
	global_store_b128 v0, v[16:19], s[0:1] offset:16 scale_offset
                                        ; implicit-def: $vgpr0_vgpr1
                                        ; implicit-def: $vgpr16_vgpr17
                                        ; implicit-def: $vgpr8_vgpr9
.LBB244_19:
	s_wait_xcnt 0x0
	s_and_not1_saveexec_b32 s2, s2
	s_cbranch_execz .LBB244_21
; %bb.20:
	s_delay_alu instid0(VALU_DEP_3) | instskip(SKIP_1) | instid1(VALU_DEP_3)
	v_dual_mul_f64 v[26:27], v[16:17], -v[4:5] :: v_dual_lshlrev_b32 v30, 1, v10
	v_mul_f64_e32 v[16:17], v[2:3], v[16:17]
	v_mul_f64_e64 v[28:29], v[14:15], -v[4:5]
	v_mul_f64_e32 v[10:11], v[2:3], v[14:15]
	s_wait_kmcnt 0x0
	s_clause 0x1
	global_load_b128 v[18:21], v30, s[0:1] scale_offset
	global_load_b128 v[22:25], v30, s[0:1] offset:16 scale_offset
	v_fmac_f64_e32 v[26:27], v[2:3], v[0:1]
	v_fmac_f64_e32 v[16:17], v[4:5], v[0:1]
	;; [unrolled: 1-line block ×4, first 2 shown]
	s_wait_loadcnt 0x1
	s_delay_alu instid0(VALU_DEP_4) | instskip(NEXT) | instid1(VALU_DEP_4)
	v_fmac_f64_e32 v[26:27], v[6:7], v[18:19]
	v_fmac_f64_e32 v[16:17], v[8:9], v[18:19]
	s_wait_loadcnt 0x0
	s_delay_alu instid0(VALU_DEP_4) | instskip(NEXT) | instid1(VALU_DEP_4)
	v_fmac_f64_e32 v[28:29], v[6:7], v[22:23]
	v_fmac_f64_e32 v[10:11], v[8:9], v[22:23]
	s_delay_alu instid0(VALU_DEP_4) | instskip(NEXT) | instid1(VALU_DEP_4)
	v_fma_f64 v[14:15], -v[8:9], v[20:21], v[26:27]
	v_fmac_f64_e32 v[16:17], v[6:7], v[20:21]
	s_delay_alu instid0(VALU_DEP_4) | instskip(NEXT) | instid1(VALU_DEP_4)
	v_fma_f64 v[8:9], -v[8:9], v[24:25], v[28:29]
	v_fmac_f64_e32 v[10:11], v[6:7], v[24:25]
	s_clause 0x1
	global_store_b128 v30, v[14:17], s[0:1] scale_offset
	global_store_b128 v30, v[8:11], s[0:1] offset:16 scale_offset
.LBB244_21:
	s_sendmsg sendmsg(MSG_DEALLOC_VGPRS)
	s_endpgm
	.section	.rodata,"a",@progbits
	.p2align	6, 0x0
	.amdhsa_kernel _ZN9rocsparseL19gebsrmvn_2xn_kernelILj128ELj5ELj8E21rocsparse_complex_numIdEEEvi20rocsparse_direction_NS_24const_host_device_scalarIT2_EEPKiS8_PKS5_SA_S6_PS5_21rocsparse_index_base_b
		.amdhsa_group_segment_fixed_size 0
		.amdhsa_private_segment_fixed_size 0
		.amdhsa_kernarg_size 88
		.amdhsa_user_sgpr_count 2
		.amdhsa_user_sgpr_dispatch_ptr 0
		.amdhsa_user_sgpr_queue_ptr 0
		.amdhsa_user_sgpr_kernarg_segment_ptr 1
		.amdhsa_user_sgpr_dispatch_id 0
		.amdhsa_user_sgpr_kernarg_preload_length 0
		.amdhsa_user_sgpr_kernarg_preload_offset 0
		.amdhsa_user_sgpr_private_segment_size 0
		.amdhsa_wavefront_size32 1
		.amdhsa_uses_dynamic_stack 0
		.amdhsa_enable_private_segment 0
		.amdhsa_system_sgpr_workgroup_id_x 1
		.amdhsa_system_sgpr_workgroup_id_y 0
		.amdhsa_system_sgpr_workgroup_id_z 0
		.amdhsa_system_sgpr_workgroup_info 0
		.amdhsa_system_vgpr_workitem_id 0
		.amdhsa_next_free_vgpr 83
		.amdhsa_next_free_sgpr 14
		.amdhsa_named_barrier_count 0
		.amdhsa_reserve_vcc 1
		.amdhsa_float_round_mode_32 0
		.amdhsa_float_round_mode_16_64 0
		.amdhsa_float_denorm_mode_32 3
		.amdhsa_float_denorm_mode_16_64 3
		.amdhsa_fp16_overflow 0
		.amdhsa_memory_ordered 1
		.amdhsa_forward_progress 1
		.amdhsa_inst_pref_size 19
		.amdhsa_round_robin_scheduling 0
		.amdhsa_exception_fp_ieee_invalid_op 0
		.amdhsa_exception_fp_denorm_src 0
		.amdhsa_exception_fp_ieee_div_zero 0
		.amdhsa_exception_fp_ieee_overflow 0
		.amdhsa_exception_fp_ieee_underflow 0
		.amdhsa_exception_fp_ieee_inexact 0
		.amdhsa_exception_int_div_zero 0
	.end_amdhsa_kernel
	.section	.text._ZN9rocsparseL19gebsrmvn_2xn_kernelILj128ELj5ELj8E21rocsparse_complex_numIdEEEvi20rocsparse_direction_NS_24const_host_device_scalarIT2_EEPKiS8_PKS5_SA_S6_PS5_21rocsparse_index_base_b,"axG",@progbits,_ZN9rocsparseL19gebsrmvn_2xn_kernelILj128ELj5ELj8E21rocsparse_complex_numIdEEEvi20rocsparse_direction_NS_24const_host_device_scalarIT2_EEPKiS8_PKS5_SA_S6_PS5_21rocsparse_index_base_b,comdat
.Lfunc_end244:
	.size	_ZN9rocsparseL19gebsrmvn_2xn_kernelILj128ELj5ELj8E21rocsparse_complex_numIdEEEvi20rocsparse_direction_NS_24const_host_device_scalarIT2_EEPKiS8_PKS5_SA_S6_PS5_21rocsparse_index_base_b, .Lfunc_end244-_ZN9rocsparseL19gebsrmvn_2xn_kernelILj128ELj5ELj8E21rocsparse_complex_numIdEEEvi20rocsparse_direction_NS_24const_host_device_scalarIT2_EEPKiS8_PKS5_SA_S6_PS5_21rocsparse_index_base_b
                                        ; -- End function
	.set _ZN9rocsparseL19gebsrmvn_2xn_kernelILj128ELj5ELj8E21rocsparse_complex_numIdEEEvi20rocsparse_direction_NS_24const_host_device_scalarIT2_EEPKiS8_PKS5_SA_S6_PS5_21rocsparse_index_base_b.num_vgpr, 83
	.set _ZN9rocsparseL19gebsrmvn_2xn_kernelILj128ELj5ELj8E21rocsparse_complex_numIdEEEvi20rocsparse_direction_NS_24const_host_device_scalarIT2_EEPKiS8_PKS5_SA_S6_PS5_21rocsparse_index_base_b.num_agpr, 0
	.set _ZN9rocsparseL19gebsrmvn_2xn_kernelILj128ELj5ELj8E21rocsparse_complex_numIdEEEvi20rocsparse_direction_NS_24const_host_device_scalarIT2_EEPKiS8_PKS5_SA_S6_PS5_21rocsparse_index_base_b.numbered_sgpr, 14
	.set _ZN9rocsparseL19gebsrmvn_2xn_kernelILj128ELj5ELj8E21rocsparse_complex_numIdEEEvi20rocsparse_direction_NS_24const_host_device_scalarIT2_EEPKiS8_PKS5_SA_S6_PS5_21rocsparse_index_base_b.num_named_barrier, 0
	.set _ZN9rocsparseL19gebsrmvn_2xn_kernelILj128ELj5ELj8E21rocsparse_complex_numIdEEEvi20rocsparse_direction_NS_24const_host_device_scalarIT2_EEPKiS8_PKS5_SA_S6_PS5_21rocsparse_index_base_b.private_seg_size, 0
	.set _ZN9rocsparseL19gebsrmvn_2xn_kernelILj128ELj5ELj8E21rocsparse_complex_numIdEEEvi20rocsparse_direction_NS_24const_host_device_scalarIT2_EEPKiS8_PKS5_SA_S6_PS5_21rocsparse_index_base_b.uses_vcc, 1
	.set _ZN9rocsparseL19gebsrmvn_2xn_kernelILj128ELj5ELj8E21rocsparse_complex_numIdEEEvi20rocsparse_direction_NS_24const_host_device_scalarIT2_EEPKiS8_PKS5_SA_S6_PS5_21rocsparse_index_base_b.uses_flat_scratch, 0
	.set _ZN9rocsparseL19gebsrmvn_2xn_kernelILj128ELj5ELj8E21rocsparse_complex_numIdEEEvi20rocsparse_direction_NS_24const_host_device_scalarIT2_EEPKiS8_PKS5_SA_S6_PS5_21rocsparse_index_base_b.has_dyn_sized_stack, 0
	.set _ZN9rocsparseL19gebsrmvn_2xn_kernelILj128ELj5ELj8E21rocsparse_complex_numIdEEEvi20rocsparse_direction_NS_24const_host_device_scalarIT2_EEPKiS8_PKS5_SA_S6_PS5_21rocsparse_index_base_b.has_recursion, 0
	.set _ZN9rocsparseL19gebsrmvn_2xn_kernelILj128ELj5ELj8E21rocsparse_complex_numIdEEEvi20rocsparse_direction_NS_24const_host_device_scalarIT2_EEPKiS8_PKS5_SA_S6_PS5_21rocsparse_index_base_b.has_indirect_call, 0
	.section	.AMDGPU.csdata,"",@progbits
; Kernel info:
; codeLenInByte = 2396
; TotalNumSgprs: 16
; NumVgprs: 83
; ScratchSize: 0
; MemoryBound: 0
; FloatMode: 240
; IeeeMode: 1
; LDSByteSize: 0 bytes/workgroup (compile time only)
; SGPRBlocks: 0
; VGPRBlocks: 5
; NumSGPRsForWavesPerEU: 16
; NumVGPRsForWavesPerEU: 83
; NamedBarCnt: 0
; Occupancy: 10
; WaveLimiterHint : 1
; COMPUTE_PGM_RSRC2:SCRATCH_EN: 0
; COMPUTE_PGM_RSRC2:USER_SGPR: 2
; COMPUTE_PGM_RSRC2:TRAP_HANDLER: 0
; COMPUTE_PGM_RSRC2:TGID_X_EN: 1
; COMPUTE_PGM_RSRC2:TGID_Y_EN: 0
; COMPUTE_PGM_RSRC2:TGID_Z_EN: 0
; COMPUTE_PGM_RSRC2:TIDIG_COMP_CNT: 0
	.section	.text._ZN9rocsparseL19gebsrmvn_2xn_kernelILj128ELj5ELj16E21rocsparse_complex_numIdEEEvi20rocsparse_direction_NS_24const_host_device_scalarIT2_EEPKiS8_PKS5_SA_S6_PS5_21rocsparse_index_base_b,"axG",@progbits,_ZN9rocsparseL19gebsrmvn_2xn_kernelILj128ELj5ELj16E21rocsparse_complex_numIdEEEvi20rocsparse_direction_NS_24const_host_device_scalarIT2_EEPKiS8_PKS5_SA_S6_PS5_21rocsparse_index_base_b,comdat
	.globl	_ZN9rocsparseL19gebsrmvn_2xn_kernelILj128ELj5ELj16E21rocsparse_complex_numIdEEEvi20rocsparse_direction_NS_24const_host_device_scalarIT2_EEPKiS8_PKS5_SA_S6_PS5_21rocsparse_index_base_b ; -- Begin function _ZN9rocsparseL19gebsrmvn_2xn_kernelILj128ELj5ELj16E21rocsparse_complex_numIdEEEvi20rocsparse_direction_NS_24const_host_device_scalarIT2_EEPKiS8_PKS5_SA_S6_PS5_21rocsparse_index_base_b
	.p2align	8
	.type	_ZN9rocsparseL19gebsrmvn_2xn_kernelILj128ELj5ELj16E21rocsparse_complex_numIdEEEvi20rocsparse_direction_NS_24const_host_device_scalarIT2_EEPKiS8_PKS5_SA_S6_PS5_21rocsparse_index_base_b,@function
_ZN9rocsparseL19gebsrmvn_2xn_kernelILj128ELj5ELj16E21rocsparse_complex_numIdEEEvi20rocsparse_direction_NS_24const_host_device_scalarIT2_EEPKiS8_PKS5_SA_S6_PS5_21rocsparse_index_base_b: ; @_ZN9rocsparseL19gebsrmvn_2xn_kernelILj128ELj5ELj16E21rocsparse_complex_numIdEEEvi20rocsparse_direction_NS_24const_host_device_scalarIT2_EEPKiS8_PKS5_SA_S6_PS5_21rocsparse_index_base_b
; %bb.0:
	s_clause 0x1
	s_load_b64 s[12:13], s[0:1], 0x50
	s_load_b64 s[2:3], s[0:1], 0x8
	v_mov_b32_e32 v1, 0
	s_add_nc_u64 s[4:5], s[0:1], 8
	s_load_b64 s[6:7], s[0:1], 0x38
	s_wait_kmcnt 0x0
	s_bitcmp1_b32 s13, 0
	s_cselect_b32 s3, s5, s3
	s_cselect_b32 s2, s4, s2
	flat_load_b128 v[2:5], v1, s[2:3]
	s_wait_xcnt 0x0
	s_add_nc_u64 s[2:3], s[0:1], 56
	s_delay_alu instid0(SALU_CYCLE_1)
	s_cselect_b32 s3, s3, s7
	s_cselect_b32 s2, s2, s6
	flat_load_b128 v[6:9], v1, s[2:3]
	s_wait_loadcnt_dscnt 0x101
	v_cmp_eq_f64_e32 vcc_lo, 0, v[2:3]
	s_wait_xcnt 0x0
	v_cmp_eq_f64_e64 s2, 0, v[4:5]
	s_and_b32 s4, vcc_lo, s2
	s_mov_b32 s2, -1
	s_and_saveexec_b32 s3, s4
	s_cbranch_execz .LBB245_2
; %bb.1:
	s_wait_loadcnt_dscnt 0x0
	v_cmp_neq_f64_e32 vcc_lo, 1.0, v[6:7]
	v_cmp_neq_f64_e64 s2, 0, v[8:9]
	s_or_b32 s2, vcc_lo, s2
	s_delay_alu instid0(SALU_CYCLE_1)
	s_or_not1_b32 s2, s2, exec_lo
.LBB245_2:
	s_or_b32 exec_lo, exec_lo, s3
	s_and_saveexec_b32 s3, s2
	s_cbranch_execz .LBB245_21
; %bb.3:
	s_load_b64 s[2:3], s[0:1], 0x0
	s_bfe_u32 s4, ttmp6, 0x4000c
	s_and_b32 s5, ttmp6, 15
	s_add_co_i32 s4, s4, 1
	s_getreg_b32 s6, hwreg(HW_REG_IB_STS2, 6, 4)
	s_mul_i32 s4, ttmp9, s4
	v_lshrrev_b32_e32 v1, 4, v0
	s_add_co_i32 s5, s5, s4
	s_cmp_eq_u32 s6, 0
	s_cselect_b32 s4, ttmp9, s5
	s_delay_alu instid0(VALU_DEP_1) | instid1(SALU_CYCLE_1)
	v_lshl_or_b32 v10, s4, 3, v1
	s_wait_kmcnt 0x0
	s_delay_alu instid0(VALU_DEP_1)
	v_cmp_gt_i32_e32 vcc_lo, s2, v10
	s_and_b32 exec_lo, exec_lo, vcc_lo
	s_cbranch_execz .LBB245_21
; %bb.4:
	s_load_b256 s[4:11], s[0:1], 0x18
	v_ashrrev_i32_e32 v11, 31, v10
	s_cmp_lg_u32 s3, 0
	s_wait_kmcnt 0x0
	s_delay_alu instid0(VALU_DEP_1)
	v_lshl_add_u64 v[12:13], v[10:11], 2, s[4:5]
	v_and_b32_e32 v11, 15, v0
	global_load_b64 v[12:13], v[12:13], off
	s_wait_loadcnt 0x0
	v_subrev_nc_u32_e32 v0, s12, v12
	v_subrev_nc_u32_e32 v18, s12, v13
	s_delay_alu instid0(VALU_DEP_2) | instskip(NEXT) | instid1(VALU_DEP_1)
	v_add_nc_u32_e32 v19, v0, v11
	v_cmp_lt_i32_e64 s2, v19, v18
	s_cbranch_scc0 .LBB245_10
; %bb.5:
	v_mov_b64_e32 v[0:1], 0
	v_mov_b64_e32 v[14:15], 0
	;; [unrolled: 1-line block ×4, first 2 shown]
	s_and_saveexec_b32 s3, s2
	s_cbranch_execz .LBB245_9
; %bb.6:
	v_mad_u32 v20, v19, 10, 8
	v_mov_b64_e32 v[0:1], 0
	v_mov_b64_e32 v[14:15], 0
	;; [unrolled: 1-line block ×4, first 2 shown]
	v_mov_b32_e32 v21, v19
	s_mov_b32 s4, 0
.LBB245_7:                              ; =>This Inner Loop Header: Depth=1
	global_load_b32 v22, v21, s[6:7] scale_offset
	v_dual_add_nc_u32 v34, -8, v20 :: v_dual_add_nc_u32 v46, -6, v20
	s_wait_xcnt 0x0
	v_dual_add_nc_u32 v21, 16, v21 :: v_dual_add_nc_u32 v58, -4, v20
	v_add_nc_u32_e32 v75, -2, v20
	s_delay_alu instid0(VALU_DEP_2)
	v_cmp_ge_i32_e32 vcc_lo, v21, v18
	s_or_b32 s4, vcc_lo, s4
	s_wait_loadcnt 0x0
	v_subrev_nc_u32_e32 v26, s12, v22
	global_load_b128 v[22:25], v34, s[8:9] offset:16 scale_offset
	v_lshl_add_u32 v74, v26, 2, v26
	global_load_b128 v[26:29], v34, s[8:9] scale_offset
	global_load_b128 v[30:33], v74, s[10:11] scale_offset
	v_add_nc_u32_e32 v47, 1, v74
	global_load_b128 v[34:37], v46, s[8:9] offset:16 scale_offset
	v_dual_add_nc_u32 v59, 2, v74 :: v_dual_add_nc_u32 v76, 3, v74
	v_add_nc_u32_e32 v82, 4, v74
	global_load_b128 v[38:41], v46, s[8:9] scale_offset
	global_load_b128 v[42:45], v47, s[10:11] scale_offset
	s_clause 0x1
	global_load_b128 v[46:49], v58, s[8:9] offset:16 scale_offset
	global_load_b128 v[50:53], v58, s[8:9] scale_offset
	global_load_b128 v[54:57], v59, s[10:11] scale_offset
	s_clause 0x1
	global_load_b128 v[58:61], v75, s[8:9] offset:16 scale_offset
	;; [unrolled: 4-line block ×3, first 2 shown]
	global_load_b128 v[74:77], v20, s[8:9] scale_offset
	global_load_b128 v[78:81], v82, s[10:11] scale_offset
	s_wait_xcnt 0x1
	v_add_nc_u32_e32 v20, 0xa0, v20
	s_wait_loadcnt 0xc
	v_fmac_f64_e32 v[14:15], v[26:27], v[30:31]
	v_fmac_f64_e32 v[0:1], v[28:29], v[30:31]
	;; [unrolled: 1-line block ×4, first 2 shown]
	s_delay_alu instid0(VALU_DEP_4) | instskip(NEXT) | instid1(VALU_DEP_4)
	v_fma_f64 v[14:15], -v[28:29], v[32:33], v[14:15]
	v_fmac_f64_e32 v[0:1], v[26:27], v[32:33]
	s_delay_alu instid0(VALU_DEP_4) | instskip(NEXT) | instid1(VALU_DEP_4)
	v_fma_f64 v[16:17], -v[24:25], v[32:33], v[16:17]
	v_fmac_f64_e32 v[12:13], v[22:23], v[32:33]
	s_wait_loadcnt 0x9
	s_delay_alu instid0(VALU_DEP_4) | instskip(NEXT) | instid1(VALU_DEP_4)
	v_fmac_f64_e32 v[14:15], v[38:39], v[42:43]
	v_fmac_f64_e32 v[0:1], v[40:41], v[42:43]
	s_delay_alu instid0(VALU_DEP_4) | instskip(NEXT) | instid1(VALU_DEP_4)
	v_fmac_f64_e32 v[16:17], v[34:35], v[42:43]
	v_fmac_f64_e32 v[12:13], v[36:37], v[42:43]
	s_delay_alu instid0(VALU_DEP_4) | instskip(NEXT) | instid1(VALU_DEP_4)
	v_fma_f64 v[14:15], -v[40:41], v[44:45], v[14:15]
	v_fmac_f64_e32 v[0:1], v[38:39], v[44:45]
	s_delay_alu instid0(VALU_DEP_4) | instskip(NEXT) | instid1(VALU_DEP_4)
	v_fma_f64 v[16:17], -v[36:37], v[44:45], v[16:17]
	v_fmac_f64_e32 v[12:13], v[34:35], v[44:45]
	s_wait_loadcnt 0x6
	s_delay_alu instid0(VALU_DEP_4) | instskip(NEXT) | instid1(VALU_DEP_4)
	v_fmac_f64_e32 v[14:15], v[50:51], v[54:55]
	v_fmac_f64_e32 v[0:1], v[52:53], v[54:55]
	s_delay_alu instid0(VALU_DEP_4) | instskip(NEXT) | instid1(VALU_DEP_4)
	v_fmac_f64_e32 v[16:17], v[46:47], v[54:55]
	v_fmac_f64_e32 v[12:13], v[48:49], v[54:55]
	;; [unrolled: 13-line block ×4, first 2 shown]
	s_delay_alu instid0(VALU_DEP_4) | instskip(NEXT) | instid1(VALU_DEP_4)
	v_fma_f64 v[14:15], -v[76:77], v[80:81], v[14:15]
	v_fmac_f64_e32 v[0:1], v[74:75], v[80:81]
	s_delay_alu instid0(VALU_DEP_4) | instskip(NEXT) | instid1(VALU_DEP_4)
	v_fma_f64 v[16:17], -v[72:73], v[80:81], v[16:17]
	v_fmac_f64_e32 v[12:13], v[70:71], v[80:81]
	s_and_not1_b32 exec_lo, exec_lo, s4
	s_cbranch_execnz .LBB245_7
; %bb.8:
	s_or_b32 exec_lo, exec_lo, s4
.LBB245_9:
	s_delay_alu instid0(SALU_CYCLE_1)
	s_or_b32 exec_lo, exec_lo, s3
	s_cbranch_execz .LBB245_11
	s_branch .LBB245_16
.LBB245_10:
                                        ; implicit-def: $vgpr0_vgpr1
                                        ; implicit-def: $vgpr14_vgpr15
                                        ; implicit-def: $vgpr16_vgpr17
                                        ; implicit-def: $vgpr12_vgpr13
.LBB245_11:
	v_mov_b64_e32 v[0:1], 0
	v_mov_b64_e32 v[14:15], 0
	;; [unrolled: 1-line block ×4, first 2 shown]
	s_and_saveexec_b32 s3, s2
	s_cbranch_execz .LBB245_15
; %bb.12:
	v_mad_u32 v20, v19, 10, 9
	v_mov_b64_e32 v[0:1], 0
	v_mov_b64_e32 v[14:15], 0
	;; [unrolled: 1-line block ×4, first 2 shown]
	s_mov_b32 s2, 0
.LBB245_13:                             ; =>This Inner Loop Header: Depth=1
	global_load_b32 v21, v19, s[6:7] scale_offset
	v_dual_add_nc_u32 v26, -9, v20 :: v_dual_add_nc_u32 v38, -4, v20
	s_wait_xcnt 0x0
	v_dual_add_nc_u32 v58, -2, v20 :: v_dual_add_nc_u32 v19, 16, v19
	s_clause 0x1
	global_load_b128 v[22:25], v26, s[8:9] offset:16 scale_offset
	global_load_b128 v[26:29], v26, s[8:9] scale_offset
	v_cmp_ge_i32_e32 vcc_lo, v19, v18
	s_or_b32 s2, vcc_lo, s2
	s_wait_loadcnt 0x2
	v_subrev_nc_u32_e32 v21, s12, v21
	s_delay_alu instid0(VALU_DEP_1)
	v_lshl_add_u32 v21, v21, 2, v21
	global_load_b128 v[30:33], v38, s[8:9] scale_offset
	global_load_b128 v[34:37], v21, s[10:11] scale_offset
	v_dual_add_nc_u32 v46, -3, v20 :: v_dual_add_nc_u32 v47, 1, v21
	global_load_b128 v[38:41], v46, s[8:9] scale_offset
	global_load_b128 v[42:45], v47, s[10:11] scale_offset
	s_wait_xcnt 0x1
	v_dual_add_nc_u32 v46, -7, v20 :: v_dual_add_nc_u32 v59, 2, v21
	v_dual_add_nc_u32 v70, -1, v20 :: v_dual_add_nc_u32 v71, 3, v21
	;; [unrolled: 1-line block ×3, first 2 shown]
	s_clause 0x1
	global_load_b128 v[46:49], v46, s[8:9] scale_offset
	global_load_b128 v[50:53], v58, s[8:9] scale_offset
	;; [unrolled: 1-line block ×3, first 2 shown]
	s_wait_xcnt 0x1
	v_add_nc_u32_e32 v58, -6, v20
	s_clause 0x1
	global_load_b128 v[58:61], v58, s[8:9] scale_offset
	global_load_b128 v[62:65], v70, s[8:9] scale_offset
	;; [unrolled: 1-line block ×3, first 2 shown]
	s_clause 0x1
	global_load_b128 v[70:73], v20, s[8:9] scale_offset
	global_load_b128 v[74:77], v82, s[8:9] scale_offset
	;; [unrolled: 1-line block ×3, first 2 shown]
	s_wait_xcnt 0x2
	v_add_nc_u32_e32 v20, 0xa0, v20
	s_wait_loadcnt 0xb
	v_fmac_f64_e32 v[14:15], v[26:27], v[34:35]
	v_fmac_f64_e32 v[0:1], v[28:29], v[34:35]
	;; [unrolled: 1-line block ×4, first 2 shown]
	s_delay_alu instid0(VALU_DEP_4) | instskip(NEXT) | instid1(VALU_DEP_4)
	v_fma_f64 v[14:15], -v[28:29], v[36:37], v[14:15]
	v_fmac_f64_e32 v[0:1], v[26:27], v[36:37]
	s_delay_alu instid0(VALU_DEP_4) | instskip(NEXT) | instid1(VALU_DEP_4)
	v_fma_f64 v[16:17], -v[32:33], v[36:37], v[16:17]
	v_fmac_f64_e32 v[12:13], v[30:31], v[36:37]
	s_wait_loadcnt 0x9
	s_delay_alu instid0(VALU_DEP_4) | instskip(NEXT) | instid1(VALU_DEP_4)
	v_fmac_f64_e32 v[14:15], v[22:23], v[42:43]
	v_fmac_f64_e32 v[0:1], v[24:25], v[42:43]
	s_delay_alu instid0(VALU_DEP_4) | instskip(NEXT) | instid1(VALU_DEP_4)
	v_fmac_f64_e32 v[16:17], v[38:39], v[42:43]
	v_fmac_f64_e32 v[12:13], v[40:41], v[42:43]
	s_delay_alu instid0(VALU_DEP_4) | instskip(NEXT) | instid1(VALU_DEP_4)
	v_fma_f64 v[14:15], -v[24:25], v[44:45], v[14:15]
	v_fmac_f64_e32 v[0:1], v[22:23], v[44:45]
	s_delay_alu instid0(VALU_DEP_4) | instskip(NEXT) | instid1(VALU_DEP_4)
	v_fma_f64 v[16:17], -v[40:41], v[44:45], v[16:17]
	v_fmac_f64_e32 v[12:13], v[38:39], v[44:45]
	s_wait_loadcnt 0x6
	s_delay_alu instid0(VALU_DEP_4) | instskip(NEXT) | instid1(VALU_DEP_4)
	v_fmac_f64_e32 v[14:15], v[46:47], v[54:55]
	v_fmac_f64_e32 v[0:1], v[48:49], v[54:55]
	s_delay_alu instid0(VALU_DEP_4) | instskip(NEXT) | instid1(VALU_DEP_4)
	v_fmac_f64_e32 v[16:17], v[50:51], v[54:55]
	v_fmac_f64_e32 v[12:13], v[52:53], v[54:55]
	;; [unrolled: 13-line block ×4, first 2 shown]
	s_delay_alu instid0(VALU_DEP_4) | instskip(NEXT) | instid1(VALU_DEP_4)
	v_fma_f64 v[14:15], -v[76:77], v[80:81], v[14:15]
	v_fmac_f64_e32 v[0:1], v[74:75], v[80:81]
	s_delay_alu instid0(VALU_DEP_4) | instskip(NEXT) | instid1(VALU_DEP_4)
	v_fma_f64 v[16:17], -v[72:73], v[80:81], v[16:17]
	v_fmac_f64_e32 v[12:13], v[70:71], v[80:81]
	s_and_not1_b32 exec_lo, exec_lo, s2
	s_cbranch_execnz .LBB245_13
; %bb.14:
	s_or_b32 exec_lo, exec_lo, s2
.LBB245_15:
	s_delay_alu instid0(SALU_CYCLE_1)
	s_or_b32 exec_lo, exec_lo, s3
.LBB245_16:
	v_mbcnt_lo_u32_b32 v28, -1, 0
	s_delay_alu instid0(VALU_DEP_1) | instskip(NEXT) | instid1(VALU_DEP_1)
	v_xor_b32_e32 v18, 8, v28
	v_cmp_gt_i32_e32 vcc_lo, 32, v18
	v_cndmask_b32_e32 v18, v28, v18, vcc_lo
	s_delay_alu instid0(VALU_DEP_1)
	v_lshlrev_b32_e32 v25, 2, v18
	ds_bpermute_b32 v20, v25, v0
	ds_bpermute_b32 v21, v25, v1
	s_wait_dscnt 0x0
	v_add_f64_e32 v[0:1], v[0:1], v[20:21]
	ds_bpermute_b32 v18, v25, v14
	ds_bpermute_b32 v19, v25, v15
	;; [unrolled: 1-line block ×6, first 2 shown]
	s_wait_dscnt 0x4
	v_dual_add_f64 v[14:15], v[14:15], v[18:19] :: v_dual_bitop2_b32 v18, 4, v28 bitop3:0x14
	s_wait_dscnt 0x2
	v_add_f64_e32 v[16:17], v[16:17], v[22:23]
	s_delay_alu instid0(VALU_DEP_2) | instskip(SKIP_2) | instid1(VALU_DEP_1)
	v_cmp_gt_i32_e32 vcc_lo, 32, v18
	v_cndmask_b32_e32 v18, v28, v18, vcc_lo
	s_wait_dscnt 0x0
	v_dual_add_f64 v[12:13], v[12:13], v[24:25] :: v_dual_lshlrev_b32 v25, 2, v18
	ds_bpermute_b32 v20, v25, v0
	ds_bpermute_b32 v21, v25, v1
	;; [unrolled: 1-line block ×8, first 2 shown]
	s_wait_dscnt 0x4
	v_add_f64_e32 v[14:15], v[14:15], v[18:19]
	v_add_f64_e32 v[18:19], v[0:1], v[20:21]
	s_wait_dscnt 0x2
	v_dual_add_f64 v[20:21], v[16:17], v[22:23] :: v_dual_bitop2_b32 v0, 2, v28 bitop3:0x14
	s_delay_alu instid0(VALU_DEP_1) | instskip(SKIP_3) | instid1(VALU_DEP_1)
	v_cmp_gt_i32_e32 vcc_lo, 32, v0
	s_wait_dscnt 0x0
	v_add_f64_e32 v[22:23], v[12:13], v[24:25]
	v_cndmask_b32_e32 v0, v28, v0, vcc_lo
	v_lshlrev_b32_e32 v16, 2, v0
	ds_bpermute_b32 v0, v16, v14
	ds_bpermute_b32 v12, v16, v18
	;; [unrolled: 1-line block ×8, first 2 shown]
	s_wait_dscnt 0x5
	v_add_f64_e32 v[16:17], v[18:19], v[12:13]
	v_xor_b32_e32 v18, 1, v28
	s_wait_dscnt 0x2
	v_add_f64_e32 v[12:13], v[20:21], v[24:25]
	s_delay_alu instid0(VALU_DEP_2) | instskip(SKIP_2) | instid1(VALU_DEP_2)
	v_cmp_gt_i32_e32 vcc_lo, 32, v18
	v_dual_add_f64 v[0:1], v[14:15], v[0:1] :: v_dual_cndmask_b32 v18, v28, v18, vcc_lo
	v_cmp_eq_u32_e32 vcc_lo, 15, v11
	v_lshlrev_b32_e32 v21, 2, v18
	s_wait_dscnt 0x0
	v_add_f64_e32 v[14:15], v[22:23], v[26:27]
	ds_bpermute_b32 v22, v21, v16
	ds_bpermute_b32 v23, v21, v17
	;; [unrolled: 1-line block ×8, first 2 shown]
	s_and_b32 exec_lo, exec_lo, vcc_lo
	s_cbranch_execz .LBB245_21
; %bb.17:
	v_cmp_eq_f64_e32 vcc_lo, 0, v[6:7]
	v_cmp_eq_f64_e64 s2, 0, v[8:9]
	s_wait_dscnt 0x2
	v_add_f64_e32 v[0:1], v[0:1], v[24:25]
	v_add_f64_e32 v[16:17], v[16:17], v[22:23]
	;; [unrolled: 1-line block ×3, first 2 shown]
	s_wait_dscnt 0x0
	v_add_f64_e32 v[14:15], v[14:15], v[20:21]
	s_load_b64 s[0:1], s[0:1], 0x48
	s_and_b32 s2, vcc_lo, s2
	s_delay_alu instid0(SALU_CYCLE_1) | instskip(NEXT) | instid1(SALU_CYCLE_1)
	s_and_saveexec_b32 s3, s2
	s_xor_b32 s2, exec_lo, s3
	s_cbranch_execz .LBB245_19
; %bb.18:
	s_delay_alu instid0(VALU_DEP_3) | instskip(SKIP_1) | instid1(VALU_DEP_3)
	v_mul_f64_e64 v[6:7], v[16:17], -v[4:5]
	v_mul_f64_e32 v[8:9], v[2:3], v[16:17]
	v_mul_f64_e64 v[16:17], v[14:15], -v[4:5]
	v_mul_f64_e32 v[18:19], v[2:3], v[14:15]
                                        ; implicit-def: $vgpr14_vgpr15
	s_delay_alu instid0(VALU_DEP_4) | instskip(NEXT) | instid1(VALU_DEP_4)
	v_fmac_f64_e32 v[6:7], v[2:3], v[0:1]
	v_fmac_f64_e32 v[8:9], v[4:5], v[0:1]
	s_delay_alu instid0(VALU_DEP_4) | instskip(NEXT) | instid1(VALU_DEP_4)
	v_fmac_f64_e32 v[16:17], v[2:3], v[12:13]
	v_fmac_f64_e32 v[18:19], v[4:5], v[12:13]
	v_lshlrev_b32_e32 v0, 1, v10
                                        ; implicit-def: $vgpr10
                                        ; implicit-def: $vgpr12_vgpr13
                                        ; implicit-def: $vgpr4_vgpr5
	s_wait_kmcnt 0x0
	s_clause 0x1
	global_store_b128 v0, v[6:9], s[0:1] scale_offset
	global_store_b128 v0, v[16:19], s[0:1] offset:16 scale_offset
                                        ; implicit-def: $vgpr0_vgpr1
                                        ; implicit-def: $vgpr16_vgpr17
                                        ; implicit-def: $vgpr8_vgpr9
.LBB245_19:
	s_wait_xcnt 0x0
	s_and_not1_saveexec_b32 s2, s2
	s_cbranch_execz .LBB245_21
; %bb.20:
	s_delay_alu instid0(VALU_DEP_3) | instskip(SKIP_1) | instid1(VALU_DEP_3)
	v_dual_mul_f64 v[26:27], v[16:17], -v[4:5] :: v_dual_lshlrev_b32 v30, 1, v10
	v_mul_f64_e32 v[16:17], v[2:3], v[16:17]
	v_mul_f64_e64 v[28:29], v[14:15], -v[4:5]
	v_mul_f64_e32 v[10:11], v[2:3], v[14:15]
	s_wait_kmcnt 0x0
	s_clause 0x1
	global_load_b128 v[18:21], v30, s[0:1] scale_offset
	global_load_b128 v[22:25], v30, s[0:1] offset:16 scale_offset
	v_fmac_f64_e32 v[26:27], v[2:3], v[0:1]
	v_fmac_f64_e32 v[16:17], v[4:5], v[0:1]
	;; [unrolled: 1-line block ×4, first 2 shown]
	s_wait_loadcnt 0x1
	s_delay_alu instid0(VALU_DEP_4) | instskip(NEXT) | instid1(VALU_DEP_4)
	v_fmac_f64_e32 v[26:27], v[6:7], v[18:19]
	v_fmac_f64_e32 v[16:17], v[8:9], v[18:19]
	s_wait_loadcnt 0x0
	s_delay_alu instid0(VALU_DEP_4) | instskip(NEXT) | instid1(VALU_DEP_4)
	v_fmac_f64_e32 v[28:29], v[6:7], v[22:23]
	v_fmac_f64_e32 v[10:11], v[8:9], v[22:23]
	s_delay_alu instid0(VALU_DEP_4) | instskip(NEXT) | instid1(VALU_DEP_4)
	v_fma_f64 v[14:15], -v[8:9], v[20:21], v[26:27]
	v_fmac_f64_e32 v[16:17], v[6:7], v[20:21]
	s_delay_alu instid0(VALU_DEP_4) | instskip(NEXT) | instid1(VALU_DEP_4)
	v_fma_f64 v[8:9], -v[8:9], v[24:25], v[28:29]
	v_fmac_f64_e32 v[10:11], v[6:7], v[24:25]
	s_clause 0x1
	global_store_b128 v30, v[14:17], s[0:1] scale_offset
	global_store_b128 v30, v[8:11], s[0:1] offset:16 scale_offset
.LBB245_21:
	s_sendmsg sendmsg(MSG_DEALLOC_VGPRS)
	s_endpgm
	.section	.rodata,"a",@progbits
	.p2align	6, 0x0
	.amdhsa_kernel _ZN9rocsparseL19gebsrmvn_2xn_kernelILj128ELj5ELj16E21rocsparse_complex_numIdEEEvi20rocsparse_direction_NS_24const_host_device_scalarIT2_EEPKiS8_PKS5_SA_S6_PS5_21rocsparse_index_base_b
		.amdhsa_group_segment_fixed_size 0
		.amdhsa_private_segment_fixed_size 0
		.amdhsa_kernarg_size 88
		.amdhsa_user_sgpr_count 2
		.amdhsa_user_sgpr_dispatch_ptr 0
		.amdhsa_user_sgpr_queue_ptr 0
		.amdhsa_user_sgpr_kernarg_segment_ptr 1
		.amdhsa_user_sgpr_dispatch_id 0
		.amdhsa_user_sgpr_kernarg_preload_length 0
		.amdhsa_user_sgpr_kernarg_preload_offset 0
		.amdhsa_user_sgpr_private_segment_size 0
		.amdhsa_wavefront_size32 1
		.amdhsa_uses_dynamic_stack 0
		.amdhsa_enable_private_segment 0
		.amdhsa_system_sgpr_workgroup_id_x 1
		.amdhsa_system_sgpr_workgroup_id_y 0
		.amdhsa_system_sgpr_workgroup_id_z 0
		.amdhsa_system_sgpr_workgroup_info 0
		.amdhsa_system_vgpr_workitem_id 0
		.amdhsa_next_free_vgpr 83
		.amdhsa_next_free_sgpr 14
		.amdhsa_named_barrier_count 0
		.amdhsa_reserve_vcc 1
		.amdhsa_float_round_mode_32 0
		.amdhsa_float_round_mode_16_64 0
		.amdhsa_float_denorm_mode_32 3
		.amdhsa_float_denorm_mode_16_64 3
		.amdhsa_fp16_overflow 0
		.amdhsa_memory_ordered 1
		.amdhsa_forward_progress 1
		.amdhsa_inst_pref_size 20
		.amdhsa_round_robin_scheduling 0
		.amdhsa_exception_fp_ieee_invalid_op 0
		.amdhsa_exception_fp_denorm_src 0
		.amdhsa_exception_fp_ieee_div_zero 0
		.amdhsa_exception_fp_ieee_overflow 0
		.amdhsa_exception_fp_ieee_underflow 0
		.amdhsa_exception_fp_ieee_inexact 0
		.amdhsa_exception_int_div_zero 0
	.end_amdhsa_kernel
	.section	.text._ZN9rocsparseL19gebsrmvn_2xn_kernelILj128ELj5ELj16E21rocsparse_complex_numIdEEEvi20rocsparse_direction_NS_24const_host_device_scalarIT2_EEPKiS8_PKS5_SA_S6_PS5_21rocsparse_index_base_b,"axG",@progbits,_ZN9rocsparseL19gebsrmvn_2xn_kernelILj128ELj5ELj16E21rocsparse_complex_numIdEEEvi20rocsparse_direction_NS_24const_host_device_scalarIT2_EEPKiS8_PKS5_SA_S6_PS5_21rocsparse_index_base_b,comdat
.Lfunc_end245:
	.size	_ZN9rocsparseL19gebsrmvn_2xn_kernelILj128ELj5ELj16E21rocsparse_complex_numIdEEEvi20rocsparse_direction_NS_24const_host_device_scalarIT2_EEPKiS8_PKS5_SA_S6_PS5_21rocsparse_index_base_b, .Lfunc_end245-_ZN9rocsparseL19gebsrmvn_2xn_kernelILj128ELj5ELj16E21rocsparse_complex_numIdEEEvi20rocsparse_direction_NS_24const_host_device_scalarIT2_EEPKiS8_PKS5_SA_S6_PS5_21rocsparse_index_base_b
                                        ; -- End function
	.set _ZN9rocsparseL19gebsrmvn_2xn_kernelILj128ELj5ELj16E21rocsparse_complex_numIdEEEvi20rocsparse_direction_NS_24const_host_device_scalarIT2_EEPKiS8_PKS5_SA_S6_PS5_21rocsparse_index_base_b.num_vgpr, 83
	.set _ZN9rocsparseL19gebsrmvn_2xn_kernelILj128ELj5ELj16E21rocsparse_complex_numIdEEEvi20rocsparse_direction_NS_24const_host_device_scalarIT2_EEPKiS8_PKS5_SA_S6_PS5_21rocsparse_index_base_b.num_agpr, 0
	.set _ZN9rocsparseL19gebsrmvn_2xn_kernelILj128ELj5ELj16E21rocsparse_complex_numIdEEEvi20rocsparse_direction_NS_24const_host_device_scalarIT2_EEPKiS8_PKS5_SA_S6_PS5_21rocsparse_index_base_b.numbered_sgpr, 14
	.set _ZN9rocsparseL19gebsrmvn_2xn_kernelILj128ELj5ELj16E21rocsparse_complex_numIdEEEvi20rocsparse_direction_NS_24const_host_device_scalarIT2_EEPKiS8_PKS5_SA_S6_PS5_21rocsparse_index_base_b.num_named_barrier, 0
	.set _ZN9rocsparseL19gebsrmvn_2xn_kernelILj128ELj5ELj16E21rocsparse_complex_numIdEEEvi20rocsparse_direction_NS_24const_host_device_scalarIT2_EEPKiS8_PKS5_SA_S6_PS5_21rocsparse_index_base_b.private_seg_size, 0
	.set _ZN9rocsparseL19gebsrmvn_2xn_kernelILj128ELj5ELj16E21rocsparse_complex_numIdEEEvi20rocsparse_direction_NS_24const_host_device_scalarIT2_EEPKiS8_PKS5_SA_S6_PS5_21rocsparse_index_base_b.uses_vcc, 1
	.set _ZN9rocsparseL19gebsrmvn_2xn_kernelILj128ELj5ELj16E21rocsparse_complex_numIdEEEvi20rocsparse_direction_NS_24const_host_device_scalarIT2_EEPKiS8_PKS5_SA_S6_PS5_21rocsparse_index_base_b.uses_flat_scratch, 0
	.set _ZN9rocsparseL19gebsrmvn_2xn_kernelILj128ELj5ELj16E21rocsparse_complex_numIdEEEvi20rocsparse_direction_NS_24const_host_device_scalarIT2_EEPKiS8_PKS5_SA_S6_PS5_21rocsparse_index_base_b.has_dyn_sized_stack, 0
	.set _ZN9rocsparseL19gebsrmvn_2xn_kernelILj128ELj5ELj16E21rocsparse_complex_numIdEEEvi20rocsparse_direction_NS_24const_host_device_scalarIT2_EEPKiS8_PKS5_SA_S6_PS5_21rocsparse_index_base_b.has_recursion, 0
	.set _ZN9rocsparseL19gebsrmvn_2xn_kernelILj128ELj5ELj16E21rocsparse_complex_numIdEEEvi20rocsparse_direction_NS_24const_host_device_scalarIT2_EEPKiS8_PKS5_SA_S6_PS5_21rocsparse_index_base_b.has_indirect_call, 0
	.section	.AMDGPU.csdata,"",@progbits
; Kernel info:
; codeLenInByte = 2512
; TotalNumSgprs: 16
; NumVgprs: 83
; ScratchSize: 0
; MemoryBound: 0
; FloatMode: 240
; IeeeMode: 1
; LDSByteSize: 0 bytes/workgroup (compile time only)
; SGPRBlocks: 0
; VGPRBlocks: 5
; NumSGPRsForWavesPerEU: 16
; NumVGPRsForWavesPerEU: 83
; NamedBarCnt: 0
; Occupancy: 10
; WaveLimiterHint : 1
; COMPUTE_PGM_RSRC2:SCRATCH_EN: 0
; COMPUTE_PGM_RSRC2:USER_SGPR: 2
; COMPUTE_PGM_RSRC2:TRAP_HANDLER: 0
; COMPUTE_PGM_RSRC2:TGID_X_EN: 1
; COMPUTE_PGM_RSRC2:TGID_Y_EN: 0
; COMPUTE_PGM_RSRC2:TGID_Z_EN: 0
; COMPUTE_PGM_RSRC2:TIDIG_COMP_CNT: 0
	.section	.text._ZN9rocsparseL19gebsrmvn_2xn_kernelILj128ELj5ELj32E21rocsparse_complex_numIdEEEvi20rocsparse_direction_NS_24const_host_device_scalarIT2_EEPKiS8_PKS5_SA_S6_PS5_21rocsparse_index_base_b,"axG",@progbits,_ZN9rocsparseL19gebsrmvn_2xn_kernelILj128ELj5ELj32E21rocsparse_complex_numIdEEEvi20rocsparse_direction_NS_24const_host_device_scalarIT2_EEPKiS8_PKS5_SA_S6_PS5_21rocsparse_index_base_b,comdat
	.globl	_ZN9rocsparseL19gebsrmvn_2xn_kernelILj128ELj5ELj32E21rocsparse_complex_numIdEEEvi20rocsparse_direction_NS_24const_host_device_scalarIT2_EEPKiS8_PKS5_SA_S6_PS5_21rocsparse_index_base_b ; -- Begin function _ZN9rocsparseL19gebsrmvn_2xn_kernelILj128ELj5ELj32E21rocsparse_complex_numIdEEEvi20rocsparse_direction_NS_24const_host_device_scalarIT2_EEPKiS8_PKS5_SA_S6_PS5_21rocsparse_index_base_b
	.p2align	8
	.type	_ZN9rocsparseL19gebsrmvn_2xn_kernelILj128ELj5ELj32E21rocsparse_complex_numIdEEEvi20rocsparse_direction_NS_24const_host_device_scalarIT2_EEPKiS8_PKS5_SA_S6_PS5_21rocsparse_index_base_b,@function
_ZN9rocsparseL19gebsrmvn_2xn_kernelILj128ELj5ELj32E21rocsparse_complex_numIdEEEvi20rocsparse_direction_NS_24const_host_device_scalarIT2_EEPKiS8_PKS5_SA_S6_PS5_21rocsparse_index_base_b: ; @_ZN9rocsparseL19gebsrmvn_2xn_kernelILj128ELj5ELj32E21rocsparse_complex_numIdEEEvi20rocsparse_direction_NS_24const_host_device_scalarIT2_EEPKiS8_PKS5_SA_S6_PS5_21rocsparse_index_base_b
; %bb.0:
	s_clause 0x1
	s_load_b64 s[12:13], s[0:1], 0x50
	s_load_b64 s[2:3], s[0:1], 0x8
	v_mov_b32_e32 v1, 0
	s_add_nc_u64 s[4:5], s[0:1], 8
	s_load_b64 s[6:7], s[0:1], 0x38
	s_wait_kmcnt 0x0
	s_bitcmp1_b32 s13, 0
	s_cselect_b32 s3, s5, s3
	s_cselect_b32 s2, s4, s2
	flat_load_b128 v[2:5], v1, s[2:3]
	s_wait_xcnt 0x0
	s_add_nc_u64 s[2:3], s[0:1], 56
	s_delay_alu instid0(SALU_CYCLE_1)
	s_cselect_b32 s3, s3, s7
	s_cselect_b32 s2, s2, s6
	flat_load_b128 v[6:9], v1, s[2:3]
	s_wait_loadcnt_dscnt 0x101
	v_cmp_eq_f64_e32 vcc_lo, 0, v[2:3]
	s_wait_xcnt 0x0
	v_cmp_eq_f64_e64 s2, 0, v[4:5]
	s_and_b32 s4, vcc_lo, s2
	s_mov_b32 s2, -1
	s_and_saveexec_b32 s3, s4
	s_cbranch_execz .LBB246_2
; %bb.1:
	s_wait_loadcnt_dscnt 0x0
	v_cmp_neq_f64_e32 vcc_lo, 1.0, v[6:7]
	v_cmp_neq_f64_e64 s2, 0, v[8:9]
	s_or_b32 s2, vcc_lo, s2
	s_delay_alu instid0(SALU_CYCLE_1)
	s_or_not1_b32 s2, s2, exec_lo
.LBB246_2:
	s_or_b32 exec_lo, exec_lo, s3
	s_and_saveexec_b32 s3, s2
	s_cbranch_execz .LBB246_21
; %bb.3:
	s_load_b64 s[2:3], s[0:1], 0x0
	s_bfe_u32 s4, ttmp6, 0x4000c
	s_and_b32 s5, ttmp6, 15
	s_add_co_i32 s4, s4, 1
	s_getreg_b32 s6, hwreg(HW_REG_IB_STS2, 6, 4)
	s_mul_i32 s4, ttmp9, s4
	v_lshrrev_b32_e32 v1, 5, v0
	s_add_co_i32 s5, s5, s4
	s_cmp_eq_u32 s6, 0
	s_cselect_b32 s4, ttmp9, s5
	s_delay_alu instid0(VALU_DEP_1) | instid1(SALU_CYCLE_1)
	v_lshl_or_b32 v10, s4, 2, v1
	s_wait_kmcnt 0x0
	s_delay_alu instid0(VALU_DEP_1)
	v_cmp_gt_i32_e32 vcc_lo, s2, v10
	s_and_b32 exec_lo, exec_lo, vcc_lo
	s_cbranch_execz .LBB246_21
; %bb.4:
	s_load_b256 s[4:11], s[0:1], 0x18
	v_ashrrev_i32_e32 v11, 31, v10
	s_cmp_lg_u32 s3, 0
	s_wait_kmcnt 0x0
	s_delay_alu instid0(VALU_DEP_1)
	v_lshl_add_u64 v[12:13], v[10:11], 2, s[4:5]
	v_and_b32_e32 v11, 31, v0
	global_load_b64 v[12:13], v[12:13], off
	s_wait_loadcnt 0x0
	v_subrev_nc_u32_e32 v0, s12, v12
	v_subrev_nc_u32_e32 v18, s12, v13
	s_delay_alu instid0(VALU_DEP_2) | instskip(NEXT) | instid1(VALU_DEP_1)
	v_add_nc_u32_e32 v19, v0, v11
	v_cmp_lt_i32_e64 s2, v19, v18
	s_cbranch_scc0 .LBB246_10
; %bb.5:
	v_mov_b64_e32 v[0:1], 0
	v_mov_b64_e32 v[14:15], 0
	;; [unrolled: 1-line block ×4, first 2 shown]
	s_and_saveexec_b32 s3, s2
	s_cbranch_execz .LBB246_9
; %bb.6:
	v_mad_u32 v20, v19, 10, 8
	v_mov_b64_e32 v[0:1], 0
	v_mov_b64_e32 v[14:15], 0
	;; [unrolled: 1-line block ×4, first 2 shown]
	v_mov_b32_e32 v21, v19
	s_mov_b32 s4, 0
.LBB246_7:                              ; =>This Inner Loop Header: Depth=1
	global_load_b32 v22, v21, s[6:7] scale_offset
	v_dual_add_nc_u32 v34, -8, v20 :: v_dual_add_nc_u32 v46, -6, v20
	s_wait_xcnt 0x0
	v_dual_add_nc_u32 v21, 32, v21 :: v_dual_add_nc_u32 v58, -4, v20
	v_add_nc_u32_e32 v75, -2, v20
	s_delay_alu instid0(VALU_DEP_2)
	v_cmp_ge_i32_e32 vcc_lo, v21, v18
	s_or_b32 s4, vcc_lo, s4
	s_wait_loadcnt 0x0
	v_subrev_nc_u32_e32 v26, s12, v22
	global_load_b128 v[22:25], v34, s[8:9] offset:16 scale_offset
	v_lshl_add_u32 v74, v26, 2, v26
	global_load_b128 v[26:29], v34, s[8:9] scale_offset
	global_load_b128 v[30:33], v74, s[10:11] scale_offset
	v_add_nc_u32_e32 v47, 1, v74
	global_load_b128 v[34:37], v46, s[8:9] offset:16 scale_offset
	v_dual_add_nc_u32 v59, 2, v74 :: v_dual_add_nc_u32 v76, 3, v74
	v_add_nc_u32_e32 v82, 4, v74
	global_load_b128 v[38:41], v46, s[8:9] scale_offset
	global_load_b128 v[42:45], v47, s[10:11] scale_offset
	s_clause 0x1
	global_load_b128 v[46:49], v58, s[8:9] offset:16 scale_offset
	global_load_b128 v[50:53], v58, s[8:9] scale_offset
	global_load_b128 v[54:57], v59, s[10:11] scale_offset
	s_clause 0x1
	global_load_b128 v[58:61], v75, s[8:9] offset:16 scale_offset
	;; [unrolled: 4-line block ×3, first 2 shown]
	global_load_b128 v[74:77], v20, s[8:9] scale_offset
	global_load_b128 v[78:81], v82, s[10:11] scale_offset
	s_wait_xcnt 0x1
	v_add_nc_u32_e32 v20, 0x140, v20
	s_wait_loadcnt 0xc
	v_fmac_f64_e32 v[14:15], v[26:27], v[30:31]
	v_fmac_f64_e32 v[0:1], v[28:29], v[30:31]
	;; [unrolled: 1-line block ×4, first 2 shown]
	s_delay_alu instid0(VALU_DEP_4) | instskip(NEXT) | instid1(VALU_DEP_4)
	v_fma_f64 v[14:15], -v[28:29], v[32:33], v[14:15]
	v_fmac_f64_e32 v[0:1], v[26:27], v[32:33]
	s_delay_alu instid0(VALU_DEP_4) | instskip(NEXT) | instid1(VALU_DEP_4)
	v_fma_f64 v[16:17], -v[24:25], v[32:33], v[16:17]
	v_fmac_f64_e32 v[12:13], v[22:23], v[32:33]
	s_wait_loadcnt 0x9
	s_delay_alu instid0(VALU_DEP_4) | instskip(NEXT) | instid1(VALU_DEP_4)
	v_fmac_f64_e32 v[14:15], v[38:39], v[42:43]
	v_fmac_f64_e32 v[0:1], v[40:41], v[42:43]
	s_delay_alu instid0(VALU_DEP_4) | instskip(NEXT) | instid1(VALU_DEP_4)
	v_fmac_f64_e32 v[16:17], v[34:35], v[42:43]
	v_fmac_f64_e32 v[12:13], v[36:37], v[42:43]
	s_delay_alu instid0(VALU_DEP_4) | instskip(NEXT) | instid1(VALU_DEP_4)
	v_fma_f64 v[14:15], -v[40:41], v[44:45], v[14:15]
	v_fmac_f64_e32 v[0:1], v[38:39], v[44:45]
	s_delay_alu instid0(VALU_DEP_4) | instskip(NEXT) | instid1(VALU_DEP_4)
	v_fma_f64 v[16:17], -v[36:37], v[44:45], v[16:17]
	v_fmac_f64_e32 v[12:13], v[34:35], v[44:45]
	s_wait_loadcnt 0x6
	s_delay_alu instid0(VALU_DEP_4) | instskip(NEXT) | instid1(VALU_DEP_4)
	v_fmac_f64_e32 v[14:15], v[50:51], v[54:55]
	v_fmac_f64_e32 v[0:1], v[52:53], v[54:55]
	s_delay_alu instid0(VALU_DEP_4) | instskip(NEXT) | instid1(VALU_DEP_4)
	v_fmac_f64_e32 v[16:17], v[46:47], v[54:55]
	v_fmac_f64_e32 v[12:13], v[48:49], v[54:55]
	;; [unrolled: 13-line block ×4, first 2 shown]
	s_delay_alu instid0(VALU_DEP_4) | instskip(NEXT) | instid1(VALU_DEP_4)
	v_fma_f64 v[14:15], -v[76:77], v[80:81], v[14:15]
	v_fmac_f64_e32 v[0:1], v[74:75], v[80:81]
	s_delay_alu instid0(VALU_DEP_4) | instskip(NEXT) | instid1(VALU_DEP_4)
	v_fma_f64 v[16:17], -v[72:73], v[80:81], v[16:17]
	v_fmac_f64_e32 v[12:13], v[70:71], v[80:81]
	s_and_not1_b32 exec_lo, exec_lo, s4
	s_cbranch_execnz .LBB246_7
; %bb.8:
	s_or_b32 exec_lo, exec_lo, s4
.LBB246_9:
	s_delay_alu instid0(SALU_CYCLE_1)
	s_or_b32 exec_lo, exec_lo, s3
	s_cbranch_execz .LBB246_11
	s_branch .LBB246_16
.LBB246_10:
                                        ; implicit-def: $vgpr0_vgpr1
                                        ; implicit-def: $vgpr14_vgpr15
                                        ; implicit-def: $vgpr16_vgpr17
                                        ; implicit-def: $vgpr12_vgpr13
.LBB246_11:
	v_mov_b64_e32 v[0:1], 0
	v_mov_b64_e32 v[14:15], 0
	;; [unrolled: 1-line block ×4, first 2 shown]
	s_and_saveexec_b32 s3, s2
	s_cbranch_execz .LBB246_15
; %bb.12:
	v_mad_u32 v20, v19, 10, 9
	v_mov_b64_e32 v[0:1], 0
	v_mov_b64_e32 v[14:15], 0
	;; [unrolled: 1-line block ×4, first 2 shown]
	s_mov_b32 s2, 0
.LBB246_13:                             ; =>This Inner Loop Header: Depth=1
	global_load_b32 v21, v19, s[6:7] scale_offset
	v_dual_add_nc_u32 v26, -9, v20 :: v_dual_add_nc_u32 v38, -4, v20
	s_wait_xcnt 0x0
	v_dual_add_nc_u32 v58, -2, v20 :: v_dual_add_nc_u32 v19, 32, v19
	s_clause 0x1
	global_load_b128 v[22:25], v26, s[8:9] offset:16 scale_offset
	global_load_b128 v[26:29], v26, s[8:9] scale_offset
	v_cmp_ge_i32_e32 vcc_lo, v19, v18
	s_or_b32 s2, vcc_lo, s2
	s_wait_loadcnt 0x2
	v_subrev_nc_u32_e32 v21, s12, v21
	s_delay_alu instid0(VALU_DEP_1)
	v_lshl_add_u32 v21, v21, 2, v21
	global_load_b128 v[30:33], v38, s[8:9] scale_offset
	global_load_b128 v[34:37], v21, s[10:11] scale_offset
	v_dual_add_nc_u32 v46, -3, v20 :: v_dual_add_nc_u32 v47, 1, v21
	global_load_b128 v[38:41], v46, s[8:9] scale_offset
	global_load_b128 v[42:45], v47, s[10:11] scale_offset
	s_wait_xcnt 0x1
	v_dual_add_nc_u32 v46, -7, v20 :: v_dual_add_nc_u32 v59, 2, v21
	v_dual_add_nc_u32 v70, -1, v20 :: v_dual_add_nc_u32 v71, 3, v21
	;; [unrolled: 1-line block ×3, first 2 shown]
	s_clause 0x1
	global_load_b128 v[46:49], v46, s[8:9] scale_offset
	global_load_b128 v[50:53], v58, s[8:9] scale_offset
	;; [unrolled: 1-line block ×3, first 2 shown]
	s_wait_xcnt 0x1
	v_add_nc_u32_e32 v58, -6, v20
	s_clause 0x1
	global_load_b128 v[58:61], v58, s[8:9] scale_offset
	global_load_b128 v[62:65], v70, s[8:9] scale_offset
	;; [unrolled: 1-line block ×3, first 2 shown]
	s_clause 0x1
	global_load_b128 v[70:73], v20, s[8:9] scale_offset
	global_load_b128 v[74:77], v82, s[8:9] scale_offset
	global_load_b128 v[78:81], v21, s[10:11] scale_offset
	s_wait_xcnt 0x2
	v_add_nc_u32_e32 v20, 0x140, v20
	s_wait_loadcnt 0xb
	v_fmac_f64_e32 v[14:15], v[26:27], v[34:35]
	v_fmac_f64_e32 v[0:1], v[28:29], v[34:35]
	;; [unrolled: 1-line block ×4, first 2 shown]
	s_delay_alu instid0(VALU_DEP_4) | instskip(NEXT) | instid1(VALU_DEP_4)
	v_fma_f64 v[14:15], -v[28:29], v[36:37], v[14:15]
	v_fmac_f64_e32 v[0:1], v[26:27], v[36:37]
	s_delay_alu instid0(VALU_DEP_4) | instskip(NEXT) | instid1(VALU_DEP_4)
	v_fma_f64 v[16:17], -v[32:33], v[36:37], v[16:17]
	v_fmac_f64_e32 v[12:13], v[30:31], v[36:37]
	s_wait_loadcnt 0x9
	s_delay_alu instid0(VALU_DEP_4) | instskip(NEXT) | instid1(VALU_DEP_4)
	v_fmac_f64_e32 v[14:15], v[22:23], v[42:43]
	v_fmac_f64_e32 v[0:1], v[24:25], v[42:43]
	s_delay_alu instid0(VALU_DEP_4) | instskip(NEXT) | instid1(VALU_DEP_4)
	v_fmac_f64_e32 v[16:17], v[38:39], v[42:43]
	v_fmac_f64_e32 v[12:13], v[40:41], v[42:43]
	s_delay_alu instid0(VALU_DEP_4) | instskip(NEXT) | instid1(VALU_DEP_4)
	v_fma_f64 v[14:15], -v[24:25], v[44:45], v[14:15]
	v_fmac_f64_e32 v[0:1], v[22:23], v[44:45]
	s_delay_alu instid0(VALU_DEP_4) | instskip(NEXT) | instid1(VALU_DEP_4)
	v_fma_f64 v[16:17], -v[40:41], v[44:45], v[16:17]
	v_fmac_f64_e32 v[12:13], v[38:39], v[44:45]
	s_wait_loadcnt 0x6
	s_delay_alu instid0(VALU_DEP_4) | instskip(NEXT) | instid1(VALU_DEP_4)
	v_fmac_f64_e32 v[14:15], v[46:47], v[54:55]
	v_fmac_f64_e32 v[0:1], v[48:49], v[54:55]
	s_delay_alu instid0(VALU_DEP_4) | instskip(NEXT) | instid1(VALU_DEP_4)
	v_fmac_f64_e32 v[16:17], v[50:51], v[54:55]
	v_fmac_f64_e32 v[12:13], v[52:53], v[54:55]
	;; [unrolled: 13-line block ×4, first 2 shown]
	s_delay_alu instid0(VALU_DEP_4) | instskip(NEXT) | instid1(VALU_DEP_4)
	v_fma_f64 v[14:15], -v[76:77], v[80:81], v[14:15]
	v_fmac_f64_e32 v[0:1], v[74:75], v[80:81]
	s_delay_alu instid0(VALU_DEP_4) | instskip(NEXT) | instid1(VALU_DEP_4)
	v_fma_f64 v[16:17], -v[72:73], v[80:81], v[16:17]
	v_fmac_f64_e32 v[12:13], v[70:71], v[80:81]
	s_and_not1_b32 exec_lo, exec_lo, s2
	s_cbranch_execnz .LBB246_13
; %bb.14:
	s_or_b32 exec_lo, exec_lo, s2
.LBB246_15:
	s_delay_alu instid0(SALU_CYCLE_1)
	s_or_b32 exec_lo, exec_lo, s3
.LBB246_16:
	v_mbcnt_lo_u32_b32 v28, -1, 0
	s_delay_alu instid0(VALU_DEP_1) | instskip(NEXT) | instid1(VALU_DEP_1)
	v_xor_b32_e32 v18, 16, v28
	v_cmp_gt_i32_e32 vcc_lo, 32, v18
	v_cndmask_b32_e32 v18, v28, v18, vcc_lo
	s_delay_alu instid0(VALU_DEP_1)
	v_lshlrev_b32_e32 v25, 2, v18
	ds_bpermute_b32 v20, v25, v0
	ds_bpermute_b32 v21, v25, v1
	s_wait_dscnt 0x0
	v_add_f64_e32 v[0:1], v[0:1], v[20:21]
	ds_bpermute_b32 v18, v25, v14
	ds_bpermute_b32 v19, v25, v15
	;; [unrolled: 1-line block ×6, first 2 shown]
	s_wait_dscnt 0x4
	v_dual_add_f64 v[14:15], v[14:15], v[18:19] :: v_dual_bitop2_b32 v18, 8, v28 bitop3:0x14
	s_wait_dscnt 0x2
	v_add_f64_e32 v[16:17], v[16:17], v[22:23]
	s_delay_alu instid0(VALU_DEP_2) | instskip(SKIP_2) | instid1(VALU_DEP_1)
	v_cmp_gt_i32_e32 vcc_lo, 32, v18
	v_cndmask_b32_e32 v18, v28, v18, vcc_lo
	s_wait_dscnt 0x0
	v_dual_add_f64 v[12:13], v[12:13], v[24:25] :: v_dual_lshlrev_b32 v25, 2, v18
	ds_bpermute_b32 v20, v25, v0
	ds_bpermute_b32 v21, v25, v1
	;; [unrolled: 1-line block ×8, first 2 shown]
	s_wait_dscnt 0x4
	v_dual_add_f64 v[14:15], v[14:15], v[18:19] :: v_dual_bitop2_b32 v18, 4, v28 bitop3:0x14
	s_wait_dscnt 0x2
	v_add_f64_e32 v[16:17], v[16:17], v[22:23]
	s_delay_alu instid0(VALU_DEP_2) | instskip(SKIP_3) | instid1(VALU_DEP_2)
	v_cmp_gt_i32_e32 vcc_lo, 32, v18
	v_cndmask_b32_e32 v18, v28, v18, vcc_lo
	v_add_f64_e32 v[0:1], v[0:1], v[20:21]
	s_wait_dscnt 0x0
	v_dual_add_f64 v[12:13], v[12:13], v[24:25] :: v_dual_lshlrev_b32 v25, 2, v18
	ds_bpermute_b32 v18, v25, v14
	ds_bpermute_b32 v19, v25, v15
	;; [unrolled: 1-line block ×8, first 2 shown]
	s_wait_dscnt 0x6
	v_add_f64_e32 v[14:15], v[14:15], v[18:19]
	s_wait_dscnt 0x2
	v_add_f64_e32 v[18:19], v[0:1], v[20:21]
	v_add_f64_e32 v[20:21], v[16:17], v[22:23]
	s_wait_dscnt 0x0
	v_add_f64_e32 v[22:23], v[12:13], v[24:25]
	v_xor_b32_e32 v0, 2, v28
	s_delay_alu instid0(VALU_DEP_1) | instskip(SKIP_1) | instid1(VALU_DEP_1)
	v_cmp_gt_i32_e32 vcc_lo, 32, v0
	v_cndmask_b32_e32 v0, v28, v0, vcc_lo
	v_lshlrev_b32_e32 v16, 2, v0
	ds_bpermute_b32 v0, v16, v14
	ds_bpermute_b32 v1, v16, v15
	;; [unrolled: 1-line block ×8, first 2 shown]
	s_wait_dscnt 0x4
	v_add_f64_e32 v[16:17], v[18:19], v[12:13]
	v_xor_b32_e32 v18, 1, v28
	s_wait_dscnt 0x2
	v_add_f64_e32 v[12:13], v[20:21], v[24:25]
	s_delay_alu instid0(VALU_DEP_2)
	v_cmp_gt_i32_e32 vcc_lo, 32, v18
	v_add_f64_e32 v[0:1], v[14:15], v[0:1]
	s_wait_dscnt 0x0
	v_add_f64_e32 v[14:15], v[22:23], v[26:27]
	v_cndmask_b32_e32 v18, v28, v18, vcc_lo
	v_cmp_eq_u32_e32 vcc_lo, 31, v11
	s_delay_alu instid0(VALU_DEP_2)
	v_lshlrev_b32_e32 v21, 2, v18
	ds_bpermute_b32 v22, v21, v16
	ds_bpermute_b32 v23, v21, v17
	;; [unrolled: 1-line block ×8, first 2 shown]
	s_and_b32 exec_lo, exec_lo, vcc_lo
	s_cbranch_execz .LBB246_21
; %bb.17:
	v_cmp_eq_f64_e32 vcc_lo, 0, v[6:7]
	v_cmp_eq_f64_e64 s2, 0, v[8:9]
	s_wait_dscnt 0x2
	v_add_f64_e32 v[0:1], v[0:1], v[24:25]
	v_add_f64_e32 v[16:17], v[16:17], v[22:23]
	;; [unrolled: 1-line block ×3, first 2 shown]
	s_wait_dscnt 0x0
	v_add_f64_e32 v[14:15], v[14:15], v[20:21]
	s_load_b64 s[0:1], s[0:1], 0x48
	s_and_b32 s2, vcc_lo, s2
	s_delay_alu instid0(SALU_CYCLE_1) | instskip(NEXT) | instid1(SALU_CYCLE_1)
	s_and_saveexec_b32 s3, s2
	s_xor_b32 s2, exec_lo, s3
	s_cbranch_execz .LBB246_19
; %bb.18:
	s_delay_alu instid0(VALU_DEP_3) | instskip(SKIP_1) | instid1(VALU_DEP_3)
	v_mul_f64_e64 v[6:7], v[16:17], -v[4:5]
	v_mul_f64_e32 v[8:9], v[2:3], v[16:17]
	v_mul_f64_e64 v[16:17], v[14:15], -v[4:5]
	v_mul_f64_e32 v[18:19], v[2:3], v[14:15]
                                        ; implicit-def: $vgpr14_vgpr15
	s_delay_alu instid0(VALU_DEP_4) | instskip(NEXT) | instid1(VALU_DEP_4)
	v_fmac_f64_e32 v[6:7], v[2:3], v[0:1]
	v_fmac_f64_e32 v[8:9], v[4:5], v[0:1]
	s_delay_alu instid0(VALU_DEP_4) | instskip(NEXT) | instid1(VALU_DEP_4)
	v_fmac_f64_e32 v[16:17], v[2:3], v[12:13]
	v_fmac_f64_e32 v[18:19], v[4:5], v[12:13]
	v_lshlrev_b32_e32 v0, 1, v10
                                        ; implicit-def: $vgpr10
                                        ; implicit-def: $vgpr12_vgpr13
                                        ; implicit-def: $vgpr4_vgpr5
	s_wait_kmcnt 0x0
	s_clause 0x1
	global_store_b128 v0, v[6:9], s[0:1] scale_offset
	global_store_b128 v0, v[16:19], s[0:1] offset:16 scale_offset
                                        ; implicit-def: $vgpr0_vgpr1
                                        ; implicit-def: $vgpr16_vgpr17
                                        ; implicit-def: $vgpr8_vgpr9
.LBB246_19:
	s_wait_xcnt 0x0
	s_and_not1_saveexec_b32 s2, s2
	s_cbranch_execz .LBB246_21
; %bb.20:
	s_delay_alu instid0(VALU_DEP_3) | instskip(SKIP_1) | instid1(VALU_DEP_3)
	v_dual_mul_f64 v[26:27], v[16:17], -v[4:5] :: v_dual_lshlrev_b32 v30, 1, v10
	v_mul_f64_e32 v[16:17], v[2:3], v[16:17]
	v_mul_f64_e64 v[28:29], v[14:15], -v[4:5]
	v_mul_f64_e32 v[10:11], v[2:3], v[14:15]
	s_wait_kmcnt 0x0
	s_clause 0x1
	global_load_b128 v[18:21], v30, s[0:1] scale_offset
	global_load_b128 v[22:25], v30, s[0:1] offset:16 scale_offset
	v_fmac_f64_e32 v[26:27], v[2:3], v[0:1]
	v_fmac_f64_e32 v[16:17], v[4:5], v[0:1]
	;; [unrolled: 1-line block ×4, first 2 shown]
	s_wait_loadcnt 0x1
	s_delay_alu instid0(VALU_DEP_4) | instskip(NEXT) | instid1(VALU_DEP_4)
	v_fmac_f64_e32 v[26:27], v[6:7], v[18:19]
	v_fmac_f64_e32 v[16:17], v[8:9], v[18:19]
	s_wait_loadcnt 0x0
	s_delay_alu instid0(VALU_DEP_4) | instskip(NEXT) | instid1(VALU_DEP_4)
	v_fmac_f64_e32 v[28:29], v[6:7], v[22:23]
	v_fmac_f64_e32 v[10:11], v[8:9], v[22:23]
	s_delay_alu instid0(VALU_DEP_4) | instskip(NEXT) | instid1(VALU_DEP_4)
	v_fma_f64 v[14:15], -v[8:9], v[20:21], v[26:27]
	v_fmac_f64_e32 v[16:17], v[6:7], v[20:21]
	s_delay_alu instid0(VALU_DEP_4) | instskip(NEXT) | instid1(VALU_DEP_4)
	v_fma_f64 v[8:9], -v[8:9], v[24:25], v[28:29]
	v_fmac_f64_e32 v[10:11], v[6:7], v[24:25]
	s_clause 0x1
	global_store_b128 v30, v[14:17], s[0:1] scale_offset
	global_store_b128 v30, v[8:11], s[0:1] offset:16 scale_offset
.LBB246_21:
	s_sendmsg sendmsg(MSG_DEALLOC_VGPRS)
	s_endpgm
	.section	.rodata,"a",@progbits
	.p2align	6, 0x0
	.amdhsa_kernel _ZN9rocsparseL19gebsrmvn_2xn_kernelILj128ELj5ELj32E21rocsparse_complex_numIdEEEvi20rocsparse_direction_NS_24const_host_device_scalarIT2_EEPKiS8_PKS5_SA_S6_PS5_21rocsparse_index_base_b
		.amdhsa_group_segment_fixed_size 0
		.amdhsa_private_segment_fixed_size 0
		.amdhsa_kernarg_size 88
		.amdhsa_user_sgpr_count 2
		.amdhsa_user_sgpr_dispatch_ptr 0
		.amdhsa_user_sgpr_queue_ptr 0
		.amdhsa_user_sgpr_kernarg_segment_ptr 1
		.amdhsa_user_sgpr_dispatch_id 0
		.amdhsa_user_sgpr_kernarg_preload_length 0
		.amdhsa_user_sgpr_kernarg_preload_offset 0
		.amdhsa_user_sgpr_private_segment_size 0
		.amdhsa_wavefront_size32 1
		.amdhsa_uses_dynamic_stack 0
		.amdhsa_enable_private_segment 0
		.amdhsa_system_sgpr_workgroup_id_x 1
		.amdhsa_system_sgpr_workgroup_id_y 0
		.amdhsa_system_sgpr_workgroup_id_z 0
		.amdhsa_system_sgpr_workgroup_info 0
		.amdhsa_system_vgpr_workitem_id 0
		.amdhsa_next_free_vgpr 83
		.amdhsa_next_free_sgpr 14
		.amdhsa_named_barrier_count 0
		.amdhsa_reserve_vcc 1
		.amdhsa_float_round_mode_32 0
		.amdhsa_float_round_mode_16_64 0
		.amdhsa_float_denorm_mode_32 3
		.amdhsa_float_denorm_mode_16_64 3
		.amdhsa_fp16_overflow 0
		.amdhsa_memory_ordered 1
		.amdhsa_forward_progress 1
		.amdhsa_inst_pref_size 21
		.amdhsa_round_robin_scheduling 0
		.amdhsa_exception_fp_ieee_invalid_op 0
		.amdhsa_exception_fp_denorm_src 0
		.amdhsa_exception_fp_ieee_div_zero 0
		.amdhsa_exception_fp_ieee_overflow 0
		.amdhsa_exception_fp_ieee_underflow 0
		.amdhsa_exception_fp_ieee_inexact 0
		.amdhsa_exception_int_div_zero 0
	.end_amdhsa_kernel
	.section	.text._ZN9rocsparseL19gebsrmvn_2xn_kernelILj128ELj5ELj32E21rocsparse_complex_numIdEEEvi20rocsparse_direction_NS_24const_host_device_scalarIT2_EEPKiS8_PKS5_SA_S6_PS5_21rocsparse_index_base_b,"axG",@progbits,_ZN9rocsparseL19gebsrmvn_2xn_kernelILj128ELj5ELj32E21rocsparse_complex_numIdEEEvi20rocsparse_direction_NS_24const_host_device_scalarIT2_EEPKiS8_PKS5_SA_S6_PS5_21rocsparse_index_base_b,comdat
.Lfunc_end246:
	.size	_ZN9rocsparseL19gebsrmvn_2xn_kernelILj128ELj5ELj32E21rocsparse_complex_numIdEEEvi20rocsparse_direction_NS_24const_host_device_scalarIT2_EEPKiS8_PKS5_SA_S6_PS5_21rocsparse_index_base_b, .Lfunc_end246-_ZN9rocsparseL19gebsrmvn_2xn_kernelILj128ELj5ELj32E21rocsparse_complex_numIdEEEvi20rocsparse_direction_NS_24const_host_device_scalarIT2_EEPKiS8_PKS5_SA_S6_PS5_21rocsparse_index_base_b
                                        ; -- End function
	.set _ZN9rocsparseL19gebsrmvn_2xn_kernelILj128ELj5ELj32E21rocsparse_complex_numIdEEEvi20rocsparse_direction_NS_24const_host_device_scalarIT2_EEPKiS8_PKS5_SA_S6_PS5_21rocsparse_index_base_b.num_vgpr, 83
	.set _ZN9rocsparseL19gebsrmvn_2xn_kernelILj128ELj5ELj32E21rocsparse_complex_numIdEEEvi20rocsparse_direction_NS_24const_host_device_scalarIT2_EEPKiS8_PKS5_SA_S6_PS5_21rocsparse_index_base_b.num_agpr, 0
	.set _ZN9rocsparseL19gebsrmvn_2xn_kernelILj128ELj5ELj32E21rocsparse_complex_numIdEEEvi20rocsparse_direction_NS_24const_host_device_scalarIT2_EEPKiS8_PKS5_SA_S6_PS5_21rocsparse_index_base_b.numbered_sgpr, 14
	.set _ZN9rocsparseL19gebsrmvn_2xn_kernelILj128ELj5ELj32E21rocsparse_complex_numIdEEEvi20rocsparse_direction_NS_24const_host_device_scalarIT2_EEPKiS8_PKS5_SA_S6_PS5_21rocsparse_index_base_b.num_named_barrier, 0
	.set _ZN9rocsparseL19gebsrmvn_2xn_kernelILj128ELj5ELj32E21rocsparse_complex_numIdEEEvi20rocsparse_direction_NS_24const_host_device_scalarIT2_EEPKiS8_PKS5_SA_S6_PS5_21rocsparse_index_base_b.private_seg_size, 0
	.set _ZN9rocsparseL19gebsrmvn_2xn_kernelILj128ELj5ELj32E21rocsparse_complex_numIdEEEvi20rocsparse_direction_NS_24const_host_device_scalarIT2_EEPKiS8_PKS5_SA_S6_PS5_21rocsparse_index_base_b.uses_vcc, 1
	.set _ZN9rocsparseL19gebsrmvn_2xn_kernelILj128ELj5ELj32E21rocsparse_complex_numIdEEEvi20rocsparse_direction_NS_24const_host_device_scalarIT2_EEPKiS8_PKS5_SA_S6_PS5_21rocsparse_index_base_b.uses_flat_scratch, 0
	.set _ZN9rocsparseL19gebsrmvn_2xn_kernelILj128ELj5ELj32E21rocsparse_complex_numIdEEEvi20rocsparse_direction_NS_24const_host_device_scalarIT2_EEPKiS8_PKS5_SA_S6_PS5_21rocsparse_index_base_b.has_dyn_sized_stack, 0
	.set _ZN9rocsparseL19gebsrmvn_2xn_kernelILj128ELj5ELj32E21rocsparse_complex_numIdEEEvi20rocsparse_direction_NS_24const_host_device_scalarIT2_EEPKiS8_PKS5_SA_S6_PS5_21rocsparse_index_base_b.has_recursion, 0
	.set _ZN9rocsparseL19gebsrmvn_2xn_kernelILj128ELj5ELj32E21rocsparse_complex_numIdEEEvi20rocsparse_direction_NS_24const_host_device_scalarIT2_EEPKiS8_PKS5_SA_S6_PS5_21rocsparse_index_base_b.has_indirect_call, 0
	.section	.AMDGPU.csdata,"",@progbits
; Kernel info:
; codeLenInByte = 2628
; TotalNumSgprs: 16
; NumVgprs: 83
; ScratchSize: 0
; MemoryBound: 0
; FloatMode: 240
; IeeeMode: 1
; LDSByteSize: 0 bytes/workgroup (compile time only)
; SGPRBlocks: 0
; VGPRBlocks: 5
; NumSGPRsForWavesPerEU: 16
; NumVGPRsForWavesPerEU: 83
; NamedBarCnt: 0
; Occupancy: 10
; WaveLimiterHint : 1
; COMPUTE_PGM_RSRC2:SCRATCH_EN: 0
; COMPUTE_PGM_RSRC2:USER_SGPR: 2
; COMPUTE_PGM_RSRC2:TRAP_HANDLER: 0
; COMPUTE_PGM_RSRC2:TGID_X_EN: 1
; COMPUTE_PGM_RSRC2:TGID_Y_EN: 0
; COMPUTE_PGM_RSRC2:TGID_Z_EN: 0
; COMPUTE_PGM_RSRC2:TIDIG_COMP_CNT: 0
	.section	.text._ZN9rocsparseL19gebsrmvn_2xn_kernelILj128ELj5ELj64E21rocsparse_complex_numIdEEEvi20rocsparse_direction_NS_24const_host_device_scalarIT2_EEPKiS8_PKS5_SA_S6_PS5_21rocsparse_index_base_b,"axG",@progbits,_ZN9rocsparseL19gebsrmvn_2xn_kernelILj128ELj5ELj64E21rocsparse_complex_numIdEEEvi20rocsparse_direction_NS_24const_host_device_scalarIT2_EEPKiS8_PKS5_SA_S6_PS5_21rocsparse_index_base_b,comdat
	.globl	_ZN9rocsparseL19gebsrmvn_2xn_kernelILj128ELj5ELj64E21rocsparse_complex_numIdEEEvi20rocsparse_direction_NS_24const_host_device_scalarIT2_EEPKiS8_PKS5_SA_S6_PS5_21rocsparse_index_base_b ; -- Begin function _ZN9rocsparseL19gebsrmvn_2xn_kernelILj128ELj5ELj64E21rocsparse_complex_numIdEEEvi20rocsparse_direction_NS_24const_host_device_scalarIT2_EEPKiS8_PKS5_SA_S6_PS5_21rocsparse_index_base_b
	.p2align	8
	.type	_ZN9rocsparseL19gebsrmvn_2xn_kernelILj128ELj5ELj64E21rocsparse_complex_numIdEEEvi20rocsparse_direction_NS_24const_host_device_scalarIT2_EEPKiS8_PKS5_SA_S6_PS5_21rocsparse_index_base_b,@function
_ZN9rocsparseL19gebsrmvn_2xn_kernelILj128ELj5ELj64E21rocsparse_complex_numIdEEEvi20rocsparse_direction_NS_24const_host_device_scalarIT2_EEPKiS8_PKS5_SA_S6_PS5_21rocsparse_index_base_b: ; @_ZN9rocsparseL19gebsrmvn_2xn_kernelILj128ELj5ELj64E21rocsparse_complex_numIdEEEvi20rocsparse_direction_NS_24const_host_device_scalarIT2_EEPKiS8_PKS5_SA_S6_PS5_21rocsparse_index_base_b
; %bb.0:
	s_clause 0x1
	s_load_b64 s[12:13], s[0:1], 0x50
	s_load_b64 s[2:3], s[0:1], 0x8
	v_mov_b32_e32 v1, 0
	s_add_nc_u64 s[4:5], s[0:1], 8
	s_load_b64 s[6:7], s[0:1], 0x38
	s_wait_kmcnt 0x0
	s_bitcmp1_b32 s13, 0
	s_cselect_b32 s3, s5, s3
	s_cselect_b32 s2, s4, s2
	flat_load_b128 v[2:5], v1, s[2:3]
	s_wait_xcnt 0x0
	s_add_nc_u64 s[2:3], s[0:1], 56
	s_delay_alu instid0(SALU_CYCLE_1)
	s_cselect_b32 s3, s3, s7
	s_cselect_b32 s2, s2, s6
	flat_load_b128 v[6:9], v1, s[2:3]
	s_wait_loadcnt_dscnt 0x101
	v_cmp_eq_f64_e32 vcc_lo, 0, v[2:3]
	s_wait_xcnt 0x0
	v_cmp_eq_f64_e64 s2, 0, v[4:5]
	s_and_b32 s4, vcc_lo, s2
	s_mov_b32 s2, -1
	s_and_saveexec_b32 s3, s4
	s_cbranch_execz .LBB247_2
; %bb.1:
	s_wait_loadcnt_dscnt 0x0
	v_cmp_neq_f64_e32 vcc_lo, 1.0, v[6:7]
	v_cmp_neq_f64_e64 s2, 0, v[8:9]
	s_or_b32 s2, vcc_lo, s2
	s_delay_alu instid0(SALU_CYCLE_1)
	s_or_not1_b32 s2, s2, exec_lo
.LBB247_2:
	s_or_b32 exec_lo, exec_lo, s3
	s_and_saveexec_b32 s3, s2
	s_cbranch_execz .LBB247_21
; %bb.3:
	s_load_b64 s[2:3], s[0:1], 0x0
	s_bfe_u32 s4, ttmp6, 0x4000c
	s_and_b32 s5, ttmp6, 15
	s_add_co_i32 s4, s4, 1
	s_getreg_b32 s6, hwreg(HW_REG_IB_STS2, 6, 4)
	s_mul_i32 s4, ttmp9, s4
	v_lshrrev_b32_e32 v1, 6, v0
	s_add_co_i32 s5, s5, s4
	s_cmp_eq_u32 s6, 0
	s_cselect_b32 s4, ttmp9, s5
	s_delay_alu instid0(VALU_DEP_1) | instid1(SALU_CYCLE_1)
	v_lshl_or_b32 v10, s4, 1, v1
	s_wait_kmcnt 0x0
	s_delay_alu instid0(VALU_DEP_1)
	v_cmp_gt_i32_e32 vcc_lo, s2, v10
	s_and_b32 exec_lo, exec_lo, vcc_lo
	s_cbranch_execz .LBB247_21
; %bb.4:
	s_load_b256 s[4:11], s[0:1], 0x18
	v_ashrrev_i32_e32 v11, 31, v10
	s_cmp_lg_u32 s3, 0
	s_wait_kmcnt 0x0
	s_delay_alu instid0(VALU_DEP_1)
	v_lshl_add_u64 v[12:13], v[10:11], 2, s[4:5]
	v_and_b32_e32 v11, 63, v0
	global_load_b64 v[12:13], v[12:13], off
	s_wait_loadcnt 0x0
	v_subrev_nc_u32_e32 v0, s12, v12
	v_subrev_nc_u32_e32 v18, s12, v13
	s_delay_alu instid0(VALU_DEP_2) | instskip(NEXT) | instid1(VALU_DEP_1)
	v_add_nc_u32_e32 v19, v0, v11
	v_cmp_lt_i32_e64 s2, v19, v18
	s_cbranch_scc0 .LBB247_10
; %bb.5:
	v_mov_b64_e32 v[0:1], 0
	v_mov_b64_e32 v[14:15], 0
	;; [unrolled: 1-line block ×4, first 2 shown]
	s_and_saveexec_b32 s3, s2
	s_cbranch_execz .LBB247_9
; %bb.6:
	v_mad_u32 v20, v19, 10, 8
	v_mov_b64_e32 v[0:1], 0
	v_mov_b64_e32 v[14:15], 0
	;; [unrolled: 1-line block ×4, first 2 shown]
	v_mov_b32_e32 v21, v19
	s_mov_b32 s4, 0
.LBB247_7:                              ; =>This Inner Loop Header: Depth=1
	global_load_b32 v22, v21, s[6:7] scale_offset
	v_dual_add_nc_u32 v34, -8, v20 :: v_dual_add_nc_u32 v46, -6, v20
	s_wait_xcnt 0x0
	v_dual_add_nc_u32 v21, 64, v21 :: v_dual_add_nc_u32 v58, -4, v20
	v_add_nc_u32_e32 v75, -2, v20
	s_delay_alu instid0(VALU_DEP_2)
	v_cmp_ge_i32_e32 vcc_lo, v21, v18
	s_or_b32 s4, vcc_lo, s4
	s_wait_loadcnt 0x0
	v_subrev_nc_u32_e32 v26, s12, v22
	global_load_b128 v[22:25], v34, s[8:9] offset:16 scale_offset
	v_lshl_add_u32 v74, v26, 2, v26
	global_load_b128 v[26:29], v34, s[8:9] scale_offset
	global_load_b128 v[30:33], v74, s[10:11] scale_offset
	v_add_nc_u32_e32 v47, 1, v74
	global_load_b128 v[34:37], v46, s[8:9] offset:16 scale_offset
	v_dual_add_nc_u32 v59, 2, v74 :: v_dual_add_nc_u32 v76, 3, v74
	v_add_nc_u32_e32 v82, 4, v74
	global_load_b128 v[38:41], v46, s[8:9] scale_offset
	global_load_b128 v[42:45], v47, s[10:11] scale_offset
	s_clause 0x1
	global_load_b128 v[46:49], v58, s[8:9] offset:16 scale_offset
	global_load_b128 v[50:53], v58, s[8:9] scale_offset
	global_load_b128 v[54:57], v59, s[10:11] scale_offset
	s_clause 0x1
	global_load_b128 v[58:61], v75, s[8:9] offset:16 scale_offset
	;; [unrolled: 4-line block ×3, first 2 shown]
	global_load_b128 v[74:77], v20, s[8:9] scale_offset
	global_load_b128 v[78:81], v82, s[10:11] scale_offset
	s_wait_xcnt 0x1
	v_add_nc_u32_e32 v20, 0x280, v20
	s_wait_loadcnt 0xc
	v_fmac_f64_e32 v[14:15], v[26:27], v[30:31]
	v_fmac_f64_e32 v[0:1], v[28:29], v[30:31]
	;; [unrolled: 1-line block ×4, first 2 shown]
	s_delay_alu instid0(VALU_DEP_4) | instskip(NEXT) | instid1(VALU_DEP_4)
	v_fma_f64 v[14:15], -v[28:29], v[32:33], v[14:15]
	v_fmac_f64_e32 v[0:1], v[26:27], v[32:33]
	s_delay_alu instid0(VALU_DEP_4) | instskip(NEXT) | instid1(VALU_DEP_4)
	v_fma_f64 v[16:17], -v[24:25], v[32:33], v[16:17]
	v_fmac_f64_e32 v[12:13], v[22:23], v[32:33]
	s_wait_loadcnt 0x9
	s_delay_alu instid0(VALU_DEP_4) | instskip(NEXT) | instid1(VALU_DEP_4)
	v_fmac_f64_e32 v[14:15], v[38:39], v[42:43]
	v_fmac_f64_e32 v[0:1], v[40:41], v[42:43]
	s_delay_alu instid0(VALU_DEP_4) | instskip(NEXT) | instid1(VALU_DEP_4)
	v_fmac_f64_e32 v[16:17], v[34:35], v[42:43]
	v_fmac_f64_e32 v[12:13], v[36:37], v[42:43]
	s_delay_alu instid0(VALU_DEP_4) | instskip(NEXT) | instid1(VALU_DEP_4)
	v_fma_f64 v[14:15], -v[40:41], v[44:45], v[14:15]
	v_fmac_f64_e32 v[0:1], v[38:39], v[44:45]
	s_delay_alu instid0(VALU_DEP_4) | instskip(NEXT) | instid1(VALU_DEP_4)
	v_fma_f64 v[16:17], -v[36:37], v[44:45], v[16:17]
	v_fmac_f64_e32 v[12:13], v[34:35], v[44:45]
	s_wait_loadcnt 0x6
	s_delay_alu instid0(VALU_DEP_4) | instskip(NEXT) | instid1(VALU_DEP_4)
	v_fmac_f64_e32 v[14:15], v[50:51], v[54:55]
	v_fmac_f64_e32 v[0:1], v[52:53], v[54:55]
	s_delay_alu instid0(VALU_DEP_4) | instskip(NEXT) | instid1(VALU_DEP_4)
	v_fmac_f64_e32 v[16:17], v[46:47], v[54:55]
	v_fmac_f64_e32 v[12:13], v[48:49], v[54:55]
	;; [unrolled: 13-line block ×4, first 2 shown]
	s_delay_alu instid0(VALU_DEP_4) | instskip(NEXT) | instid1(VALU_DEP_4)
	v_fma_f64 v[14:15], -v[76:77], v[80:81], v[14:15]
	v_fmac_f64_e32 v[0:1], v[74:75], v[80:81]
	s_delay_alu instid0(VALU_DEP_4) | instskip(NEXT) | instid1(VALU_DEP_4)
	v_fma_f64 v[16:17], -v[72:73], v[80:81], v[16:17]
	v_fmac_f64_e32 v[12:13], v[70:71], v[80:81]
	s_and_not1_b32 exec_lo, exec_lo, s4
	s_cbranch_execnz .LBB247_7
; %bb.8:
	s_or_b32 exec_lo, exec_lo, s4
.LBB247_9:
	s_delay_alu instid0(SALU_CYCLE_1)
	s_or_b32 exec_lo, exec_lo, s3
	s_cbranch_execz .LBB247_11
	s_branch .LBB247_16
.LBB247_10:
                                        ; implicit-def: $vgpr0_vgpr1
                                        ; implicit-def: $vgpr14_vgpr15
                                        ; implicit-def: $vgpr16_vgpr17
                                        ; implicit-def: $vgpr12_vgpr13
.LBB247_11:
	v_mov_b64_e32 v[0:1], 0
	v_mov_b64_e32 v[14:15], 0
	;; [unrolled: 1-line block ×4, first 2 shown]
	s_and_saveexec_b32 s3, s2
	s_cbranch_execz .LBB247_15
; %bb.12:
	v_mad_u32 v20, v19, 10, 9
	v_mov_b64_e32 v[0:1], 0
	v_mov_b64_e32 v[14:15], 0
	;; [unrolled: 1-line block ×4, first 2 shown]
	s_mov_b32 s2, 0
.LBB247_13:                             ; =>This Inner Loop Header: Depth=1
	global_load_b32 v21, v19, s[6:7] scale_offset
	v_dual_add_nc_u32 v26, -9, v20 :: v_dual_add_nc_u32 v38, -4, v20
	s_wait_xcnt 0x0
	v_dual_add_nc_u32 v58, -2, v20 :: v_dual_add_nc_u32 v19, 64, v19
	s_clause 0x1
	global_load_b128 v[22:25], v26, s[8:9] offset:16 scale_offset
	global_load_b128 v[26:29], v26, s[8:9] scale_offset
	v_cmp_ge_i32_e32 vcc_lo, v19, v18
	s_or_b32 s2, vcc_lo, s2
	s_wait_loadcnt 0x2
	v_subrev_nc_u32_e32 v21, s12, v21
	s_delay_alu instid0(VALU_DEP_1)
	v_lshl_add_u32 v21, v21, 2, v21
	global_load_b128 v[30:33], v38, s[8:9] scale_offset
	global_load_b128 v[34:37], v21, s[10:11] scale_offset
	v_dual_add_nc_u32 v46, -3, v20 :: v_dual_add_nc_u32 v47, 1, v21
	global_load_b128 v[38:41], v46, s[8:9] scale_offset
	global_load_b128 v[42:45], v47, s[10:11] scale_offset
	s_wait_xcnt 0x1
	v_dual_add_nc_u32 v46, -7, v20 :: v_dual_add_nc_u32 v59, 2, v21
	v_dual_add_nc_u32 v70, -1, v20 :: v_dual_add_nc_u32 v71, 3, v21
	;; [unrolled: 1-line block ×3, first 2 shown]
	s_clause 0x1
	global_load_b128 v[46:49], v46, s[8:9] scale_offset
	global_load_b128 v[50:53], v58, s[8:9] scale_offset
	;; [unrolled: 1-line block ×3, first 2 shown]
	s_wait_xcnt 0x1
	v_add_nc_u32_e32 v58, -6, v20
	s_clause 0x1
	global_load_b128 v[58:61], v58, s[8:9] scale_offset
	global_load_b128 v[62:65], v70, s[8:9] scale_offset
	;; [unrolled: 1-line block ×3, first 2 shown]
	s_clause 0x1
	global_load_b128 v[70:73], v20, s[8:9] scale_offset
	global_load_b128 v[74:77], v82, s[8:9] scale_offset
	global_load_b128 v[78:81], v21, s[10:11] scale_offset
	s_wait_xcnt 0x2
	v_add_nc_u32_e32 v20, 0x280, v20
	s_wait_loadcnt 0xb
	v_fmac_f64_e32 v[14:15], v[26:27], v[34:35]
	v_fmac_f64_e32 v[0:1], v[28:29], v[34:35]
	;; [unrolled: 1-line block ×4, first 2 shown]
	s_delay_alu instid0(VALU_DEP_4) | instskip(NEXT) | instid1(VALU_DEP_4)
	v_fma_f64 v[14:15], -v[28:29], v[36:37], v[14:15]
	v_fmac_f64_e32 v[0:1], v[26:27], v[36:37]
	s_delay_alu instid0(VALU_DEP_4) | instskip(NEXT) | instid1(VALU_DEP_4)
	v_fma_f64 v[16:17], -v[32:33], v[36:37], v[16:17]
	v_fmac_f64_e32 v[12:13], v[30:31], v[36:37]
	s_wait_loadcnt 0x9
	s_delay_alu instid0(VALU_DEP_4) | instskip(NEXT) | instid1(VALU_DEP_4)
	v_fmac_f64_e32 v[14:15], v[22:23], v[42:43]
	v_fmac_f64_e32 v[0:1], v[24:25], v[42:43]
	s_delay_alu instid0(VALU_DEP_4) | instskip(NEXT) | instid1(VALU_DEP_4)
	v_fmac_f64_e32 v[16:17], v[38:39], v[42:43]
	v_fmac_f64_e32 v[12:13], v[40:41], v[42:43]
	s_delay_alu instid0(VALU_DEP_4) | instskip(NEXT) | instid1(VALU_DEP_4)
	v_fma_f64 v[14:15], -v[24:25], v[44:45], v[14:15]
	v_fmac_f64_e32 v[0:1], v[22:23], v[44:45]
	s_delay_alu instid0(VALU_DEP_4) | instskip(NEXT) | instid1(VALU_DEP_4)
	v_fma_f64 v[16:17], -v[40:41], v[44:45], v[16:17]
	v_fmac_f64_e32 v[12:13], v[38:39], v[44:45]
	s_wait_loadcnt 0x6
	s_delay_alu instid0(VALU_DEP_4) | instskip(NEXT) | instid1(VALU_DEP_4)
	v_fmac_f64_e32 v[14:15], v[46:47], v[54:55]
	v_fmac_f64_e32 v[0:1], v[48:49], v[54:55]
	s_delay_alu instid0(VALU_DEP_4) | instskip(NEXT) | instid1(VALU_DEP_4)
	v_fmac_f64_e32 v[16:17], v[50:51], v[54:55]
	v_fmac_f64_e32 v[12:13], v[52:53], v[54:55]
	;; [unrolled: 13-line block ×4, first 2 shown]
	s_delay_alu instid0(VALU_DEP_4) | instskip(NEXT) | instid1(VALU_DEP_4)
	v_fma_f64 v[14:15], -v[76:77], v[80:81], v[14:15]
	v_fmac_f64_e32 v[0:1], v[74:75], v[80:81]
	s_delay_alu instid0(VALU_DEP_4) | instskip(NEXT) | instid1(VALU_DEP_4)
	v_fma_f64 v[16:17], -v[72:73], v[80:81], v[16:17]
	v_fmac_f64_e32 v[12:13], v[70:71], v[80:81]
	s_and_not1_b32 exec_lo, exec_lo, s2
	s_cbranch_execnz .LBB247_13
; %bb.14:
	s_or_b32 exec_lo, exec_lo, s2
.LBB247_15:
	s_delay_alu instid0(SALU_CYCLE_1)
	s_or_b32 exec_lo, exec_lo, s3
.LBB247_16:
	v_mbcnt_lo_u32_b32 v28, -1, 0
	s_delay_alu instid0(VALU_DEP_1) | instskip(NEXT) | instid1(VALU_DEP_1)
	v_or_b32_e32 v18, 32, v28
	v_cmp_gt_i32_e32 vcc_lo, 32, v18
	v_cndmask_b32_e32 v18, v28, v18, vcc_lo
	s_delay_alu instid0(VALU_DEP_1)
	v_lshlrev_b32_e32 v25, 2, v18
	ds_bpermute_b32 v20, v25, v0
	ds_bpermute_b32 v21, v25, v1
	s_wait_dscnt 0x0
	v_add_f64_e32 v[0:1], v[0:1], v[20:21]
	ds_bpermute_b32 v18, v25, v14
	ds_bpermute_b32 v19, v25, v15
	;; [unrolled: 1-line block ×6, first 2 shown]
	s_wait_dscnt 0x4
	v_dual_add_f64 v[14:15], v[14:15], v[18:19] :: v_dual_bitop2_b32 v18, 16, v28 bitop3:0x14
	s_wait_dscnt 0x2
	v_add_f64_e32 v[16:17], v[16:17], v[22:23]
	s_delay_alu instid0(VALU_DEP_2) | instskip(SKIP_2) | instid1(VALU_DEP_1)
	v_cmp_gt_i32_e32 vcc_lo, 32, v18
	v_cndmask_b32_e32 v18, v28, v18, vcc_lo
	s_wait_dscnt 0x0
	v_dual_add_f64 v[12:13], v[12:13], v[24:25] :: v_dual_lshlrev_b32 v25, 2, v18
	ds_bpermute_b32 v20, v25, v0
	ds_bpermute_b32 v21, v25, v1
	;; [unrolled: 1-line block ×8, first 2 shown]
	s_wait_dscnt 0x4
	v_dual_add_f64 v[14:15], v[14:15], v[18:19] :: v_dual_bitop2_b32 v18, 8, v28 bitop3:0x14
	s_wait_dscnt 0x2
	v_add_f64_e32 v[16:17], v[16:17], v[22:23]
	s_delay_alu instid0(VALU_DEP_2) | instskip(SKIP_3) | instid1(VALU_DEP_2)
	v_cmp_gt_i32_e32 vcc_lo, 32, v18
	v_cndmask_b32_e32 v18, v28, v18, vcc_lo
	v_add_f64_e32 v[0:1], v[0:1], v[20:21]
	s_wait_dscnt 0x0
	v_dual_add_f64 v[12:13], v[12:13], v[24:25] :: v_dual_lshlrev_b32 v25, 2, v18
	ds_bpermute_b32 v18, v25, v14
	ds_bpermute_b32 v19, v25, v15
	;; [unrolled: 1-line block ×5, first 2 shown]
	s_wait_dscnt 0x3
	v_dual_add_f64 v[14:15], v[14:15], v[18:19] :: v_dual_bitop2_b32 v18, 4, v28 bitop3:0x14
	ds_bpermute_b32 v22, v25, v16
	ds_bpermute_b32 v23, v25, v17
	;; [unrolled: 1-line block ×3, first 2 shown]
	v_cmp_gt_i32_e32 vcc_lo, 32, v18
	v_cndmask_b32_e32 v18, v28, v18, vcc_lo
	s_wait_dscnt 0x4
	v_add_f64_e32 v[0:1], v[0:1], v[20:21]
	s_wait_dscnt 0x1
	v_add_f64_e32 v[16:17], v[16:17], v[22:23]
	s_wait_dscnt 0x0
	v_dual_add_f64 v[12:13], v[12:13], v[24:25] :: v_dual_lshlrev_b32 v25, 2, v18
	ds_bpermute_b32 v18, v25, v14
	ds_bpermute_b32 v19, v25, v15
	;; [unrolled: 1-line block ×4, first 2 shown]
	s_wait_dscnt 0x2
	v_add_f64_e32 v[14:15], v[14:15], v[18:19]
	ds_bpermute_b32 v22, v25, v16
	ds_bpermute_b32 v23, v25, v17
	;; [unrolled: 1-line block ×4, first 2 shown]
	s_wait_dscnt 0x4
	v_add_f64_e32 v[18:19], v[0:1], v[20:21]
	v_xor_b32_e32 v0, 2, v28
	s_delay_alu instid0(VALU_DEP_1)
	v_cmp_gt_i32_e32 vcc_lo, 32, v0
	s_wait_dscnt 0x2
	v_add_f64_e32 v[20:21], v[16:17], v[22:23]
	v_cndmask_b32_e32 v0, v28, v0, vcc_lo
	s_wait_dscnt 0x0
	v_add_f64_e32 v[22:23], v[12:13], v[24:25]
	s_delay_alu instid0(VALU_DEP_2)
	v_lshlrev_b32_e32 v16, 2, v0
	ds_bpermute_b32 v0, v16, v14
	ds_bpermute_b32 v1, v16, v15
	;; [unrolled: 1-line block ×8, first 2 shown]
	s_wait_dscnt 0x6
	v_add_f64_e32 v[0:1], v[14:15], v[0:1]
	s_wait_dscnt 0x4
	v_add_f64_e32 v[16:17], v[18:19], v[12:13]
	v_xor_b32_e32 v18, 1, v28
	s_delay_alu instid0(VALU_DEP_1)
	v_cmp_gt_i32_e32 vcc_lo, 32, v18
	s_wait_dscnt 0x2
	v_add_f64_e32 v[12:13], v[20:21], v[24:25]
	v_cndmask_b32_e32 v18, v28, v18, vcc_lo
	s_wait_dscnt 0x0
	v_add_f64_e32 v[14:15], v[22:23], v[26:27]
	v_cmp_eq_u32_e32 vcc_lo, 63, v11
	s_delay_alu instid0(VALU_DEP_3)
	v_lshlrev_b32_e32 v21, 2, v18
	ds_bpermute_b32 v24, v21, v0
	ds_bpermute_b32 v25, v21, v1
	;; [unrolled: 1-line block ×8, first 2 shown]
	s_and_b32 exec_lo, exec_lo, vcc_lo
	s_cbranch_execz .LBB247_21
; %bb.17:
	v_cmp_eq_f64_e32 vcc_lo, 0, v[6:7]
	v_cmp_eq_f64_e64 s2, 0, v[8:9]
	s_wait_dscnt 0x6
	v_add_f64_e32 v[0:1], v[0:1], v[24:25]
	s_wait_dscnt 0x4
	v_add_f64_e32 v[16:17], v[16:17], v[22:23]
	;; [unrolled: 2-line block ×4, first 2 shown]
	s_load_b64 s[0:1], s[0:1], 0x48
	s_and_b32 s2, vcc_lo, s2
	s_delay_alu instid0(SALU_CYCLE_1) | instskip(NEXT) | instid1(SALU_CYCLE_1)
	s_and_saveexec_b32 s3, s2
	s_xor_b32 s2, exec_lo, s3
	s_cbranch_execz .LBB247_19
; %bb.18:
	s_delay_alu instid0(VALU_DEP_3) | instskip(SKIP_1) | instid1(VALU_DEP_3)
	v_mul_f64_e64 v[6:7], v[16:17], -v[4:5]
	v_mul_f64_e32 v[8:9], v[2:3], v[16:17]
	v_mul_f64_e64 v[16:17], v[14:15], -v[4:5]
	v_mul_f64_e32 v[18:19], v[2:3], v[14:15]
                                        ; implicit-def: $vgpr14_vgpr15
	s_delay_alu instid0(VALU_DEP_4) | instskip(NEXT) | instid1(VALU_DEP_4)
	v_fmac_f64_e32 v[6:7], v[2:3], v[0:1]
	v_fmac_f64_e32 v[8:9], v[4:5], v[0:1]
	s_delay_alu instid0(VALU_DEP_4) | instskip(NEXT) | instid1(VALU_DEP_4)
	v_fmac_f64_e32 v[16:17], v[2:3], v[12:13]
	v_fmac_f64_e32 v[18:19], v[4:5], v[12:13]
	v_lshlrev_b32_e32 v0, 1, v10
                                        ; implicit-def: $vgpr10
                                        ; implicit-def: $vgpr12_vgpr13
                                        ; implicit-def: $vgpr4_vgpr5
	s_wait_kmcnt 0x0
	s_clause 0x1
	global_store_b128 v0, v[6:9], s[0:1] scale_offset
	global_store_b128 v0, v[16:19], s[0:1] offset:16 scale_offset
                                        ; implicit-def: $vgpr0_vgpr1
                                        ; implicit-def: $vgpr16_vgpr17
                                        ; implicit-def: $vgpr8_vgpr9
.LBB247_19:
	s_wait_xcnt 0x0
	s_and_not1_saveexec_b32 s2, s2
	s_cbranch_execz .LBB247_21
; %bb.20:
	s_delay_alu instid0(VALU_DEP_3) | instskip(SKIP_1) | instid1(VALU_DEP_3)
	v_dual_mul_f64 v[26:27], v[16:17], -v[4:5] :: v_dual_lshlrev_b32 v30, 1, v10
	v_mul_f64_e32 v[16:17], v[2:3], v[16:17]
	v_mul_f64_e64 v[28:29], v[14:15], -v[4:5]
	v_mul_f64_e32 v[10:11], v[2:3], v[14:15]
	s_wait_kmcnt 0x0
	s_clause 0x1
	global_load_b128 v[18:21], v30, s[0:1] scale_offset
	global_load_b128 v[22:25], v30, s[0:1] offset:16 scale_offset
	v_fmac_f64_e32 v[26:27], v[2:3], v[0:1]
	v_fmac_f64_e32 v[16:17], v[4:5], v[0:1]
	;; [unrolled: 1-line block ×4, first 2 shown]
	s_wait_loadcnt 0x1
	s_delay_alu instid0(VALU_DEP_4) | instskip(NEXT) | instid1(VALU_DEP_4)
	v_fmac_f64_e32 v[26:27], v[6:7], v[18:19]
	v_fmac_f64_e32 v[16:17], v[8:9], v[18:19]
	s_wait_loadcnt 0x0
	s_delay_alu instid0(VALU_DEP_4) | instskip(NEXT) | instid1(VALU_DEP_4)
	v_fmac_f64_e32 v[28:29], v[6:7], v[22:23]
	v_fmac_f64_e32 v[10:11], v[8:9], v[22:23]
	s_delay_alu instid0(VALU_DEP_4) | instskip(NEXT) | instid1(VALU_DEP_4)
	v_fma_f64 v[14:15], -v[8:9], v[20:21], v[26:27]
	v_fmac_f64_e32 v[16:17], v[6:7], v[20:21]
	s_delay_alu instid0(VALU_DEP_4) | instskip(NEXT) | instid1(VALU_DEP_4)
	v_fma_f64 v[8:9], -v[8:9], v[24:25], v[28:29]
	v_fmac_f64_e32 v[10:11], v[6:7], v[24:25]
	s_clause 0x1
	global_store_b128 v30, v[14:17], s[0:1] scale_offset
	global_store_b128 v30, v[8:11], s[0:1] offset:16 scale_offset
.LBB247_21:
	s_sendmsg sendmsg(MSG_DEALLOC_VGPRS)
	s_endpgm
	.section	.rodata,"a",@progbits
	.p2align	6, 0x0
	.amdhsa_kernel _ZN9rocsparseL19gebsrmvn_2xn_kernelILj128ELj5ELj64E21rocsparse_complex_numIdEEEvi20rocsparse_direction_NS_24const_host_device_scalarIT2_EEPKiS8_PKS5_SA_S6_PS5_21rocsparse_index_base_b
		.amdhsa_group_segment_fixed_size 0
		.amdhsa_private_segment_fixed_size 0
		.amdhsa_kernarg_size 88
		.amdhsa_user_sgpr_count 2
		.amdhsa_user_sgpr_dispatch_ptr 0
		.amdhsa_user_sgpr_queue_ptr 0
		.amdhsa_user_sgpr_kernarg_segment_ptr 1
		.amdhsa_user_sgpr_dispatch_id 0
		.amdhsa_user_sgpr_kernarg_preload_length 0
		.amdhsa_user_sgpr_kernarg_preload_offset 0
		.amdhsa_user_sgpr_private_segment_size 0
		.amdhsa_wavefront_size32 1
		.amdhsa_uses_dynamic_stack 0
		.amdhsa_enable_private_segment 0
		.amdhsa_system_sgpr_workgroup_id_x 1
		.amdhsa_system_sgpr_workgroup_id_y 0
		.amdhsa_system_sgpr_workgroup_id_z 0
		.amdhsa_system_sgpr_workgroup_info 0
		.amdhsa_system_vgpr_workitem_id 0
		.amdhsa_next_free_vgpr 83
		.amdhsa_next_free_sgpr 14
		.amdhsa_named_barrier_count 0
		.amdhsa_reserve_vcc 1
		.amdhsa_float_round_mode_32 0
		.amdhsa_float_round_mode_16_64 0
		.amdhsa_float_denorm_mode_32 3
		.amdhsa_float_denorm_mode_16_64 3
		.amdhsa_fp16_overflow 0
		.amdhsa_memory_ordered 1
		.amdhsa_forward_progress 1
		.amdhsa_inst_pref_size 22
		.amdhsa_round_robin_scheduling 0
		.amdhsa_exception_fp_ieee_invalid_op 0
		.amdhsa_exception_fp_denorm_src 0
		.amdhsa_exception_fp_ieee_div_zero 0
		.amdhsa_exception_fp_ieee_overflow 0
		.amdhsa_exception_fp_ieee_underflow 0
		.amdhsa_exception_fp_ieee_inexact 0
		.amdhsa_exception_int_div_zero 0
	.end_amdhsa_kernel
	.section	.text._ZN9rocsparseL19gebsrmvn_2xn_kernelILj128ELj5ELj64E21rocsparse_complex_numIdEEEvi20rocsparse_direction_NS_24const_host_device_scalarIT2_EEPKiS8_PKS5_SA_S6_PS5_21rocsparse_index_base_b,"axG",@progbits,_ZN9rocsparseL19gebsrmvn_2xn_kernelILj128ELj5ELj64E21rocsparse_complex_numIdEEEvi20rocsparse_direction_NS_24const_host_device_scalarIT2_EEPKiS8_PKS5_SA_S6_PS5_21rocsparse_index_base_b,comdat
.Lfunc_end247:
	.size	_ZN9rocsparseL19gebsrmvn_2xn_kernelILj128ELj5ELj64E21rocsparse_complex_numIdEEEvi20rocsparse_direction_NS_24const_host_device_scalarIT2_EEPKiS8_PKS5_SA_S6_PS5_21rocsparse_index_base_b, .Lfunc_end247-_ZN9rocsparseL19gebsrmvn_2xn_kernelILj128ELj5ELj64E21rocsparse_complex_numIdEEEvi20rocsparse_direction_NS_24const_host_device_scalarIT2_EEPKiS8_PKS5_SA_S6_PS5_21rocsparse_index_base_b
                                        ; -- End function
	.set _ZN9rocsparseL19gebsrmvn_2xn_kernelILj128ELj5ELj64E21rocsparse_complex_numIdEEEvi20rocsparse_direction_NS_24const_host_device_scalarIT2_EEPKiS8_PKS5_SA_S6_PS5_21rocsparse_index_base_b.num_vgpr, 83
	.set _ZN9rocsparseL19gebsrmvn_2xn_kernelILj128ELj5ELj64E21rocsparse_complex_numIdEEEvi20rocsparse_direction_NS_24const_host_device_scalarIT2_EEPKiS8_PKS5_SA_S6_PS5_21rocsparse_index_base_b.num_agpr, 0
	.set _ZN9rocsparseL19gebsrmvn_2xn_kernelILj128ELj5ELj64E21rocsparse_complex_numIdEEEvi20rocsparse_direction_NS_24const_host_device_scalarIT2_EEPKiS8_PKS5_SA_S6_PS5_21rocsparse_index_base_b.numbered_sgpr, 14
	.set _ZN9rocsparseL19gebsrmvn_2xn_kernelILj128ELj5ELj64E21rocsparse_complex_numIdEEEvi20rocsparse_direction_NS_24const_host_device_scalarIT2_EEPKiS8_PKS5_SA_S6_PS5_21rocsparse_index_base_b.num_named_barrier, 0
	.set _ZN9rocsparseL19gebsrmvn_2xn_kernelILj128ELj5ELj64E21rocsparse_complex_numIdEEEvi20rocsparse_direction_NS_24const_host_device_scalarIT2_EEPKiS8_PKS5_SA_S6_PS5_21rocsparse_index_base_b.private_seg_size, 0
	.set _ZN9rocsparseL19gebsrmvn_2xn_kernelILj128ELj5ELj64E21rocsparse_complex_numIdEEEvi20rocsparse_direction_NS_24const_host_device_scalarIT2_EEPKiS8_PKS5_SA_S6_PS5_21rocsparse_index_base_b.uses_vcc, 1
	.set _ZN9rocsparseL19gebsrmvn_2xn_kernelILj128ELj5ELj64E21rocsparse_complex_numIdEEEvi20rocsparse_direction_NS_24const_host_device_scalarIT2_EEPKiS8_PKS5_SA_S6_PS5_21rocsparse_index_base_b.uses_flat_scratch, 0
	.set _ZN9rocsparseL19gebsrmvn_2xn_kernelILj128ELj5ELj64E21rocsparse_complex_numIdEEEvi20rocsparse_direction_NS_24const_host_device_scalarIT2_EEPKiS8_PKS5_SA_S6_PS5_21rocsparse_index_base_b.has_dyn_sized_stack, 0
	.set _ZN9rocsparseL19gebsrmvn_2xn_kernelILj128ELj5ELj64E21rocsparse_complex_numIdEEEvi20rocsparse_direction_NS_24const_host_device_scalarIT2_EEPKiS8_PKS5_SA_S6_PS5_21rocsparse_index_base_b.has_recursion, 0
	.set _ZN9rocsparseL19gebsrmvn_2xn_kernelILj128ELj5ELj64E21rocsparse_complex_numIdEEEvi20rocsparse_direction_NS_24const_host_device_scalarIT2_EEPKiS8_PKS5_SA_S6_PS5_21rocsparse_index_base_b.has_indirect_call, 0
	.section	.AMDGPU.csdata,"",@progbits
; Kernel info:
; codeLenInByte = 2768
; TotalNumSgprs: 16
; NumVgprs: 83
; ScratchSize: 0
; MemoryBound: 0
; FloatMode: 240
; IeeeMode: 1
; LDSByteSize: 0 bytes/workgroup (compile time only)
; SGPRBlocks: 0
; VGPRBlocks: 5
; NumSGPRsForWavesPerEU: 16
; NumVGPRsForWavesPerEU: 83
; NamedBarCnt: 0
; Occupancy: 10
; WaveLimiterHint : 1
; COMPUTE_PGM_RSRC2:SCRATCH_EN: 0
; COMPUTE_PGM_RSRC2:USER_SGPR: 2
; COMPUTE_PGM_RSRC2:TRAP_HANDLER: 0
; COMPUTE_PGM_RSRC2:TGID_X_EN: 1
; COMPUTE_PGM_RSRC2:TGID_Y_EN: 0
; COMPUTE_PGM_RSRC2:TGID_Z_EN: 0
; COMPUTE_PGM_RSRC2:TIDIG_COMP_CNT: 0
	.section	.text._ZN9rocsparseL19gebsrmvn_2xn_kernelILj128ELj6ELj4E21rocsparse_complex_numIdEEEvi20rocsparse_direction_NS_24const_host_device_scalarIT2_EEPKiS8_PKS5_SA_S6_PS5_21rocsparse_index_base_b,"axG",@progbits,_ZN9rocsparseL19gebsrmvn_2xn_kernelILj128ELj6ELj4E21rocsparse_complex_numIdEEEvi20rocsparse_direction_NS_24const_host_device_scalarIT2_EEPKiS8_PKS5_SA_S6_PS5_21rocsparse_index_base_b,comdat
	.globl	_ZN9rocsparseL19gebsrmvn_2xn_kernelILj128ELj6ELj4E21rocsparse_complex_numIdEEEvi20rocsparse_direction_NS_24const_host_device_scalarIT2_EEPKiS8_PKS5_SA_S6_PS5_21rocsparse_index_base_b ; -- Begin function _ZN9rocsparseL19gebsrmvn_2xn_kernelILj128ELj6ELj4E21rocsparse_complex_numIdEEEvi20rocsparse_direction_NS_24const_host_device_scalarIT2_EEPKiS8_PKS5_SA_S6_PS5_21rocsparse_index_base_b
	.p2align	8
	.type	_ZN9rocsparseL19gebsrmvn_2xn_kernelILj128ELj6ELj4E21rocsparse_complex_numIdEEEvi20rocsparse_direction_NS_24const_host_device_scalarIT2_EEPKiS8_PKS5_SA_S6_PS5_21rocsparse_index_base_b,@function
_ZN9rocsparseL19gebsrmvn_2xn_kernelILj128ELj6ELj4E21rocsparse_complex_numIdEEEvi20rocsparse_direction_NS_24const_host_device_scalarIT2_EEPKiS8_PKS5_SA_S6_PS5_21rocsparse_index_base_b: ; @_ZN9rocsparseL19gebsrmvn_2xn_kernelILj128ELj6ELj4E21rocsparse_complex_numIdEEEvi20rocsparse_direction_NS_24const_host_device_scalarIT2_EEPKiS8_PKS5_SA_S6_PS5_21rocsparse_index_base_b
; %bb.0:
	s_clause 0x1
	s_load_b64 s[12:13], s[0:1], 0x50
	s_load_b64 s[2:3], s[0:1], 0x8
	v_mov_b32_e32 v1, 0
	s_add_nc_u64 s[4:5], s[0:1], 8
	s_load_b64 s[6:7], s[0:1], 0x38
	s_wait_kmcnt 0x0
	s_bitcmp1_b32 s13, 0
	s_cselect_b32 s3, s5, s3
	s_cselect_b32 s2, s4, s2
	flat_load_b128 v[2:5], v1, s[2:3]
	s_wait_xcnt 0x0
	s_add_nc_u64 s[2:3], s[0:1], 56
	s_delay_alu instid0(SALU_CYCLE_1)
	s_cselect_b32 s3, s3, s7
	s_cselect_b32 s2, s2, s6
	flat_load_b128 v[6:9], v1, s[2:3]
	s_wait_loadcnt_dscnt 0x101
	v_cmp_eq_f64_e32 vcc_lo, 0, v[2:3]
	s_wait_xcnt 0x0
	v_cmp_eq_f64_e64 s2, 0, v[4:5]
	s_and_b32 s4, vcc_lo, s2
	s_mov_b32 s2, -1
	s_and_saveexec_b32 s3, s4
	s_cbranch_execz .LBB248_2
; %bb.1:
	s_wait_loadcnt_dscnt 0x0
	v_cmp_neq_f64_e32 vcc_lo, 1.0, v[6:7]
	v_cmp_neq_f64_e64 s2, 0, v[8:9]
	s_or_b32 s2, vcc_lo, s2
	s_delay_alu instid0(SALU_CYCLE_1)
	s_or_not1_b32 s2, s2, exec_lo
.LBB248_2:
	s_or_b32 exec_lo, exec_lo, s3
	s_and_saveexec_b32 s3, s2
	s_cbranch_execz .LBB248_21
; %bb.3:
	s_load_b64 s[2:3], s[0:1], 0x0
	s_bfe_u32 s4, ttmp6, 0x4000c
	s_and_b32 s5, ttmp6, 15
	s_add_co_i32 s4, s4, 1
	s_getreg_b32 s6, hwreg(HW_REG_IB_STS2, 6, 4)
	s_mul_i32 s4, ttmp9, s4
	v_lshrrev_b32_e32 v1, 2, v0
	s_add_co_i32 s5, s5, s4
	s_cmp_eq_u32 s6, 0
	s_cselect_b32 s4, ttmp9, s5
	s_delay_alu instid0(VALU_DEP_1) | instid1(SALU_CYCLE_1)
	v_lshl_or_b32 v10, s4, 5, v1
	s_wait_kmcnt 0x0
	s_delay_alu instid0(VALU_DEP_1)
	v_cmp_gt_i32_e32 vcc_lo, s2, v10
	s_and_b32 exec_lo, exec_lo, vcc_lo
	s_cbranch_execz .LBB248_21
; %bb.4:
	s_load_b256 s[4:11], s[0:1], 0x18
	v_ashrrev_i32_e32 v11, 31, v10
	s_cmp_lg_u32 s3, 0
	s_wait_kmcnt 0x0
	s_delay_alu instid0(VALU_DEP_1)
	v_lshl_add_u64 v[12:13], v[10:11], 2, s[4:5]
	v_and_b32_e32 v11, 3, v0
	global_load_b64 v[12:13], v[12:13], off
	s_wait_loadcnt 0x0
	v_subrev_nc_u32_e32 v0, s12, v12
	v_subrev_nc_u32_e32 v18, s12, v13
	s_delay_alu instid0(VALU_DEP_2) | instskip(NEXT) | instid1(VALU_DEP_1)
	v_add_nc_u32_e32 v19, v0, v11
	v_cmp_lt_i32_e64 s2, v19, v18
	s_cbranch_scc0 .LBB248_10
; %bb.5:
	v_mov_b64_e32 v[0:1], 0
	v_mov_b64_e32 v[14:15], 0
	;; [unrolled: 1-line block ×4, first 2 shown]
	s_and_saveexec_b32 s3, s2
	s_cbranch_execz .LBB248_9
; %bb.6:
	v_mad_u32 v20, v19, 12, 10
	v_mov_b64_e32 v[0:1], 0
	v_mov_b64_e32 v[14:15], 0
	;; [unrolled: 1-line block ×4, first 2 shown]
	v_mov_b32_e32 v21, v19
	s_mov_b32 s4, 0
.LBB248_7:                              ; =>This Inner Loop Header: Depth=1
	global_load_b32 v22, v21, s[6:7] scale_offset
	v_dual_add_nc_u32 v46, -10, v20 :: v_dual_add_nc_u32 v58, -6, v20
	s_wait_xcnt 0x0
	v_dual_add_nc_u32 v21, 4, v21 :: v_dual_add_nc_u32 v71, -4, v20
	s_wait_loadcnt 0x0
	v_subrev_nc_u32_e32 v22, s12, v22
	s_delay_alu instid0(VALU_DEP_1)
	v_mul_lo_u32 v74, v22, 6
	s_clause 0x1
	global_load_b128 v[22:25], v46, s[8:9] offset:16 scale_offset
	global_load_b128 v[26:29], v46, s[8:9] scale_offset
	global_load_b128 v[30:33], v74, s[10:11] scale_offset
	s_clause 0x1
	global_load_b128 v[34:37], v46, s[8:9] offset:32 scale_offset
	global_load_b128 v[38:41], v46, s[8:9] offset:48 scale_offset
	;; [unrolled: 1-line block ×4, first 2 shown]
	v_dual_add_nc_u32 v70, 2, v74 :: v_dual_add_nc_u32 v94, -2, v20
	v_add_nc_u32_e32 v95, 4, v74
	global_load_b128 v[50:53], v58, s[8:9] scale_offset
	global_load_b128 v[54:57], v70, s[10:11] scale_offset
	s_clause 0x1
	global_load_b128 v[58:61], v71, s[8:9] scale_offset
	global_load_b128 v[62:65], v71, s[8:9] offset:16 scale_offset
	global_load_b128 v[66:69], v70, s[10:11] offset:16 scale_offset
	s_clause 0x1
	global_load_b128 v[70:73], v94, s[8:9] offset:16 scale_offset
	global_load_b128 v[74:77], v94, s[8:9] scale_offset
	global_load_b128 v[78:81], v95, s[10:11] scale_offset
	s_clause 0x1
	global_load_b128 v[82:85], v20, s[8:9] scale_offset
	global_load_b128 v[86:89], v20, s[8:9] offset:16 scale_offset
	global_load_b128 v[90:93], v95, s[10:11] offset:16 scale_offset
	s_wait_xcnt 0x1
	v_add_nc_u32_e32 v20, 48, v20
	v_cmp_ge_i32_e32 vcc_lo, v21, v18
	s_or_b32 s4, vcc_lo, s4
	s_wait_loadcnt 0xf
	v_fmac_f64_e32 v[14:15], v[26:27], v[30:31]
	v_fmac_f64_e32 v[0:1], v[28:29], v[30:31]
	v_fmac_f64_e32 v[16:17], v[22:23], v[30:31]
	v_fmac_f64_e32 v[12:13], v[24:25], v[30:31]
	s_delay_alu instid0(VALU_DEP_4) | instskip(NEXT) | instid1(VALU_DEP_4)
	v_fma_f64 v[14:15], -v[28:29], v[32:33], v[14:15]
	v_fmac_f64_e32 v[0:1], v[26:27], v[32:33]
	s_delay_alu instid0(VALU_DEP_4) | instskip(NEXT) | instid1(VALU_DEP_4)
	v_fma_f64 v[16:17], -v[24:25], v[32:33], v[16:17]
	v_fmac_f64_e32 v[12:13], v[22:23], v[32:33]
	s_wait_loadcnt 0xc
	s_delay_alu instid0(VALU_DEP_4) | instskip(NEXT) | instid1(VALU_DEP_4)
	v_fmac_f64_e32 v[14:15], v[34:35], v[42:43]
	v_fmac_f64_e32 v[0:1], v[36:37], v[42:43]
	s_delay_alu instid0(VALU_DEP_4) | instskip(NEXT) | instid1(VALU_DEP_4)
	v_fmac_f64_e32 v[16:17], v[38:39], v[42:43]
	v_fmac_f64_e32 v[12:13], v[40:41], v[42:43]
	s_delay_alu instid0(VALU_DEP_4) | instskip(NEXT) | instid1(VALU_DEP_4)
	v_fma_f64 v[14:15], -v[36:37], v[44:45], v[14:15]
	v_fmac_f64_e32 v[0:1], v[34:35], v[44:45]
	s_delay_alu instid0(VALU_DEP_4) | instskip(NEXT) | instid1(VALU_DEP_4)
	v_fma_f64 v[16:17], -v[40:41], v[44:45], v[16:17]
	v_fmac_f64_e32 v[12:13], v[38:39], v[44:45]
	s_wait_loadcnt 0x9
	s_delay_alu instid0(VALU_DEP_4) | instskip(NEXT) | instid1(VALU_DEP_4)
	v_fmac_f64_e32 v[14:15], v[50:51], v[54:55]
	v_fmac_f64_e32 v[0:1], v[52:53], v[54:55]
	s_delay_alu instid0(VALU_DEP_4) | instskip(NEXT) | instid1(VALU_DEP_4)
	v_fmac_f64_e32 v[16:17], v[46:47], v[54:55]
	v_fmac_f64_e32 v[12:13], v[48:49], v[54:55]
	;; [unrolled: 13-line block ×5, first 2 shown]
	s_delay_alu instid0(VALU_DEP_4) | instskip(NEXT) | instid1(VALU_DEP_4)
	v_fma_f64 v[14:15], -v[84:85], v[92:93], v[14:15]
	v_fmac_f64_e32 v[0:1], v[82:83], v[92:93]
	s_delay_alu instid0(VALU_DEP_4) | instskip(NEXT) | instid1(VALU_DEP_4)
	v_fma_f64 v[16:17], -v[88:89], v[92:93], v[16:17]
	v_fmac_f64_e32 v[12:13], v[86:87], v[92:93]
	s_and_not1_b32 exec_lo, exec_lo, s4
	s_cbranch_execnz .LBB248_7
; %bb.8:
	s_or_b32 exec_lo, exec_lo, s4
.LBB248_9:
	s_delay_alu instid0(SALU_CYCLE_1)
	s_or_b32 exec_lo, exec_lo, s3
	s_cbranch_execz .LBB248_11
	s_branch .LBB248_16
.LBB248_10:
                                        ; implicit-def: $vgpr0_vgpr1
                                        ; implicit-def: $vgpr14_vgpr15
                                        ; implicit-def: $vgpr16_vgpr17
                                        ; implicit-def: $vgpr12_vgpr13
.LBB248_11:
	v_mov_b64_e32 v[0:1], 0
	v_mov_b64_e32 v[14:15], 0
	;; [unrolled: 1-line block ×4, first 2 shown]
	s_and_saveexec_b32 s3, s2
	s_cbranch_execz .LBB248_15
; %bb.12:
	v_mad_u32 v20, v19, 12, 11
	v_mov_b64_e32 v[0:1], 0
	v_mov_b64_e32 v[14:15], 0
	v_mov_b64_e32 v[16:17], 0
	v_mov_b64_e32 v[12:13], 0
	s_mov_b32 s2, 0
.LBB248_13:                             ; =>This Inner Loop Header: Depth=1
	global_load_b32 v21, v19, s[6:7] scale_offset
	v_dual_add_nc_u32 v54, -11, v20 :: v_dual_add_nc_u32 v38, -5, v20
	v_dual_add_nc_u32 v46, -4, v20 :: v_dual_add_nc_u32 v62, -3, v20
	;; [unrolled: 1-line block ×3, first 2 shown]
	s_wait_xcnt 0x0
	v_dual_add_nc_u32 v82, -1, v20 :: v_dual_add_nc_u32 v19, 4, v19
	s_delay_alu instid0(VALU_DEP_1) | instskip(SKIP_3) | instid1(VALU_DEP_1)
	v_cmp_ge_i32_e32 vcc_lo, v19, v18
	s_or_b32 s2, vcc_lo, s2
	s_wait_loadcnt 0x0
	v_subrev_nc_u32_e32 v21, s12, v21
	v_mul_lo_u32 v21, v21, 6
	s_clause 0x2
	global_load_b128 v[22:25], v54, s[8:9] offset:16 scale_offset
	global_load_b128 v[26:29], v54, s[8:9] scale_offset
	global_load_b128 v[30:33], v38, s[8:9] scale_offset
	;; [unrolled: 1-line block ×4, first 2 shown]
	global_load_b128 v[42:45], v21, s[10:11] offset:16 scale_offset
	v_add_nc_u32_e32 v70, 2, v21
	s_clause 0x2
	global_load_b128 v[46:49], v54, s[8:9] offset:48 scale_offset
	global_load_b128 v[50:53], v54, s[8:9] offset:32 scale_offset
	global_load_b128 v[54:57], v62, s[8:9] scale_offset
	global_load_b128 v[58:61], v70, s[10:11] scale_offset
	;; [unrolled: 1-line block ×3, first 2 shown]
	global_load_b128 v[66:69], v70, s[10:11] offset:16 scale_offset
	s_wait_xcnt 0x0
	v_dual_add_nc_u32 v70, -7, v20 :: v_dual_add_nc_u32 v21, 4, v21
	s_clause 0x1
	global_load_b128 v[70:73], v70, s[8:9] scale_offset
	global_load_b128 v[74:77], v82, s[8:9] scale_offset
	;; [unrolled: 1-line block ×3, first 2 shown]
	s_clause 0x1
	global_load_b128 v[82:85], v20, s[8:9] scale_offset
	global_load_b128 v[86:89], v94, s[8:9] scale_offset
	global_load_b128 v[90:93], v21, s[10:11] offset:16 scale_offset
	s_wait_xcnt 0x2
	v_add_nc_u32_e32 v20, 48, v20
	s_wait_loadcnt 0xe
	v_fmac_f64_e32 v[14:15], v[26:27], v[34:35]
	v_fmac_f64_e32 v[0:1], v[28:29], v[34:35]
	;; [unrolled: 1-line block ×4, first 2 shown]
	s_delay_alu instid0(VALU_DEP_4) | instskip(NEXT) | instid1(VALU_DEP_4)
	v_fma_f64 v[14:15], -v[28:29], v[36:37], v[14:15]
	v_fmac_f64_e32 v[0:1], v[26:27], v[36:37]
	s_delay_alu instid0(VALU_DEP_4) | instskip(NEXT) | instid1(VALU_DEP_4)
	v_fma_f64 v[16:17], -v[32:33], v[36:37], v[16:17]
	v_fmac_f64_e32 v[12:13], v[30:31], v[36:37]
	s_wait_loadcnt 0xc
	s_delay_alu instid0(VALU_DEP_4) | instskip(NEXT) | instid1(VALU_DEP_4)
	v_fmac_f64_e32 v[14:15], v[22:23], v[42:43]
	v_fmac_f64_e32 v[0:1], v[24:25], v[42:43]
	s_delay_alu instid0(VALU_DEP_4) | instskip(NEXT) | instid1(VALU_DEP_4)
	v_fmac_f64_e32 v[16:17], v[38:39], v[42:43]
	v_fmac_f64_e32 v[12:13], v[40:41], v[42:43]
	s_delay_alu instid0(VALU_DEP_4) | instskip(NEXT) | instid1(VALU_DEP_4)
	v_fma_f64 v[14:15], -v[24:25], v[44:45], v[14:15]
	v_fmac_f64_e32 v[0:1], v[22:23], v[44:45]
	s_delay_alu instid0(VALU_DEP_4) | instskip(NEXT) | instid1(VALU_DEP_4)
	v_fma_f64 v[16:17], -v[40:41], v[44:45], v[16:17]
	v_fmac_f64_e32 v[12:13], v[38:39], v[44:45]
	s_wait_loadcnt 0x8
	s_delay_alu instid0(VALU_DEP_4) | instskip(NEXT) | instid1(VALU_DEP_4)
	v_fmac_f64_e32 v[14:15], v[50:51], v[58:59]
	v_fmac_f64_e32 v[0:1], v[52:53], v[58:59]
	s_delay_alu instid0(VALU_DEP_4) | instskip(NEXT) | instid1(VALU_DEP_4)
	v_fmac_f64_e32 v[16:17], v[54:55], v[58:59]
	v_fmac_f64_e32 v[12:13], v[56:57], v[58:59]
	;; [unrolled: 13-line block ×5, first 2 shown]
	s_delay_alu instid0(VALU_DEP_4) | instskip(NEXT) | instid1(VALU_DEP_4)
	v_fma_f64 v[14:15], -v[88:89], v[92:93], v[14:15]
	v_fmac_f64_e32 v[0:1], v[86:87], v[92:93]
	s_delay_alu instid0(VALU_DEP_4) | instskip(NEXT) | instid1(VALU_DEP_4)
	v_fma_f64 v[16:17], -v[84:85], v[92:93], v[16:17]
	v_fmac_f64_e32 v[12:13], v[82:83], v[92:93]
	s_and_not1_b32 exec_lo, exec_lo, s2
	s_cbranch_execnz .LBB248_13
; %bb.14:
	s_or_b32 exec_lo, exec_lo, s2
.LBB248_15:
	s_delay_alu instid0(SALU_CYCLE_1)
	s_or_b32 exec_lo, exec_lo, s3
.LBB248_16:
	v_mbcnt_lo_u32_b32 v28, -1, 0
	s_delay_alu instid0(VALU_DEP_1) | instskip(NEXT) | instid1(VALU_DEP_1)
	v_xor_b32_e32 v18, 2, v28
	v_cmp_gt_i32_e32 vcc_lo, 32, v18
	v_cndmask_b32_e32 v18, v28, v18, vcc_lo
	s_delay_alu instid0(VALU_DEP_1)
	v_lshlrev_b32_e32 v22, 2, v18
	ds_bpermute_b32 v20, v22, v0
	ds_bpermute_b32 v21, v22, v1
	s_wait_dscnt 0x0
	v_add_f64_e32 v[20:21], v[0:1], v[20:21]
	ds_bpermute_b32 v18, v22, v14
	ds_bpermute_b32 v19, v22, v15
	;; [unrolled: 1-line block ×6, first 2 shown]
	v_xor_b32_e32 v0, 1, v28
	s_delay_alu instid0(VALU_DEP_1)
	v_cmp_gt_i32_e32 vcc_lo, 32, v0
	v_cndmask_b32_e32 v0, v28, v0, vcc_lo
	v_cmp_eq_u32_e32 vcc_lo, 3, v11
	s_wait_dscnt 0x4
	v_add_f64_e32 v[22:23], v[14:15], v[18:19]
	s_wait_dscnt 0x2
	v_add_f64_e32 v[14:15], v[16:17], v[24:25]
	s_wait_dscnt 0x0
	v_dual_add_f64 v[18:19], v[12:13], v[26:27] :: v_dual_lshlrev_b32 v25, 2, v0
	ds_bpermute_b32 v16, v25, v20
	ds_bpermute_b32 v17, v25, v21
	;; [unrolled: 1-line block ×8, first 2 shown]
	s_and_b32 exec_lo, exec_lo, vcc_lo
	s_cbranch_execz .LBB248_21
; %bb.17:
	v_cmp_eq_f64_e32 vcc_lo, 0, v[6:7]
	v_cmp_eq_f64_e64 s2, 0, v[8:9]
	s_wait_dscnt 0x4
	v_add_f64_e32 v[0:1], v[22:23], v[0:1]
	v_add_f64_e32 v[16:17], v[20:21], v[16:17]
	s_wait_dscnt 0x2
	v_add_f64_e32 v[12:13], v[14:15], v[12:13]
	s_wait_dscnt 0x0
	v_add_f64_e32 v[14:15], v[18:19], v[24:25]
	s_load_b64 s[0:1], s[0:1], 0x48
	s_and_b32 s2, vcc_lo, s2
	s_delay_alu instid0(SALU_CYCLE_1) | instskip(NEXT) | instid1(SALU_CYCLE_1)
	s_and_saveexec_b32 s3, s2
	s_xor_b32 s2, exec_lo, s3
	s_cbranch_execz .LBB248_19
; %bb.18:
	s_delay_alu instid0(VALU_DEP_3) | instskip(SKIP_1) | instid1(VALU_DEP_3)
	v_mul_f64_e64 v[6:7], v[16:17], -v[4:5]
	v_mul_f64_e32 v[8:9], v[2:3], v[16:17]
	v_mul_f64_e64 v[16:17], v[14:15], -v[4:5]
	v_mul_f64_e32 v[18:19], v[2:3], v[14:15]
                                        ; implicit-def: $vgpr14_vgpr15
	s_delay_alu instid0(VALU_DEP_4) | instskip(NEXT) | instid1(VALU_DEP_4)
	v_fmac_f64_e32 v[6:7], v[2:3], v[0:1]
	v_fmac_f64_e32 v[8:9], v[4:5], v[0:1]
	s_delay_alu instid0(VALU_DEP_4) | instskip(NEXT) | instid1(VALU_DEP_4)
	v_fmac_f64_e32 v[16:17], v[2:3], v[12:13]
	v_fmac_f64_e32 v[18:19], v[4:5], v[12:13]
	v_lshlrev_b32_e32 v0, 1, v10
                                        ; implicit-def: $vgpr10
                                        ; implicit-def: $vgpr12_vgpr13
                                        ; implicit-def: $vgpr4_vgpr5
	s_wait_kmcnt 0x0
	s_clause 0x1
	global_store_b128 v0, v[6:9], s[0:1] scale_offset
	global_store_b128 v0, v[16:19], s[0:1] offset:16 scale_offset
                                        ; implicit-def: $vgpr0_vgpr1
                                        ; implicit-def: $vgpr16_vgpr17
                                        ; implicit-def: $vgpr8_vgpr9
.LBB248_19:
	s_wait_xcnt 0x0
	s_and_not1_saveexec_b32 s2, s2
	s_cbranch_execz .LBB248_21
; %bb.20:
	s_delay_alu instid0(VALU_DEP_3) | instskip(SKIP_1) | instid1(VALU_DEP_3)
	v_dual_mul_f64 v[26:27], v[16:17], -v[4:5] :: v_dual_lshlrev_b32 v30, 1, v10
	v_mul_f64_e32 v[16:17], v[2:3], v[16:17]
	v_mul_f64_e64 v[28:29], v[14:15], -v[4:5]
	v_mul_f64_e32 v[10:11], v[2:3], v[14:15]
	s_wait_kmcnt 0x0
	s_clause 0x1
	global_load_b128 v[18:21], v30, s[0:1] scale_offset
	global_load_b128 v[22:25], v30, s[0:1] offset:16 scale_offset
	v_fmac_f64_e32 v[26:27], v[2:3], v[0:1]
	v_fmac_f64_e32 v[16:17], v[4:5], v[0:1]
	;; [unrolled: 1-line block ×4, first 2 shown]
	s_wait_loadcnt 0x1
	s_delay_alu instid0(VALU_DEP_4) | instskip(NEXT) | instid1(VALU_DEP_4)
	v_fmac_f64_e32 v[26:27], v[6:7], v[18:19]
	v_fmac_f64_e32 v[16:17], v[8:9], v[18:19]
	s_wait_loadcnt 0x0
	s_delay_alu instid0(VALU_DEP_4) | instskip(NEXT) | instid1(VALU_DEP_4)
	v_fmac_f64_e32 v[28:29], v[6:7], v[22:23]
	v_fmac_f64_e32 v[10:11], v[8:9], v[22:23]
	s_delay_alu instid0(VALU_DEP_4) | instskip(NEXT) | instid1(VALU_DEP_4)
	v_fma_f64 v[14:15], -v[8:9], v[20:21], v[26:27]
	v_fmac_f64_e32 v[16:17], v[6:7], v[20:21]
	s_delay_alu instid0(VALU_DEP_4) | instskip(NEXT) | instid1(VALU_DEP_4)
	v_fma_f64 v[8:9], -v[8:9], v[24:25], v[28:29]
	v_fmac_f64_e32 v[10:11], v[6:7], v[24:25]
	s_clause 0x1
	global_store_b128 v30, v[14:17], s[0:1] scale_offset
	global_store_b128 v30, v[8:11], s[0:1] offset:16 scale_offset
.LBB248_21:
	s_sendmsg sendmsg(MSG_DEALLOC_VGPRS)
	s_endpgm
	.section	.rodata,"a",@progbits
	.p2align	6, 0x0
	.amdhsa_kernel _ZN9rocsparseL19gebsrmvn_2xn_kernelILj128ELj6ELj4E21rocsparse_complex_numIdEEEvi20rocsparse_direction_NS_24const_host_device_scalarIT2_EEPKiS8_PKS5_SA_S6_PS5_21rocsparse_index_base_b
		.amdhsa_group_segment_fixed_size 0
		.amdhsa_private_segment_fixed_size 0
		.amdhsa_kernarg_size 88
		.amdhsa_user_sgpr_count 2
		.amdhsa_user_sgpr_dispatch_ptr 0
		.amdhsa_user_sgpr_queue_ptr 0
		.amdhsa_user_sgpr_kernarg_segment_ptr 1
		.amdhsa_user_sgpr_dispatch_id 0
		.amdhsa_user_sgpr_kernarg_preload_length 0
		.amdhsa_user_sgpr_kernarg_preload_offset 0
		.amdhsa_user_sgpr_private_segment_size 0
		.amdhsa_wavefront_size32 1
		.amdhsa_uses_dynamic_stack 0
		.amdhsa_enable_private_segment 0
		.amdhsa_system_sgpr_workgroup_id_x 1
		.amdhsa_system_sgpr_workgroup_id_y 0
		.amdhsa_system_sgpr_workgroup_id_z 0
		.amdhsa_system_sgpr_workgroup_info 0
		.amdhsa_system_vgpr_workitem_id 0
		.amdhsa_next_free_vgpr 96
		.amdhsa_next_free_sgpr 14
		.amdhsa_named_barrier_count 0
		.amdhsa_reserve_vcc 1
		.amdhsa_float_round_mode_32 0
		.amdhsa_float_round_mode_16_64 0
		.amdhsa_float_denorm_mode_32 3
		.amdhsa_float_denorm_mode_16_64 3
		.amdhsa_fp16_overflow 0
		.amdhsa_memory_ordered 1
		.amdhsa_forward_progress 1
		.amdhsa_inst_pref_size 20
		.amdhsa_round_robin_scheduling 0
		.amdhsa_exception_fp_ieee_invalid_op 0
		.amdhsa_exception_fp_denorm_src 0
		.amdhsa_exception_fp_ieee_div_zero 0
		.amdhsa_exception_fp_ieee_overflow 0
		.amdhsa_exception_fp_ieee_underflow 0
		.amdhsa_exception_fp_ieee_inexact 0
		.amdhsa_exception_int_div_zero 0
	.end_amdhsa_kernel
	.section	.text._ZN9rocsparseL19gebsrmvn_2xn_kernelILj128ELj6ELj4E21rocsparse_complex_numIdEEEvi20rocsparse_direction_NS_24const_host_device_scalarIT2_EEPKiS8_PKS5_SA_S6_PS5_21rocsparse_index_base_b,"axG",@progbits,_ZN9rocsparseL19gebsrmvn_2xn_kernelILj128ELj6ELj4E21rocsparse_complex_numIdEEEvi20rocsparse_direction_NS_24const_host_device_scalarIT2_EEPKiS8_PKS5_SA_S6_PS5_21rocsparse_index_base_b,comdat
.Lfunc_end248:
	.size	_ZN9rocsparseL19gebsrmvn_2xn_kernelILj128ELj6ELj4E21rocsparse_complex_numIdEEEvi20rocsparse_direction_NS_24const_host_device_scalarIT2_EEPKiS8_PKS5_SA_S6_PS5_21rocsparse_index_base_b, .Lfunc_end248-_ZN9rocsparseL19gebsrmvn_2xn_kernelILj128ELj6ELj4E21rocsparse_complex_numIdEEEvi20rocsparse_direction_NS_24const_host_device_scalarIT2_EEPKiS8_PKS5_SA_S6_PS5_21rocsparse_index_base_b
                                        ; -- End function
	.set _ZN9rocsparseL19gebsrmvn_2xn_kernelILj128ELj6ELj4E21rocsparse_complex_numIdEEEvi20rocsparse_direction_NS_24const_host_device_scalarIT2_EEPKiS8_PKS5_SA_S6_PS5_21rocsparse_index_base_b.num_vgpr, 96
	.set _ZN9rocsparseL19gebsrmvn_2xn_kernelILj128ELj6ELj4E21rocsparse_complex_numIdEEEvi20rocsparse_direction_NS_24const_host_device_scalarIT2_EEPKiS8_PKS5_SA_S6_PS5_21rocsparse_index_base_b.num_agpr, 0
	.set _ZN9rocsparseL19gebsrmvn_2xn_kernelILj128ELj6ELj4E21rocsparse_complex_numIdEEEvi20rocsparse_direction_NS_24const_host_device_scalarIT2_EEPKiS8_PKS5_SA_S6_PS5_21rocsparse_index_base_b.numbered_sgpr, 14
	.set _ZN9rocsparseL19gebsrmvn_2xn_kernelILj128ELj6ELj4E21rocsparse_complex_numIdEEEvi20rocsparse_direction_NS_24const_host_device_scalarIT2_EEPKiS8_PKS5_SA_S6_PS5_21rocsparse_index_base_b.num_named_barrier, 0
	.set _ZN9rocsparseL19gebsrmvn_2xn_kernelILj128ELj6ELj4E21rocsparse_complex_numIdEEEvi20rocsparse_direction_NS_24const_host_device_scalarIT2_EEPKiS8_PKS5_SA_S6_PS5_21rocsparse_index_base_b.private_seg_size, 0
	.set _ZN9rocsparseL19gebsrmvn_2xn_kernelILj128ELj6ELj4E21rocsparse_complex_numIdEEEvi20rocsparse_direction_NS_24const_host_device_scalarIT2_EEPKiS8_PKS5_SA_S6_PS5_21rocsparse_index_base_b.uses_vcc, 1
	.set _ZN9rocsparseL19gebsrmvn_2xn_kernelILj128ELj6ELj4E21rocsparse_complex_numIdEEEvi20rocsparse_direction_NS_24const_host_device_scalarIT2_EEPKiS8_PKS5_SA_S6_PS5_21rocsparse_index_base_b.uses_flat_scratch, 0
	.set _ZN9rocsparseL19gebsrmvn_2xn_kernelILj128ELj6ELj4E21rocsparse_complex_numIdEEEvi20rocsparse_direction_NS_24const_host_device_scalarIT2_EEPKiS8_PKS5_SA_S6_PS5_21rocsparse_index_base_b.has_dyn_sized_stack, 0
	.set _ZN9rocsparseL19gebsrmvn_2xn_kernelILj128ELj6ELj4E21rocsparse_complex_numIdEEEvi20rocsparse_direction_NS_24const_host_device_scalarIT2_EEPKiS8_PKS5_SA_S6_PS5_21rocsparse_index_base_b.has_recursion, 0
	.set _ZN9rocsparseL19gebsrmvn_2xn_kernelILj128ELj6ELj4E21rocsparse_complex_numIdEEEvi20rocsparse_direction_NS_24const_host_device_scalarIT2_EEPKiS8_PKS5_SA_S6_PS5_21rocsparse_index_base_b.has_indirect_call, 0
	.section	.AMDGPU.csdata,"",@progbits
; Kernel info:
; codeLenInByte = 2448
; TotalNumSgprs: 16
; NumVgprs: 96
; ScratchSize: 0
; MemoryBound: 0
; FloatMode: 240
; IeeeMode: 1
; LDSByteSize: 0 bytes/workgroup (compile time only)
; SGPRBlocks: 0
; VGPRBlocks: 5
; NumSGPRsForWavesPerEU: 16
; NumVGPRsForWavesPerEU: 96
; NamedBarCnt: 0
; Occupancy: 10
; WaveLimiterHint : 1
; COMPUTE_PGM_RSRC2:SCRATCH_EN: 0
; COMPUTE_PGM_RSRC2:USER_SGPR: 2
; COMPUTE_PGM_RSRC2:TRAP_HANDLER: 0
; COMPUTE_PGM_RSRC2:TGID_X_EN: 1
; COMPUTE_PGM_RSRC2:TGID_Y_EN: 0
; COMPUTE_PGM_RSRC2:TGID_Z_EN: 0
; COMPUTE_PGM_RSRC2:TIDIG_COMP_CNT: 0
	.section	.text._ZN9rocsparseL19gebsrmvn_2xn_kernelILj128ELj6ELj8E21rocsparse_complex_numIdEEEvi20rocsparse_direction_NS_24const_host_device_scalarIT2_EEPKiS8_PKS5_SA_S6_PS5_21rocsparse_index_base_b,"axG",@progbits,_ZN9rocsparseL19gebsrmvn_2xn_kernelILj128ELj6ELj8E21rocsparse_complex_numIdEEEvi20rocsparse_direction_NS_24const_host_device_scalarIT2_EEPKiS8_PKS5_SA_S6_PS5_21rocsparse_index_base_b,comdat
	.globl	_ZN9rocsparseL19gebsrmvn_2xn_kernelILj128ELj6ELj8E21rocsparse_complex_numIdEEEvi20rocsparse_direction_NS_24const_host_device_scalarIT2_EEPKiS8_PKS5_SA_S6_PS5_21rocsparse_index_base_b ; -- Begin function _ZN9rocsparseL19gebsrmvn_2xn_kernelILj128ELj6ELj8E21rocsparse_complex_numIdEEEvi20rocsparse_direction_NS_24const_host_device_scalarIT2_EEPKiS8_PKS5_SA_S6_PS5_21rocsparse_index_base_b
	.p2align	8
	.type	_ZN9rocsparseL19gebsrmvn_2xn_kernelILj128ELj6ELj8E21rocsparse_complex_numIdEEEvi20rocsparse_direction_NS_24const_host_device_scalarIT2_EEPKiS8_PKS5_SA_S6_PS5_21rocsparse_index_base_b,@function
_ZN9rocsparseL19gebsrmvn_2xn_kernelILj128ELj6ELj8E21rocsparse_complex_numIdEEEvi20rocsparse_direction_NS_24const_host_device_scalarIT2_EEPKiS8_PKS5_SA_S6_PS5_21rocsparse_index_base_b: ; @_ZN9rocsparseL19gebsrmvn_2xn_kernelILj128ELj6ELj8E21rocsparse_complex_numIdEEEvi20rocsparse_direction_NS_24const_host_device_scalarIT2_EEPKiS8_PKS5_SA_S6_PS5_21rocsparse_index_base_b
; %bb.0:
	s_clause 0x1
	s_load_b64 s[12:13], s[0:1], 0x50
	s_load_b64 s[2:3], s[0:1], 0x8
	v_mov_b32_e32 v1, 0
	s_add_nc_u64 s[4:5], s[0:1], 8
	s_load_b64 s[6:7], s[0:1], 0x38
	s_wait_kmcnt 0x0
	s_bitcmp1_b32 s13, 0
	s_cselect_b32 s3, s5, s3
	s_cselect_b32 s2, s4, s2
	flat_load_b128 v[2:5], v1, s[2:3]
	s_wait_xcnt 0x0
	s_add_nc_u64 s[2:3], s[0:1], 56
	s_delay_alu instid0(SALU_CYCLE_1)
	s_cselect_b32 s3, s3, s7
	s_cselect_b32 s2, s2, s6
	flat_load_b128 v[6:9], v1, s[2:3]
	s_wait_loadcnt_dscnt 0x101
	v_cmp_eq_f64_e32 vcc_lo, 0, v[2:3]
	s_wait_xcnt 0x0
	v_cmp_eq_f64_e64 s2, 0, v[4:5]
	s_and_b32 s4, vcc_lo, s2
	s_mov_b32 s2, -1
	s_and_saveexec_b32 s3, s4
	s_cbranch_execz .LBB249_2
; %bb.1:
	s_wait_loadcnt_dscnt 0x0
	v_cmp_neq_f64_e32 vcc_lo, 1.0, v[6:7]
	v_cmp_neq_f64_e64 s2, 0, v[8:9]
	s_or_b32 s2, vcc_lo, s2
	s_delay_alu instid0(SALU_CYCLE_1)
	s_or_not1_b32 s2, s2, exec_lo
.LBB249_2:
	s_or_b32 exec_lo, exec_lo, s3
	s_and_saveexec_b32 s3, s2
	s_cbranch_execz .LBB249_21
; %bb.3:
	s_load_b64 s[2:3], s[0:1], 0x0
	s_bfe_u32 s4, ttmp6, 0x4000c
	s_and_b32 s5, ttmp6, 15
	s_add_co_i32 s4, s4, 1
	s_getreg_b32 s6, hwreg(HW_REG_IB_STS2, 6, 4)
	s_mul_i32 s4, ttmp9, s4
	v_lshrrev_b32_e32 v1, 3, v0
	s_add_co_i32 s5, s5, s4
	s_cmp_eq_u32 s6, 0
	s_cselect_b32 s4, ttmp9, s5
	s_delay_alu instid0(VALU_DEP_1) | instid1(SALU_CYCLE_1)
	v_lshl_or_b32 v10, s4, 4, v1
	s_wait_kmcnt 0x0
	s_delay_alu instid0(VALU_DEP_1)
	v_cmp_gt_i32_e32 vcc_lo, s2, v10
	s_and_b32 exec_lo, exec_lo, vcc_lo
	s_cbranch_execz .LBB249_21
; %bb.4:
	s_load_b256 s[4:11], s[0:1], 0x18
	v_ashrrev_i32_e32 v11, 31, v10
	s_cmp_lg_u32 s3, 0
	s_wait_kmcnt 0x0
	s_delay_alu instid0(VALU_DEP_1)
	v_lshl_add_u64 v[12:13], v[10:11], 2, s[4:5]
	v_and_b32_e32 v11, 7, v0
	global_load_b64 v[12:13], v[12:13], off
	s_wait_loadcnt 0x0
	v_subrev_nc_u32_e32 v0, s12, v12
	v_subrev_nc_u32_e32 v18, s12, v13
	s_delay_alu instid0(VALU_DEP_2) | instskip(NEXT) | instid1(VALU_DEP_1)
	v_add_nc_u32_e32 v19, v0, v11
	v_cmp_lt_i32_e64 s2, v19, v18
	s_cbranch_scc0 .LBB249_10
; %bb.5:
	v_mov_b64_e32 v[0:1], 0
	v_mov_b64_e32 v[14:15], 0
	;; [unrolled: 1-line block ×4, first 2 shown]
	s_and_saveexec_b32 s3, s2
	s_cbranch_execz .LBB249_9
; %bb.6:
	v_mad_u32 v20, v19, 12, 10
	v_mov_b64_e32 v[0:1], 0
	v_mov_b64_e32 v[14:15], 0
	;; [unrolled: 1-line block ×4, first 2 shown]
	v_mov_b32_e32 v21, v19
	s_mov_b32 s4, 0
.LBB249_7:                              ; =>This Inner Loop Header: Depth=1
	global_load_b32 v22, v21, s[6:7] scale_offset
	v_dual_add_nc_u32 v46, -10, v20 :: v_dual_add_nc_u32 v58, -6, v20
	s_wait_xcnt 0x0
	v_dual_add_nc_u32 v21, 8, v21 :: v_dual_add_nc_u32 v71, -4, v20
	s_delay_alu instid0(VALU_DEP_1) | instskip(SKIP_3) | instid1(VALU_DEP_1)
	v_cmp_ge_i32_e32 vcc_lo, v21, v18
	s_or_b32 s4, vcc_lo, s4
	s_wait_loadcnt 0x0
	v_subrev_nc_u32_e32 v22, s12, v22
	v_mul_lo_u32 v74, v22, 6
	s_clause 0x1
	global_load_b128 v[22:25], v46, s[8:9] offset:16 scale_offset
	global_load_b128 v[26:29], v46, s[8:9] scale_offset
	global_load_b128 v[30:33], v74, s[10:11] scale_offset
	s_clause 0x1
	global_load_b128 v[34:37], v46, s[8:9] offset:32 scale_offset
	global_load_b128 v[38:41], v46, s[8:9] offset:48 scale_offset
	;; [unrolled: 1-line block ×4, first 2 shown]
	v_dual_add_nc_u32 v70, 2, v74 :: v_dual_add_nc_u32 v94, -2, v20
	v_add_nc_u32_e32 v95, 4, v74
	global_load_b128 v[50:53], v58, s[8:9] scale_offset
	global_load_b128 v[54:57], v70, s[10:11] scale_offset
	s_clause 0x1
	global_load_b128 v[58:61], v71, s[8:9] scale_offset
	global_load_b128 v[62:65], v71, s[8:9] offset:16 scale_offset
	global_load_b128 v[66:69], v70, s[10:11] offset:16 scale_offset
	s_clause 0x1
	global_load_b128 v[70:73], v94, s[8:9] offset:16 scale_offset
	global_load_b128 v[74:77], v94, s[8:9] scale_offset
	global_load_b128 v[78:81], v95, s[10:11] scale_offset
	s_clause 0x1
	global_load_b128 v[82:85], v20, s[8:9] scale_offset
	global_load_b128 v[86:89], v20, s[8:9] offset:16 scale_offset
	global_load_b128 v[90:93], v95, s[10:11] offset:16 scale_offset
	s_wait_xcnt 0x1
	v_add_nc_u32_e32 v20, 0x60, v20
	s_wait_loadcnt 0xf
	v_fmac_f64_e32 v[14:15], v[26:27], v[30:31]
	v_fmac_f64_e32 v[0:1], v[28:29], v[30:31]
	v_fmac_f64_e32 v[16:17], v[22:23], v[30:31]
	v_fmac_f64_e32 v[12:13], v[24:25], v[30:31]
	s_delay_alu instid0(VALU_DEP_4) | instskip(NEXT) | instid1(VALU_DEP_4)
	v_fma_f64 v[14:15], -v[28:29], v[32:33], v[14:15]
	v_fmac_f64_e32 v[0:1], v[26:27], v[32:33]
	s_delay_alu instid0(VALU_DEP_4) | instskip(NEXT) | instid1(VALU_DEP_4)
	v_fma_f64 v[16:17], -v[24:25], v[32:33], v[16:17]
	v_fmac_f64_e32 v[12:13], v[22:23], v[32:33]
	s_wait_loadcnt 0xc
	s_delay_alu instid0(VALU_DEP_4) | instskip(NEXT) | instid1(VALU_DEP_4)
	v_fmac_f64_e32 v[14:15], v[34:35], v[42:43]
	v_fmac_f64_e32 v[0:1], v[36:37], v[42:43]
	s_delay_alu instid0(VALU_DEP_4) | instskip(NEXT) | instid1(VALU_DEP_4)
	v_fmac_f64_e32 v[16:17], v[38:39], v[42:43]
	v_fmac_f64_e32 v[12:13], v[40:41], v[42:43]
	s_delay_alu instid0(VALU_DEP_4) | instskip(NEXT) | instid1(VALU_DEP_4)
	v_fma_f64 v[14:15], -v[36:37], v[44:45], v[14:15]
	v_fmac_f64_e32 v[0:1], v[34:35], v[44:45]
	s_delay_alu instid0(VALU_DEP_4) | instskip(NEXT) | instid1(VALU_DEP_4)
	v_fma_f64 v[16:17], -v[40:41], v[44:45], v[16:17]
	v_fmac_f64_e32 v[12:13], v[38:39], v[44:45]
	s_wait_loadcnt 0x9
	s_delay_alu instid0(VALU_DEP_4) | instskip(NEXT) | instid1(VALU_DEP_4)
	v_fmac_f64_e32 v[14:15], v[50:51], v[54:55]
	v_fmac_f64_e32 v[0:1], v[52:53], v[54:55]
	s_delay_alu instid0(VALU_DEP_4) | instskip(NEXT) | instid1(VALU_DEP_4)
	v_fmac_f64_e32 v[16:17], v[46:47], v[54:55]
	v_fmac_f64_e32 v[12:13], v[48:49], v[54:55]
	s_delay_alu instid0(VALU_DEP_4) | instskip(NEXT) | instid1(VALU_DEP_4)
	v_fma_f64 v[14:15], -v[52:53], v[56:57], v[14:15]
	v_fmac_f64_e32 v[0:1], v[50:51], v[56:57]
	s_delay_alu instid0(VALU_DEP_4) | instskip(NEXT) | instid1(VALU_DEP_4)
	v_fma_f64 v[16:17], -v[48:49], v[56:57], v[16:17]
	v_fmac_f64_e32 v[12:13], v[46:47], v[56:57]
	s_wait_loadcnt 0x6
	s_delay_alu instid0(VALU_DEP_4) | instskip(NEXT) | instid1(VALU_DEP_4)
	v_fmac_f64_e32 v[14:15], v[58:59], v[66:67]
	v_fmac_f64_e32 v[0:1], v[60:61], v[66:67]
	s_delay_alu instid0(VALU_DEP_4) | instskip(NEXT) | instid1(VALU_DEP_4)
	v_fmac_f64_e32 v[16:17], v[62:63], v[66:67]
	v_fmac_f64_e32 v[12:13], v[64:65], v[66:67]
	s_delay_alu instid0(VALU_DEP_4) | instskip(NEXT) | instid1(VALU_DEP_4)
	v_fma_f64 v[14:15], -v[60:61], v[68:69], v[14:15]
	v_fmac_f64_e32 v[0:1], v[58:59], v[68:69]
	s_delay_alu instid0(VALU_DEP_4) | instskip(NEXT) | instid1(VALU_DEP_4)
	v_fma_f64 v[16:17], -v[64:65], v[68:69], v[16:17]
	v_fmac_f64_e32 v[12:13], v[62:63], v[68:69]
	s_wait_loadcnt 0x3
	s_delay_alu instid0(VALU_DEP_4) | instskip(NEXT) | instid1(VALU_DEP_4)
	v_fmac_f64_e32 v[14:15], v[74:75], v[78:79]
	v_fmac_f64_e32 v[0:1], v[76:77], v[78:79]
	s_delay_alu instid0(VALU_DEP_4) | instskip(NEXT) | instid1(VALU_DEP_4)
	v_fmac_f64_e32 v[16:17], v[70:71], v[78:79]
	v_fmac_f64_e32 v[12:13], v[72:73], v[78:79]
	s_delay_alu instid0(VALU_DEP_4) | instskip(NEXT) | instid1(VALU_DEP_4)
	v_fma_f64 v[14:15], -v[76:77], v[80:81], v[14:15]
	v_fmac_f64_e32 v[0:1], v[74:75], v[80:81]
	s_delay_alu instid0(VALU_DEP_4) | instskip(NEXT) | instid1(VALU_DEP_4)
	v_fma_f64 v[16:17], -v[72:73], v[80:81], v[16:17]
	v_fmac_f64_e32 v[12:13], v[70:71], v[80:81]
	s_wait_loadcnt 0x0
	s_delay_alu instid0(VALU_DEP_4) | instskip(NEXT) | instid1(VALU_DEP_4)
	v_fmac_f64_e32 v[14:15], v[82:83], v[90:91]
	v_fmac_f64_e32 v[0:1], v[84:85], v[90:91]
	s_delay_alu instid0(VALU_DEP_4) | instskip(NEXT) | instid1(VALU_DEP_4)
	v_fmac_f64_e32 v[16:17], v[86:87], v[90:91]
	v_fmac_f64_e32 v[12:13], v[88:89], v[90:91]
	s_delay_alu instid0(VALU_DEP_4) | instskip(NEXT) | instid1(VALU_DEP_4)
	v_fma_f64 v[14:15], -v[84:85], v[92:93], v[14:15]
	v_fmac_f64_e32 v[0:1], v[82:83], v[92:93]
	s_delay_alu instid0(VALU_DEP_4) | instskip(NEXT) | instid1(VALU_DEP_4)
	v_fma_f64 v[16:17], -v[88:89], v[92:93], v[16:17]
	v_fmac_f64_e32 v[12:13], v[86:87], v[92:93]
	s_and_not1_b32 exec_lo, exec_lo, s4
	s_cbranch_execnz .LBB249_7
; %bb.8:
	s_or_b32 exec_lo, exec_lo, s4
.LBB249_9:
	s_delay_alu instid0(SALU_CYCLE_1)
	s_or_b32 exec_lo, exec_lo, s3
	s_cbranch_execz .LBB249_11
	s_branch .LBB249_16
.LBB249_10:
                                        ; implicit-def: $vgpr0_vgpr1
                                        ; implicit-def: $vgpr14_vgpr15
                                        ; implicit-def: $vgpr16_vgpr17
                                        ; implicit-def: $vgpr12_vgpr13
.LBB249_11:
	v_mov_b64_e32 v[0:1], 0
	v_mov_b64_e32 v[14:15], 0
	;; [unrolled: 1-line block ×4, first 2 shown]
	s_and_saveexec_b32 s3, s2
	s_cbranch_execz .LBB249_15
; %bb.12:
	v_mad_u32 v20, v19, 12, 11
	v_mov_b64_e32 v[0:1], 0
	v_mov_b64_e32 v[14:15], 0
	;; [unrolled: 1-line block ×4, first 2 shown]
	s_mov_b32 s2, 0
.LBB249_13:                             ; =>This Inner Loop Header: Depth=1
	global_load_b32 v21, v19, s[6:7] scale_offset
	v_dual_add_nc_u32 v54, -11, v20 :: v_dual_add_nc_u32 v38, -5, v20
	v_dual_add_nc_u32 v46, -4, v20 :: v_dual_add_nc_u32 v62, -3, v20
	;; [unrolled: 1-line block ×3, first 2 shown]
	s_wait_xcnt 0x0
	v_dual_add_nc_u32 v82, -1, v20 :: v_dual_add_nc_u32 v19, 8, v19
	s_delay_alu instid0(VALU_DEP_1) | instskip(SKIP_3) | instid1(VALU_DEP_1)
	v_cmp_ge_i32_e32 vcc_lo, v19, v18
	s_or_b32 s2, vcc_lo, s2
	s_wait_loadcnt 0x0
	v_subrev_nc_u32_e32 v21, s12, v21
	v_mul_lo_u32 v21, v21, 6
	s_clause 0x2
	global_load_b128 v[22:25], v54, s[8:9] offset:16 scale_offset
	global_load_b128 v[26:29], v54, s[8:9] scale_offset
	global_load_b128 v[30:33], v38, s[8:9] scale_offset
	;; [unrolled: 1-line block ×4, first 2 shown]
	global_load_b128 v[42:45], v21, s[10:11] offset:16 scale_offset
	v_add_nc_u32_e32 v70, 2, v21
	s_clause 0x2
	global_load_b128 v[46:49], v54, s[8:9] offset:48 scale_offset
	global_load_b128 v[50:53], v54, s[8:9] offset:32 scale_offset
	global_load_b128 v[54:57], v62, s[8:9] scale_offset
	global_load_b128 v[58:61], v70, s[10:11] scale_offset
	;; [unrolled: 1-line block ×3, first 2 shown]
	global_load_b128 v[66:69], v70, s[10:11] offset:16 scale_offset
	s_wait_xcnt 0x0
	v_dual_add_nc_u32 v70, -7, v20 :: v_dual_add_nc_u32 v21, 4, v21
	s_clause 0x1
	global_load_b128 v[70:73], v70, s[8:9] scale_offset
	global_load_b128 v[74:77], v82, s[8:9] scale_offset
	;; [unrolled: 1-line block ×3, first 2 shown]
	s_clause 0x1
	global_load_b128 v[82:85], v20, s[8:9] scale_offset
	global_load_b128 v[86:89], v94, s[8:9] scale_offset
	global_load_b128 v[90:93], v21, s[10:11] offset:16 scale_offset
	s_wait_xcnt 0x2
	v_add_nc_u32_e32 v20, 0x60, v20
	s_wait_loadcnt 0xe
	v_fmac_f64_e32 v[14:15], v[26:27], v[34:35]
	v_fmac_f64_e32 v[0:1], v[28:29], v[34:35]
	;; [unrolled: 1-line block ×4, first 2 shown]
	s_delay_alu instid0(VALU_DEP_4) | instskip(NEXT) | instid1(VALU_DEP_4)
	v_fma_f64 v[14:15], -v[28:29], v[36:37], v[14:15]
	v_fmac_f64_e32 v[0:1], v[26:27], v[36:37]
	s_delay_alu instid0(VALU_DEP_4) | instskip(NEXT) | instid1(VALU_DEP_4)
	v_fma_f64 v[16:17], -v[32:33], v[36:37], v[16:17]
	v_fmac_f64_e32 v[12:13], v[30:31], v[36:37]
	s_wait_loadcnt 0xc
	s_delay_alu instid0(VALU_DEP_4) | instskip(NEXT) | instid1(VALU_DEP_4)
	v_fmac_f64_e32 v[14:15], v[22:23], v[42:43]
	v_fmac_f64_e32 v[0:1], v[24:25], v[42:43]
	s_delay_alu instid0(VALU_DEP_4) | instskip(NEXT) | instid1(VALU_DEP_4)
	v_fmac_f64_e32 v[16:17], v[38:39], v[42:43]
	v_fmac_f64_e32 v[12:13], v[40:41], v[42:43]
	s_delay_alu instid0(VALU_DEP_4) | instskip(NEXT) | instid1(VALU_DEP_4)
	v_fma_f64 v[14:15], -v[24:25], v[44:45], v[14:15]
	v_fmac_f64_e32 v[0:1], v[22:23], v[44:45]
	s_delay_alu instid0(VALU_DEP_4) | instskip(NEXT) | instid1(VALU_DEP_4)
	v_fma_f64 v[16:17], -v[40:41], v[44:45], v[16:17]
	v_fmac_f64_e32 v[12:13], v[38:39], v[44:45]
	s_wait_loadcnt 0x8
	s_delay_alu instid0(VALU_DEP_4) | instskip(NEXT) | instid1(VALU_DEP_4)
	v_fmac_f64_e32 v[14:15], v[50:51], v[58:59]
	v_fmac_f64_e32 v[0:1], v[52:53], v[58:59]
	s_delay_alu instid0(VALU_DEP_4) | instskip(NEXT) | instid1(VALU_DEP_4)
	v_fmac_f64_e32 v[16:17], v[54:55], v[58:59]
	v_fmac_f64_e32 v[12:13], v[56:57], v[58:59]
	;; [unrolled: 13-line block ×5, first 2 shown]
	s_delay_alu instid0(VALU_DEP_4) | instskip(NEXT) | instid1(VALU_DEP_4)
	v_fma_f64 v[14:15], -v[88:89], v[92:93], v[14:15]
	v_fmac_f64_e32 v[0:1], v[86:87], v[92:93]
	s_delay_alu instid0(VALU_DEP_4) | instskip(NEXT) | instid1(VALU_DEP_4)
	v_fma_f64 v[16:17], -v[84:85], v[92:93], v[16:17]
	v_fmac_f64_e32 v[12:13], v[82:83], v[92:93]
	s_and_not1_b32 exec_lo, exec_lo, s2
	s_cbranch_execnz .LBB249_13
; %bb.14:
	s_or_b32 exec_lo, exec_lo, s2
.LBB249_15:
	s_delay_alu instid0(SALU_CYCLE_1)
	s_or_b32 exec_lo, exec_lo, s3
.LBB249_16:
	v_mbcnt_lo_u32_b32 v28, -1, 0
	s_delay_alu instid0(VALU_DEP_1) | instskip(NEXT) | instid1(VALU_DEP_1)
	v_xor_b32_e32 v18, 4, v28
	v_cmp_gt_i32_e32 vcc_lo, 32, v18
	v_cndmask_b32_e32 v18, v28, v18, vcc_lo
	s_delay_alu instid0(VALU_DEP_1)
	v_lshlrev_b32_e32 v25, 2, v18
	ds_bpermute_b32 v18, v25, v14
	ds_bpermute_b32 v19, v25, v15
	;; [unrolled: 1-line block ×4, first 2 shown]
	s_wait_dscnt 0x2
	v_add_f64_e32 v[14:15], v[14:15], v[18:19]
	s_wait_dscnt 0x0
	v_add_f64_e32 v[18:19], v[0:1], v[20:21]
	ds_bpermute_b32 v22, v25, v16
	ds_bpermute_b32 v23, v25, v17
	;; [unrolled: 1-line block ×4, first 2 shown]
	v_xor_b32_e32 v0, 2, v28
	s_delay_alu instid0(VALU_DEP_1)
	v_cmp_gt_i32_e32 vcc_lo, 32, v0
	v_cndmask_b32_e32 v0, v28, v0, vcc_lo
	s_wait_dscnt 0x2
	v_add_f64_e32 v[20:21], v[16:17], v[22:23]
	s_wait_dscnt 0x0
	v_add_f64_e32 v[22:23], v[12:13], v[24:25]
	v_lshlrev_b32_e32 v16, 2, v0
	ds_bpermute_b32 v0, v16, v14
	ds_bpermute_b32 v1, v16, v15
	;; [unrolled: 1-line block ×8, first 2 shown]
	s_wait_dscnt 0x4
	v_add_f64_e32 v[16:17], v[18:19], v[12:13]
	v_xor_b32_e32 v18, 1, v28
	s_delay_alu instid0(VALU_DEP_1) | instskip(SKIP_3) | instid1(VALU_DEP_2)
	v_cmp_gt_i32_e32 vcc_lo, 32, v18
	v_dual_add_f64 v[0:1], v[14:15], v[0:1] :: v_dual_cndmask_b32 v18, v28, v18, vcc_lo
	v_cmp_eq_u32_e32 vcc_lo, 7, v11
	s_wait_dscnt 0x2
	v_dual_add_f64 v[12:13], v[20:21], v[24:25] :: v_dual_lshlrev_b32 v21, 2, v18
	s_wait_dscnt 0x0
	v_add_f64_e32 v[14:15], v[22:23], v[26:27]
	ds_bpermute_b32 v22, v21, v16
	ds_bpermute_b32 v23, v21, v17
	;; [unrolled: 1-line block ×8, first 2 shown]
	s_and_b32 exec_lo, exec_lo, vcc_lo
	s_cbranch_execz .LBB249_21
; %bb.17:
	v_cmp_eq_f64_e32 vcc_lo, 0, v[6:7]
	v_cmp_eq_f64_e64 s2, 0, v[8:9]
	s_wait_dscnt 0x4
	v_add_f64_e32 v[0:1], v[0:1], v[24:25]
	v_add_f64_e32 v[16:17], v[16:17], v[22:23]
	s_wait_dscnt 0x2
	v_add_f64_e32 v[12:13], v[12:13], v[18:19]
	s_wait_dscnt 0x0
	v_add_f64_e32 v[14:15], v[14:15], v[20:21]
	s_load_b64 s[0:1], s[0:1], 0x48
	s_and_b32 s2, vcc_lo, s2
	s_delay_alu instid0(SALU_CYCLE_1) | instskip(NEXT) | instid1(SALU_CYCLE_1)
	s_and_saveexec_b32 s3, s2
	s_xor_b32 s2, exec_lo, s3
	s_cbranch_execz .LBB249_19
; %bb.18:
	s_delay_alu instid0(VALU_DEP_3) | instskip(SKIP_1) | instid1(VALU_DEP_3)
	v_mul_f64_e64 v[6:7], v[16:17], -v[4:5]
	v_mul_f64_e32 v[8:9], v[2:3], v[16:17]
	v_mul_f64_e64 v[16:17], v[14:15], -v[4:5]
	v_mul_f64_e32 v[18:19], v[2:3], v[14:15]
                                        ; implicit-def: $vgpr14_vgpr15
	s_delay_alu instid0(VALU_DEP_4) | instskip(NEXT) | instid1(VALU_DEP_4)
	v_fmac_f64_e32 v[6:7], v[2:3], v[0:1]
	v_fmac_f64_e32 v[8:9], v[4:5], v[0:1]
	s_delay_alu instid0(VALU_DEP_4) | instskip(NEXT) | instid1(VALU_DEP_4)
	v_fmac_f64_e32 v[16:17], v[2:3], v[12:13]
	v_fmac_f64_e32 v[18:19], v[4:5], v[12:13]
	v_lshlrev_b32_e32 v0, 1, v10
                                        ; implicit-def: $vgpr10
                                        ; implicit-def: $vgpr12_vgpr13
                                        ; implicit-def: $vgpr4_vgpr5
	s_wait_kmcnt 0x0
	s_clause 0x1
	global_store_b128 v0, v[6:9], s[0:1] scale_offset
	global_store_b128 v0, v[16:19], s[0:1] offset:16 scale_offset
                                        ; implicit-def: $vgpr0_vgpr1
                                        ; implicit-def: $vgpr16_vgpr17
                                        ; implicit-def: $vgpr8_vgpr9
.LBB249_19:
	s_wait_xcnt 0x0
	s_and_not1_saveexec_b32 s2, s2
	s_cbranch_execz .LBB249_21
; %bb.20:
	s_delay_alu instid0(VALU_DEP_3) | instskip(SKIP_1) | instid1(VALU_DEP_3)
	v_dual_mul_f64 v[26:27], v[16:17], -v[4:5] :: v_dual_lshlrev_b32 v30, 1, v10
	v_mul_f64_e32 v[16:17], v[2:3], v[16:17]
	v_mul_f64_e64 v[28:29], v[14:15], -v[4:5]
	v_mul_f64_e32 v[10:11], v[2:3], v[14:15]
	s_wait_kmcnt 0x0
	s_clause 0x1
	global_load_b128 v[18:21], v30, s[0:1] scale_offset
	global_load_b128 v[22:25], v30, s[0:1] offset:16 scale_offset
	v_fmac_f64_e32 v[26:27], v[2:3], v[0:1]
	v_fmac_f64_e32 v[16:17], v[4:5], v[0:1]
	;; [unrolled: 1-line block ×4, first 2 shown]
	s_wait_loadcnt 0x1
	s_delay_alu instid0(VALU_DEP_4) | instskip(NEXT) | instid1(VALU_DEP_4)
	v_fmac_f64_e32 v[26:27], v[6:7], v[18:19]
	v_fmac_f64_e32 v[16:17], v[8:9], v[18:19]
	s_wait_loadcnt 0x0
	s_delay_alu instid0(VALU_DEP_4) | instskip(NEXT) | instid1(VALU_DEP_4)
	v_fmac_f64_e32 v[28:29], v[6:7], v[22:23]
	v_fmac_f64_e32 v[10:11], v[8:9], v[22:23]
	s_delay_alu instid0(VALU_DEP_4) | instskip(NEXT) | instid1(VALU_DEP_4)
	v_fma_f64 v[14:15], -v[8:9], v[20:21], v[26:27]
	v_fmac_f64_e32 v[16:17], v[6:7], v[20:21]
	s_delay_alu instid0(VALU_DEP_4) | instskip(NEXT) | instid1(VALU_DEP_4)
	v_fma_f64 v[8:9], -v[8:9], v[24:25], v[28:29]
	v_fmac_f64_e32 v[10:11], v[6:7], v[24:25]
	s_clause 0x1
	global_store_b128 v30, v[14:17], s[0:1] scale_offset
	global_store_b128 v30, v[8:11], s[0:1] offset:16 scale_offset
.LBB249_21:
	s_sendmsg sendmsg(MSG_DEALLOC_VGPRS)
	s_endpgm
	.section	.rodata,"a",@progbits
	.p2align	6, 0x0
	.amdhsa_kernel _ZN9rocsparseL19gebsrmvn_2xn_kernelILj128ELj6ELj8E21rocsparse_complex_numIdEEEvi20rocsparse_direction_NS_24const_host_device_scalarIT2_EEPKiS8_PKS5_SA_S6_PS5_21rocsparse_index_base_b
		.amdhsa_group_segment_fixed_size 0
		.amdhsa_private_segment_fixed_size 0
		.amdhsa_kernarg_size 88
		.amdhsa_user_sgpr_count 2
		.amdhsa_user_sgpr_dispatch_ptr 0
		.amdhsa_user_sgpr_queue_ptr 0
		.amdhsa_user_sgpr_kernarg_segment_ptr 1
		.amdhsa_user_sgpr_dispatch_id 0
		.amdhsa_user_sgpr_kernarg_preload_length 0
		.amdhsa_user_sgpr_kernarg_preload_offset 0
		.amdhsa_user_sgpr_private_segment_size 0
		.amdhsa_wavefront_size32 1
		.amdhsa_uses_dynamic_stack 0
		.amdhsa_enable_private_segment 0
		.amdhsa_system_sgpr_workgroup_id_x 1
		.amdhsa_system_sgpr_workgroup_id_y 0
		.amdhsa_system_sgpr_workgroup_id_z 0
		.amdhsa_system_sgpr_workgroup_info 0
		.amdhsa_system_vgpr_workitem_id 0
		.amdhsa_next_free_vgpr 96
		.amdhsa_next_free_sgpr 14
		.amdhsa_named_barrier_count 0
		.amdhsa_reserve_vcc 1
		.amdhsa_float_round_mode_32 0
		.amdhsa_float_round_mode_16_64 0
		.amdhsa_float_denorm_mode_32 3
		.amdhsa_float_denorm_mode_16_64 3
		.amdhsa_fp16_overflow 0
		.amdhsa_memory_ordered 1
		.amdhsa_forward_progress 1
		.amdhsa_inst_pref_size 21
		.amdhsa_round_robin_scheduling 0
		.amdhsa_exception_fp_ieee_invalid_op 0
		.amdhsa_exception_fp_denorm_src 0
		.amdhsa_exception_fp_ieee_div_zero 0
		.amdhsa_exception_fp_ieee_overflow 0
		.amdhsa_exception_fp_ieee_underflow 0
		.amdhsa_exception_fp_ieee_inexact 0
		.amdhsa_exception_int_div_zero 0
	.end_amdhsa_kernel
	.section	.text._ZN9rocsparseL19gebsrmvn_2xn_kernelILj128ELj6ELj8E21rocsparse_complex_numIdEEEvi20rocsparse_direction_NS_24const_host_device_scalarIT2_EEPKiS8_PKS5_SA_S6_PS5_21rocsparse_index_base_b,"axG",@progbits,_ZN9rocsparseL19gebsrmvn_2xn_kernelILj128ELj6ELj8E21rocsparse_complex_numIdEEEvi20rocsparse_direction_NS_24const_host_device_scalarIT2_EEPKiS8_PKS5_SA_S6_PS5_21rocsparse_index_base_b,comdat
.Lfunc_end249:
	.size	_ZN9rocsparseL19gebsrmvn_2xn_kernelILj128ELj6ELj8E21rocsparse_complex_numIdEEEvi20rocsparse_direction_NS_24const_host_device_scalarIT2_EEPKiS8_PKS5_SA_S6_PS5_21rocsparse_index_base_b, .Lfunc_end249-_ZN9rocsparseL19gebsrmvn_2xn_kernelILj128ELj6ELj8E21rocsparse_complex_numIdEEEvi20rocsparse_direction_NS_24const_host_device_scalarIT2_EEPKiS8_PKS5_SA_S6_PS5_21rocsparse_index_base_b
                                        ; -- End function
	.set _ZN9rocsparseL19gebsrmvn_2xn_kernelILj128ELj6ELj8E21rocsparse_complex_numIdEEEvi20rocsparse_direction_NS_24const_host_device_scalarIT2_EEPKiS8_PKS5_SA_S6_PS5_21rocsparse_index_base_b.num_vgpr, 96
	.set _ZN9rocsparseL19gebsrmvn_2xn_kernelILj128ELj6ELj8E21rocsparse_complex_numIdEEEvi20rocsparse_direction_NS_24const_host_device_scalarIT2_EEPKiS8_PKS5_SA_S6_PS5_21rocsparse_index_base_b.num_agpr, 0
	.set _ZN9rocsparseL19gebsrmvn_2xn_kernelILj128ELj6ELj8E21rocsparse_complex_numIdEEEvi20rocsparse_direction_NS_24const_host_device_scalarIT2_EEPKiS8_PKS5_SA_S6_PS5_21rocsparse_index_base_b.numbered_sgpr, 14
	.set _ZN9rocsparseL19gebsrmvn_2xn_kernelILj128ELj6ELj8E21rocsparse_complex_numIdEEEvi20rocsparse_direction_NS_24const_host_device_scalarIT2_EEPKiS8_PKS5_SA_S6_PS5_21rocsparse_index_base_b.num_named_barrier, 0
	.set _ZN9rocsparseL19gebsrmvn_2xn_kernelILj128ELj6ELj8E21rocsparse_complex_numIdEEEvi20rocsparse_direction_NS_24const_host_device_scalarIT2_EEPKiS8_PKS5_SA_S6_PS5_21rocsparse_index_base_b.private_seg_size, 0
	.set _ZN9rocsparseL19gebsrmvn_2xn_kernelILj128ELj6ELj8E21rocsparse_complex_numIdEEEvi20rocsparse_direction_NS_24const_host_device_scalarIT2_EEPKiS8_PKS5_SA_S6_PS5_21rocsparse_index_base_b.uses_vcc, 1
	.set _ZN9rocsparseL19gebsrmvn_2xn_kernelILj128ELj6ELj8E21rocsparse_complex_numIdEEEvi20rocsparse_direction_NS_24const_host_device_scalarIT2_EEPKiS8_PKS5_SA_S6_PS5_21rocsparse_index_base_b.uses_flat_scratch, 0
	.set _ZN9rocsparseL19gebsrmvn_2xn_kernelILj128ELj6ELj8E21rocsparse_complex_numIdEEEvi20rocsparse_direction_NS_24const_host_device_scalarIT2_EEPKiS8_PKS5_SA_S6_PS5_21rocsparse_index_base_b.has_dyn_sized_stack, 0
	.set _ZN9rocsparseL19gebsrmvn_2xn_kernelILj128ELj6ELj8E21rocsparse_complex_numIdEEEvi20rocsparse_direction_NS_24const_host_device_scalarIT2_EEPKiS8_PKS5_SA_S6_PS5_21rocsparse_index_base_b.has_recursion, 0
	.set _ZN9rocsparseL19gebsrmvn_2xn_kernelILj128ELj6ELj8E21rocsparse_complex_numIdEEEvi20rocsparse_direction_NS_24const_host_device_scalarIT2_EEPKiS8_PKS5_SA_S6_PS5_21rocsparse_index_base_b.has_indirect_call, 0
	.section	.AMDGPU.csdata,"",@progbits
; Kernel info:
; codeLenInByte = 2572
; TotalNumSgprs: 16
; NumVgprs: 96
; ScratchSize: 0
; MemoryBound: 0
; FloatMode: 240
; IeeeMode: 1
; LDSByteSize: 0 bytes/workgroup (compile time only)
; SGPRBlocks: 0
; VGPRBlocks: 5
; NumSGPRsForWavesPerEU: 16
; NumVGPRsForWavesPerEU: 96
; NamedBarCnt: 0
; Occupancy: 10
; WaveLimiterHint : 1
; COMPUTE_PGM_RSRC2:SCRATCH_EN: 0
; COMPUTE_PGM_RSRC2:USER_SGPR: 2
; COMPUTE_PGM_RSRC2:TRAP_HANDLER: 0
; COMPUTE_PGM_RSRC2:TGID_X_EN: 1
; COMPUTE_PGM_RSRC2:TGID_Y_EN: 0
; COMPUTE_PGM_RSRC2:TGID_Z_EN: 0
; COMPUTE_PGM_RSRC2:TIDIG_COMP_CNT: 0
	.section	.text._ZN9rocsparseL19gebsrmvn_2xn_kernelILj128ELj6ELj16E21rocsparse_complex_numIdEEEvi20rocsparse_direction_NS_24const_host_device_scalarIT2_EEPKiS8_PKS5_SA_S6_PS5_21rocsparse_index_base_b,"axG",@progbits,_ZN9rocsparseL19gebsrmvn_2xn_kernelILj128ELj6ELj16E21rocsparse_complex_numIdEEEvi20rocsparse_direction_NS_24const_host_device_scalarIT2_EEPKiS8_PKS5_SA_S6_PS5_21rocsparse_index_base_b,comdat
	.globl	_ZN9rocsparseL19gebsrmvn_2xn_kernelILj128ELj6ELj16E21rocsparse_complex_numIdEEEvi20rocsparse_direction_NS_24const_host_device_scalarIT2_EEPKiS8_PKS5_SA_S6_PS5_21rocsparse_index_base_b ; -- Begin function _ZN9rocsparseL19gebsrmvn_2xn_kernelILj128ELj6ELj16E21rocsparse_complex_numIdEEEvi20rocsparse_direction_NS_24const_host_device_scalarIT2_EEPKiS8_PKS5_SA_S6_PS5_21rocsparse_index_base_b
	.p2align	8
	.type	_ZN9rocsparseL19gebsrmvn_2xn_kernelILj128ELj6ELj16E21rocsparse_complex_numIdEEEvi20rocsparse_direction_NS_24const_host_device_scalarIT2_EEPKiS8_PKS5_SA_S6_PS5_21rocsparse_index_base_b,@function
_ZN9rocsparseL19gebsrmvn_2xn_kernelILj128ELj6ELj16E21rocsparse_complex_numIdEEEvi20rocsparse_direction_NS_24const_host_device_scalarIT2_EEPKiS8_PKS5_SA_S6_PS5_21rocsparse_index_base_b: ; @_ZN9rocsparseL19gebsrmvn_2xn_kernelILj128ELj6ELj16E21rocsparse_complex_numIdEEEvi20rocsparse_direction_NS_24const_host_device_scalarIT2_EEPKiS8_PKS5_SA_S6_PS5_21rocsparse_index_base_b
; %bb.0:
	s_clause 0x1
	s_load_b64 s[12:13], s[0:1], 0x50
	s_load_b64 s[2:3], s[0:1], 0x8
	v_mov_b32_e32 v1, 0
	s_add_nc_u64 s[4:5], s[0:1], 8
	s_load_b64 s[6:7], s[0:1], 0x38
	s_wait_kmcnt 0x0
	s_bitcmp1_b32 s13, 0
	s_cselect_b32 s3, s5, s3
	s_cselect_b32 s2, s4, s2
	flat_load_b128 v[2:5], v1, s[2:3]
	s_wait_xcnt 0x0
	s_add_nc_u64 s[2:3], s[0:1], 56
	s_delay_alu instid0(SALU_CYCLE_1)
	s_cselect_b32 s3, s3, s7
	s_cselect_b32 s2, s2, s6
	flat_load_b128 v[6:9], v1, s[2:3]
	s_wait_loadcnt_dscnt 0x101
	v_cmp_eq_f64_e32 vcc_lo, 0, v[2:3]
	s_wait_xcnt 0x0
	v_cmp_eq_f64_e64 s2, 0, v[4:5]
	s_and_b32 s4, vcc_lo, s2
	s_mov_b32 s2, -1
	s_and_saveexec_b32 s3, s4
	s_cbranch_execz .LBB250_2
; %bb.1:
	s_wait_loadcnt_dscnt 0x0
	v_cmp_neq_f64_e32 vcc_lo, 1.0, v[6:7]
	v_cmp_neq_f64_e64 s2, 0, v[8:9]
	s_or_b32 s2, vcc_lo, s2
	s_delay_alu instid0(SALU_CYCLE_1)
	s_or_not1_b32 s2, s2, exec_lo
.LBB250_2:
	s_or_b32 exec_lo, exec_lo, s3
	s_and_saveexec_b32 s3, s2
	s_cbranch_execz .LBB250_21
; %bb.3:
	s_load_b64 s[2:3], s[0:1], 0x0
	s_bfe_u32 s4, ttmp6, 0x4000c
	s_and_b32 s5, ttmp6, 15
	s_add_co_i32 s4, s4, 1
	s_getreg_b32 s6, hwreg(HW_REG_IB_STS2, 6, 4)
	s_mul_i32 s4, ttmp9, s4
	v_lshrrev_b32_e32 v1, 4, v0
	s_add_co_i32 s5, s5, s4
	s_cmp_eq_u32 s6, 0
	s_cselect_b32 s4, ttmp9, s5
	s_delay_alu instid0(VALU_DEP_1) | instid1(SALU_CYCLE_1)
	v_lshl_or_b32 v10, s4, 3, v1
	s_wait_kmcnt 0x0
	s_delay_alu instid0(VALU_DEP_1)
	v_cmp_gt_i32_e32 vcc_lo, s2, v10
	s_and_b32 exec_lo, exec_lo, vcc_lo
	s_cbranch_execz .LBB250_21
; %bb.4:
	s_load_b256 s[4:11], s[0:1], 0x18
	v_ashrrev_i32_e32 v11, 31, v10
	s_cmp_lg_u32 s3, 0
	s_wait_kmcnt 0x0
	s_delay_alu instid0(VALU_DEP_1)
	v_lshl_add_u64 v[12:13], v[10:11], 2, s[4:5]
	v_and_b32_e32 v11, 15, v0
	global_load_b64 v[12:13], v[12:13], off
	s_wait_loadcnt 0x0
	v_subrev_nc_u32_e32 v0, s12, v12
	v_subrev_nc_u32_e32 v18, s12, v13
	s_delay_alu instid0(VALU_DEP_2) | instskip(NEXT) | instid1(VALU_DEP_1)
	v_add_nc_u32_e32 v19, v0, v11
	v_cmp_lt_i32_e64 s2, v19, v18
	s_cbranch_scc0 .LBB250_10
; %bb.5:
	v_mov_b64_e32 v[0:1], 0
	v_mov_b64_e32 v[14:15], 0
	;; [unrolled: 1-line block ×4, first 2 shown]
	s_and_saveexec_b32 s3, s2
	s_cbranch_execz .LBB250_9
; %bb.6:
	v_mad_u32 v20, v19, 12, 10
	v_mov_b64_e32 v[0:1], 0
	v_mov_b64_e32 v[14:15], 0
	;; [unrolled: 1-line block ×4, first 2 shown]
	v_mov_b32_e32 v21, v19
	s_mov_b32 s4, 0
.LBB250_7:                              ; =>This Inner Loop Header: Depth=1
	global_load_b32 v22, v21, s[6:7] scale_offset
	v_dual_add_nc_u32 v46, -10, v20 :: v_dual_add_nc_u32 v58, -6, v20
	s_wait_xcnt 0x0
	v_dual_add_nc_u32 v21, 16, v21 :: v_dual_add_nc_u32 v71, -4, v20
	s_delay_alu instid0(VALU_DEP_1) | instskip(SKIP_3) | instid1(VALU_DEP_1)
	v_cmp_ge_i32_e32 vcc_lo, v21, v18
	s_or_b32 s4, vcc_lo, s4
	s_wait_loadcnt 0x0
	v_subrev_nc_u32_e32 v22, s12, v22
	v_mul_lo_u32 v74, v22, 6
	s_clause 0x1
	global_load_b128 v[22:25], v46, s[8:9] offset:16 scale_offset
	global_load_b128 v[26:29], v46, s[8:9] scale_offset
	global_load_b128 v[30:33], v74, s[10:11] scale_offset
	s_clause 0x1
	global_load_b128 v[34:37], v46, s[8:9] offset:32 scale_offset
	global_load_b128 v[38:41], v46, s[8:9] offset:48 scale_offset
	;; [unrolled: 1-line block ×4, first 2 shown]
	v_dual_add_nc_u32 v70, 2, v74 :: v_dual_add_nc_u32 v94, -2, v20
	v_add_nc_u32_e32 v95, 4, v74
	global_load_b128 v[50:53], v58, s[8:9] scale_offset
	global_load_b128 v[54:57], v70, s[10:11] scale_offset
	s_clause 0x1
	global_load_b128 v[58:61], v71, s[8:9] scale_offset
	global_load_b128 v[62:65], v71, s[8:9] offset:16 scale_offset
	global_load_b128 v[66:69], v70, s[10:11] offset:16 scale_offset
	s_clause 0x1
	global_load_b128 v[70:73], v94, s[8:9] offset:16 scale_offset
	global_load_b128 v[74:77], v94, s[8:9] scale_offset
	global_load_b128 v[78:81], v95, s[10:11] scale_offset
	s_clause 0x1
	global_load_b128 v[82:85], v20, s[8:9] scale_offset
	global_load_b128 v[86:89], v20, s[8:9] offset:16 scale_offset
	global_load_b128 v[90:93], v95, s[10:11] offset:16 scale_offset
	s_wait_xcnt 0x1
	v_add_nc_u32_e32 v20, 0xc0, v20
	s_wait_loadcnt 0xf
	v_fmac_f64_e32 v[14:15], v[26:27], v[30:31]
	v_fmac_f64_e32 v[0:1], v[28:29], v[30:31]
	;; [unrolled: 1-line block ×4, first 2 shown]
	s_delay_alu instid0(VALU_DEP_4) | instskip(NEXT) | instid1(VALU_DEP_4)
	v_fma_f64 v[14:15], -v[28:29], v[32:33], v[14:15]
	v_fmac_f64_e32 v[0:1], v[26:27], v[32:33]
	s_delay_alu instid0(VALU_DEP_4) | instskip(NEXT) | instid1(VALU_DEP_4)
	v_fma_f64 v[16:17], -v[24:25], v[32:33], v[16:17]
	v_fmac_f64_e32 v[12:13], v[22:23], v[32:33]
	s_wait_loadcnt 0xc
	s_delay_alu instid0(VALU_DEP_4) | instskip(NEXT) | instid1(VALU_DEP_4)
	v_fmac_f64_e32 v[14:15], v[34:35], v[42:43]
	v_fmac_f64_e32 v[0:1], v[36:37], v[42:43]
	s_delay_alu instid0(VALU_DEP_4) | instskip(NEXT) | instid1(VALU_DEP_4)
	v_fmac_f64_e32 v[16:17], v[38:39], v[42:43]
	v_fmac_f64_e32 v[12:13], v[40:41], v[42:43]
	s_delay_alu instid0(VALU_DEP_4) | instskip(NEXT) | instid1(VALU_DEP_4)
	v_fma_f64 v[14:15], -v[36:37], v[44:45], v[14:15]
	v_fmac_f64_e32 v[0:1], v[34:35], v[44:45]
	s_delay_alu instid0(VALU_DEP_4) | instskip(NEXT) | instid1(VALU_DEP_4)
	v_fma_f64 v[16:17], -v[40:41], v[44:45], v[16:17]
	v_fmac_f64_e32 v[12:13], v[38:39], v[44:45]
	s_wait_loadcnt 0x9
	s_delay_alu instid0(VALU_DEP_4) | instskip(NEXT) | instid1(VALU_DEP_4)
	v_fmac_f64_e32 v[14:15], v[50:51], v[54:55]
	v_fmac_f64_e32 v[0:1], v[52:53], v[54:55]
	s_delay_alu instid0(VALU_DEP_4) | instskip(NEXT) | instid1(VALU_DEP_4)
	v_fmac_f64_e32 v[16:17], v[46:47], v[54:55]
	v_fmac_f64_e32 v[12:13], v[48:49], v[54:55]
	;; [unrolled: 13-line block ×5, first 2 shown]
	s_delay_alu instid0(VALU_DEP_4) | instskip(NEXT) | instid1(VALU_DEP_4)
	v_fma_f64 v[14:15], -v[84:85], v[92:93], v[14:15]
	v_fmac_f64_e32 v[0:1], v[82:83], v[92:93]
	s_delay_alu instid0(VALU_DEP_4) | instskip(NEXT) | instid1(VALU_DEP_4)
	v_fma_f64 v[16:17], -v[88:89], v[92:93], v[16:17]
	v_fmac_f64_e32 v[12:13], v[86:87], v[92:93]
	s_and_not1_b32 exec_lo, exec_lo, s4
	s_cbranch_execnz .LBB250_7
; %bb.8:
	s_or_b32 exec_lo, exec_lo, s4
.LBB250_9:
	s_delay_alu instid0(SALU_CYCLE_1)
	s_or_b32 exec_lo, exec_lo, s3
	s_cbranch_execz .LBB250_11
	s_branch .LBB250_16
.LBB250_10:
                                        ; implicit-def: $vgpr0_vgpr1
                                        ; implicit-def: $vgpr14_vgpr15
                                        ; implicit-def: $vgpr16_vgpr17
                                        ; implicit-def: $vgpr12_vgpr13
.LBB250_11:
	v_mov_b64_e32 v[0:1], 0
	v_mov_b64_e32 v[14:15], 0
	;; [unrolled: 1-line block ×4, first 2 shown]
	s_and_saveexec_b32 s3, s2
	s_cbranch_execz .LBB250_15
; %bb.12:
	v_mad_u32 v20, v19, 12, 11
	v_mov_b64_e32 v[0:1], 0
	v_mov_b64_e32 v[14:15], 0
	;; [unrolled: 1-line block ×4, first 2 shown]
	s_mov_b32 s2, 0
.LBB250_13:                             ; =>This Inner Loop Header: Depth=1
	global_load_b32 v21, v19, s[6:7] scale_offset
	v_dual_add_nc_u32 v54, -11, v20 :: v_dual_add_nc_u32 v38, -5, v20
	v_dual_add_nc_u32 v46, -4, v20 :: v_dual_add_nc_u32 v62, -3, v20
	;; [unrolled: 1-line block ×3, first 2 shown]
	s_wait_xcnt 0x0
	v_dual_add_nc_u32 v82, -1, v20 :: v_dual_add_nc_u32 v19, 16, v19
	s_delay_alu instid0(VALU_DEP_1) | instskip(SKIP_3) | instid1(VALU_DEP_1)
	v_cmp_ge_i32_e32 vcc_lo, v19, v18
	s_or_b32 s2, vcc_lo, s2
	s_wait_loadcnt 0x0
	v_subrev_nc_u32_e32 v21, s12, v21
	v_mul_lo_u32 v21, v21, 6
	s_clause 0x2
	global_load_b128 v[22:25], v54, s[8:9] offset:16 scale_offset
	global_load_b128 v[26:29], v54, s[8:9] scale_offset
	global_load_b128 v[30:33], v38, s[8:9] scale_offset
	;; [unrolled: 1-line block ×4, first 2 shown]
	global_load_b128 v[42:45], v21, s[10:11] offset:16 scale_offset
	v_add_nc_u32_e32 v70, 2, v21
	s_clause 0x2
	global_load_b128 v[46:49], v54, s[8:9] offset:48 scale_offset
	global_load_b128 v[50:53], v54, s[8:9] offset:32 scale_offset
	global_load_b128 v[54:57], v62, s[8:9] scale_offset
	global_load_b128 v[58:61], v70, s[10:11] scale_offset
	;; [unrolled: 1-line block ×3, first 2 shown]
	global_load_b128 v[66:69], v70, s[10:11] offset:16 scale_offset
	s_wait_xcnt 0x0
	v_dual_add_nc_u32 v70, -7, v20 :: v_dual_add_nc_u32 v21, 4, v21
	s_clause 0x1
	global_load_b128 v[70:73], v70, s[8:9] scale_offset
	global_load_b128 v[74:77], v82, s[8:9] scale_offset
	;; [unrolled: 1-line block ×3, first 2 shown]
	s_clause 0x1
	global_load_b128 v[82:85], v20, s[8:9] scale_offset
	global_load_b128 v[86:89], v94, s[8:9] scale_offset
	global_load_b128 v[90:93], v21, s[10:11] offset:16 scale_offset
	s_wait_xcnt 0x2
	v_add_nc_u32_e32 v20, 0xc0, v20
	s_wait_loadcnt 0xe
	v_fmac_f64_e32 v[14:15], v[26:27], v[34:35]
	v_fmac_f64_e32 v[0:1], v[28:29], v[34:35]
	;; [unrolled: 1-line block ×4, first 2 shown]
	s_delay_alu instid0(VALU_DEP_4) | instskip(NEXT) | instid1(VALU_DEP_4)
	v_fma_f64 v[14:15], -v[28:29], v[36:37], v[14:15]
	v_fmac_f64_e32 v[0:1], v[26:27], v[36:37]
	s_delay_alu instid0(VALU_DEP_4) | instskip(NEXT) | instid1(VALU_DEP_4)
	v_fma_f64 v[16:17], -v[32:33], v[36:37], v[16:17]
	v_fmac_f64_e32 v[12:13], v[30:31], v[36:37]
	s_wait_loadcnt 0xc
	s_delay_alu instid0(VALU_DEP_4) | instskip(NEXT) | instid1(VALU_DEP_4)
	v_fmac_f64_e32 v[14:15], v[22:23], v[42:43]
	v_fmac_f64_e32 v[0:1], v[24:25], v[42:43]
	s_delay_alu instid0(VALU_DEP_4) | instskip(NEXT) | instid1(VALU_DEP_4)
	v_fmac_f64_e32 v[16:17], v[38:39], v[42:43]
	v_fmac_f64_e32 v[12:13], v[40:41], v[42:43]
	s_delay_alu instid0(VALU_DEP_4) | instskip(NEXT) | instid1(VALU_DEP_4)
	v_fma_f64 v[14:15], -v[24:25], v[44:45], v[14:15]
	v_fmac_f64_e32 v[0:1], v[22:23], v[44:45]
	s_delay_alu instid0(VALU_DEP_4) | instskip(NEXT) | instid1(VALU_DEP_4)
	v_fma_f64 v[16:17], -v[40:41], v[44:45], v[16:17]
	v_fmac_f64_e32 v[12:13], v[38:39], v[44:45]
	s_wait_loadcnt 0x8
	s_delay_alu instid0(VALU_DEP_4) | instskip(NEXT) | instid1(VALU_DEP_4)
	v_fmac_f64_e32 v[14:15], v[50:51], v[58:59]
	v_fmac_f64_e32 v[0:1], v[52:53], v[58:59]
	s_delay_alu instid0(VALU_DEP_4) | instskip(NEXT) | instid1(VALU_DEP_4)
	v_fmac_f64_e32 v[16:17], v[54:55], v[58:59]
	v_fmac_f64_e32 v[12:13], v[56:57], v[58:59]
	;; [unrolled: 13-line block ×5, first 2 shown]
	s_delay_alu instid0(VALU_DEP_4) | instskip(NEXT) | instid1(VALU_DEP_4)
	v_fma_f64 v[14:15], -v[88:89], v[92:93], v[14:15]
	v_fmac_f64_e32 v[0:1], v[86:87], v[92:93]
	s_delay_alu instid0(VALU_DEP_4) | instskip(NEXT) | instid1(VALU_DEP_4)
	v_fma_f64 v[16:17], -v[84:85], v[92:93], v[16:17]
	v_fmac_f64_e32 v[12:13], v[82:83], v[92:93]
	s_and_not1_b32 exec_lo, exec_lo, s2
	s_cbranch_execnz .LBB250_13
; %bb.14:
	s_or_b32 exec_lo, exec_lo, s2
.LBB250_15:
	s_delay_alu instid0(SALU_CYCLE_1)
	s_or_b32 exec_lo, exec_lo, s3
.LBB250_16:
	v_mbcnt_lo_u32_b32 v28, -1, 0
	s_delay_alu instid0(VALU_DEP_1) | instskip(NEXT) | instid1(VALU_DEP_1)
	v_xor_b32_e32 v18, 8, v28
	v_cmp_gt_i32_e32 vcc_lo, 32, v18
	v_cndmask_b32_e32 v18, v28, v18, vcc_lo
	s_delay_alu instid0(VALU_DEP_1)
	v_lshlrev_b32_e32 v25, 2, v18
	ds_bpermute_b32 v20, v25, v0
	ds_bpermute_b32 v21, v25, v1
	s_wait_dscnt 0x0
	v_add_f64_e32 v[0:1], v[0:1], v[20:21]
	ds_bpermute_b32 v18, v25, v14
	ds_bpermute_b32 v19, v25, v15
	;; [unrolled: 1-line block ×6, first 2 shown]
	s_wait_dscnt 0x4
	v_dual_add_f64 v[14:15], v[14:15], v[18:19] :: v_dual_bitop2_b32 v18, 4, v28 bitop3:0x14
	s_wait_dscnt 0x2
	v_add_f64_e32 v[16:17], v[16:17], v[22:23]
	s_delay_alu instid0(VALU_DEP_2) | instskip(SKIP_2) | instid1(VALU_DEP_1)
	v_cmp_gt_i32_e32 vcc_lo, 32, v18
	v_cndmask_b32_e32 v18, v28, v18, vcc_lo
	s_wait_dscnt 0x0
	v_dual_add_f64 v[12:13], v[12:13], v[24:25] :: v_dual_lshlrev_b32 v25, 2, v18
	ds_bpermute_b32 v20, v25, v0
	ds_bpermute_b32 v21, v25, v1
	;; [unrolled: 1-line block ×8, first 2 shown]
	s_wait_dscnt 0x4
	v_add_f64_e32 v[14:15], v[14:15], v[18:19]
	v_add_f64_e32 v[18:19], v[0:1], v[20:21]
	s_wait_dscnt 0x2
	v_dual_add_f64 v[20:21], v[16:17], v[22:23] :: v_dual_bitop2_b32 v0, 2, v28 bitop3:0x14
	s_delay_alu instid0(VALU_DEP_1) | instskip(SKIP_3) | instid1(VALU_DEP_1)
	v_cmp_gt_i32_e32 vcc_lo, 32, v0
	s_wait_dscnt 0x0
	v_add_f64_e32 v[22:23], v[12:13], v[24:25]
	v_cndmask_b32_e32 v0, v28, v0, vcc_lo
	v_lshlrev_b32_e32 v16, 2, v0
	ds_bpermute_b32 v0, v16, v14
	ds_bpermute_b32 v12, v16, v18
	;; [unrolled: 1-line block ×8, first 2 shown]
	s_wait_dscnt 0x5
	v_add_f64_e32 v[16:17], v[18:19], v[12:13]
	v_xor_b32_e32 v18, 1, v28
	s_wait_dscnt 0x2
	v_add_f64_e32 v[12:13], v[20:21], v[24:25]
	s_delay_alu instid0(VALU_DEP_2) | instskip(SKIP_2) | instid1(VALU_DEP_2)
	v_cmp_gt_i32_e32 vcc_lo, 32, v18
	v_dual_add_f64 v[0:1], v[14:15], v[0:1] :: v_dual_cndmask_b32 v18, v28, v18, vcc_lo
	v_cmp_eq_u32_e32 vcc_lo, 15, v11
	v_lshlrev_b32_e32 v21, 2, v18
	s_wait_dscnt 0x0
	v_add_f64_e32 v[14:15], v[22:23], v[26:27]
	ds_bpermute_b32 v22, v21, v16
	ds_bpermute_b32 v23, v21, v17
	;; [unrolled: 1-line block ×8, first 2 shown]
	s_and_b32 exec_lo, exec_lo, vcc_lo
	s_cbranch_execz .LBB250_21
; %bb.17:
	v_cmp_eq_f64_e32 vcc_lo, 0, v[6:7]
	v_cmp_eq_f64_e64 s2, 0, v[8:9]
	s_wait_dscnt 0x2
	v_add_f64_e32 v[0:1], v[0:1], v[24:25]
	v_add_f64_e32 v[16:17], v[16:17], v[22:23]
	;; [unrolled: 1-line block ×3, first 2 shown]
	s_wait_dscnt 0x0
	v_add_f64_e32 v[14:15], v[14:15], v[20:21]
	s_load_b64 s[0:1], s[0:1], 0x48
	s_and_b32 s2, vcc_lo, s2
	s_delay_alu instid0(SALU_CYCLE_1) | instskip(NEXT) | instid1(SALU_CYCLE_1)
	s_and_saveexec_b32 s3, s2
	s_xor_b32 s2, exec_lo, s3
	s_cbranch_execz .LBB250_19
; %bb.18:
	s_delay_alu instid0(VALU_DEP_3) | instskip(SKIP_1) | instid1(VALU_DEP_3)
	v_mul_f64_e64 v[6:7], v[16:17], -v[4:5]
	v_mul_f64_e32 v[8:9], v[2:3], v[16:17]
	v_mul_f64_e64 v[16:17], v[14:15], -v[4:5]
	v_mul_f64_e32 v[18:19], v[2:3], v[14:15]
                                        ; implicit-def: $vgpr14_vgpr15
	s_delay_alu instid0(VALU_DEP_4) | instskip(NEXT) | instid1(VALU_DEP_4)
	v_fmac_f64_e32 v[6:7], v[2:3], v[0:1]
	v_fmac_f64_e32 v[8:9], v[4:5], v[0:1]
	s_delay_alu instid0(VALU_DEP_4) | instskip(NEXT) | instid1(VALU_DEP_4)
	v_fmac_f64_e32 v[16:17], v[2:3], v[12:13]
	v_fmac_f64_e32 v[18:19], v[4:5], v[12:13]
	v_lshlrev_b32_e32 v0, 1, v10
                                        ; implicit-def: $vgpr10
                                        ; implicit-def: $vgpr12_vgpr13
                                        ; implicit-def: $vgpr4_vgpr5
	s_wait_kmcnt 0x0
	s_clause 0x1
	global_store_b128 v0, v[6:9], s[0:1] scale_offset
	global_store_b128 v0, v[16:19], s[0:1] offset:16 scale_offset
                                        ; implicit-def: $vgpr0_vgpr1
                                        ; implicit-def: $vgpr16_vgpr17
                                        ; implicit-def: $vgpr8_vgpr9
.LBB250_19:
	s_wait_xcnt 0x0
	s_and_not1_saveexec_b32 s2, s2
	s_cbranch_execz .LBB250_21
; %bb.20:
	s_delay_alu instid0(VALU_DEP_3) | instskip(SKIP_1) | instid1(VALU_DEP_3)
	v_dual_mul_f64 v[26:27], v[16:17], -v[4:5] :: v_dual_lshlrev_b32 v30, 1, v10
	v_mul_f64_e32 v[16:17], v[2:3], v[16:17]
	v_mul_f64_e64 v[28:29], v[14:15], -v[4:5]
	v_mul_f64_e32 v[10:11], v[2:3], v[14:15]
	s_wait_kmcnt 0x0
	s_clause 0x1
	global_load_b128 v[18:21], v30, s[0:1] scale_offset
	global_load_b128 v[22:25], v30, s[0:1] offset:16 scale_offset
	v_fmac_f64_e32 v[26:27], v[2:3], v[0:1]
	v_fmac_f64_e32 v[16:17], v[4:5], v[0:1]
	;; [unrolled: 1-line block ×4, first 2 shown]
	s_wait_loadcnt 0x1
	s_delay_alu instid0(VALU_DEP_4) | instskip(NEXT) | instid1(VALU_DEP_4)
	v_fmac_f64_e32 v[26:27], v[6:7], v[18:19]
	v_fmac_f64_e32 v[16:17], v[8:9], v[18:19]
	s_wait_loadcnt 0x0
	s_delay_alu instid0(VALU_DEP_4) | instskip(NEXT) | instid1(VALU_DEP_4)
	v_fmac_f64_e32 v[28:29], v[6:7], v[22:23]
	v_fmac_f64_e32 v[10:11], v[8:9], v[22:23]
	s_delay_alu instid0(VALU_DEP_4) | instskip(NEXT) | instid1(VALU_DEP_4)
	v_fma_f64 v[14:15], -v[8:9], v[20:21], v[26:27]
	v_fmac_f64_e32 v[16:17], v[6:7], v[20:21]
	s_delay_alu instid0(VALU_DEP_4) | instskip(NEXT) | instid1(VALU_DEP_4)
	v_fma_f64 v[8:9], -v[8:9], v[24:25], v[28:29]
	v_fmac_f64_e32 v[10:11], v[6:7], v[24:25]
	s_clause 0x1
	global_store_b128 v30, v[14:17], s[0:1] scale_offset
	global_store_b128 v30, v[8:11], s[0:1] offset:16 scale_offset
.LBB250_21:
	s_sendmsg sendmsg(MSG_DEALLOC_VGPRS)
	s_endpgm
	.section	.rodata,"a",@progbits
	.p2align	6, 0x0
	.amdhsa_kernel _ZN9rocsparseL19gebsrmvn_2xn_kernelILj128ELj6ELj16E21rocsparse_complex_numIdEEEvi20rocsparse_direction_NS_24const_host_device_scalarIT2_EEPKiS8_PKS5_SA_S6_PS5_21rocsparse_index_base_b
		.amdhsa_group_segment_fixed_size 0
		.amdhsa_private_segment_fixed_size 0
		.amdhsa_kernarg_size 88
		.amdhsa_user_sgpr_count 2
		.amdhsa_user_sgpr_dispatch_ptr 0
		.amdhsa_user_sgpr_queue_ptr 0
		.amdhsa_user_sgpr_kernarg_segment_ptr 1
		.amdhsa_user_sgpr_dispatch_id 0
		.amdhsa_user_sgpr_kernarg_preload_length 0
		.amdhsa_user_sgpr_kernarg_preload_offset 0
		.amdhsa_user_sgpr_private_segment_size 0
		.amdhsa_wavefront_size32 1
		.amdhsa_uses_dynamic_stack 0
		.amdhsa_enable_private_segment 0
		.amdhsa_system_sgpr_workgroup_id_x 1
		.amdhsa_system_sgpr_workgroup_id_y 0
		.amdhsa_system_sgpr_workgroup_id_z 0
		.amdhsa_system_sgpr_workgroup_info 0
		.amdhsa_system_vgpr_workitem_id 0
		.amdhsa_next_free_vgpr 96
		.amdhsa_next_free_sgpr 14
		.amdhsa_named_barrier_count 0
		.amdhsa_reserve_vcc 1
		.amdhsa_float_round_mode_32 0
		.amdhsa_float_round_mode_16_64 0
		.amdhsa_float_denorm_mode_32 3
		.amdhsa_float_denorm_mode_16_64 3
		.amdhsa_fp16_overflow 0
		.amdhsa_memory_ordered 1
		.amdhsa_forward_progress 1
		.amdhsa_inst_pref_size 21
		.amdhsa_round_robin_scheduling 0
		.amdhsa_exception_fp_ieee_invalid_op 0
		.amdhsa_exception_fp_denorm_src 0
		.amdhsa_exception_fp_ieee_div_zero 0
		.amdhsa_exception_fp_ieee_overflow 0
		.amdhsa_exception_fp_ieee_underflow 0
		.amdhsa_exception_fp_ieee_inexact 0
		.amdhsa_exception_int_div_zero 0
	.end_amdhsa_kernel
	.section	.text._ZN9rocsparseL19gebsrmvn_2xn_kernelILj128ELj6ELj16E21rocsparse_complex_numIdEEEvi20rocsparse_direction_NS_24const_host_device_scalarIT2_EEPKiS8_PKS5_SA_S6_PS5_21rocsparse_index_base_b,"axG",@progbits,_ZN9rocsparseL19gebsrmvn_2xn_kernelILj128ELj6ELj16E21rocsparse_complex_numIdEEEvi20rocsparse_direction_NS_24const_host_device_scalarIT2_EEPKiS8_PKS5_SA_S6_PS5_21rocsparse_index_base_b,comdat
.Lfunc_end250:
	.size	_ZN9rocsparseL19gebsrmvn_2xn_kernelILj128ELj6ELj16E21rocsparse_complex_numIdEEEvi20rocsparse_direction_NS_24const_host_device_scalarIT2_EEPKiS8_PKS5_SA_S6_PS5_21rocsparse_index_base_b, .Lfunc_end250-_ZN9rocsparseL19gebsrmvn_2xn_kernelILj128ELj6ELj16E21rocsparse_complex_numIdEEEvi20rocsparse_direction_NS_24const_host_device_scalarIT2_EEPKiS8_PKS5_SA_S6_PS5_21rocsparse_index_base_b
                                        ; -- End function
	.set _ZN9rocsparseL19gebsrmvn_2xn_kernelILj128ELj6ELj16E21rocsparse_complex_numIdEEEvi20rocsparse_direction_NS_24const_host_device_scalarIT2_EEPKiS8_PKS5_SA_S6_PS5_21rocsparse_index_base_b.num_vgpr, 96
	.set _ZN9rocsparseL19gebsrmvn_2xn_kernelILj128ELj6ELj16E21rocsparse_complex_numIdEEEvi20rocsparse_direction_NS_24const_host_device_scalarIT2_EEPKiS8_PKS5_SA_S6_PS5_21rocsparse_index_base_b.num_agpr, 0
	.set _ZN9rocsparseL19gebsrmvn_2xn_kernelILj128ELj6ELj16E21rocsparse_complex_numIdEEEvi20rocsparse_direction_NS_24const_host_device_scalarIT2_EEPKiS8_PKS5_SA_S6_PS5_21rocsparse_index_base_b.numbered_sgpr, 14
	.set _ZN9rocsparseL19gebsrmvn_2xn_kernelILj128ELj6ELj16E21rocsparse_complex_numIdEEEvi20rocsparse_direction_NS_24const_host_device_scalarIT2_EEPKiS8_PKS5_SA_S6_PS5_21rocsparse_index_base_b.num_named_barrier, 0
	.set _ZN9rocsparseL19gebsrmvn_2xn_kernelILj128ELj6ELj16E21rocsparse_complex_numIdEEEvi20rocsparse_direction_NS_24const_host_device_scalarIT2_EEPKiS8_PKS5_SA_S6_PS5_21rocsparse_index_base_b.private_seg_size, 0
	.set _ZN9rocsparseL19gebsrmvn_2xn_kernelILj128ELj6ELj16E21rocsparse_complex_numIdEEEvi20rocsparse_direction_NS_24const_host_device_scalarIT2_EEPKiS8_PKS5_SA_S6_PS5_21rocsparse_index_base_b.uses_vcc, 1
	.set _ZN9rocsparseL19gebsrmvn_2xn_kernelILj128ELj6ELj16E21rocsparse_complex_numIdEEEvi20rocsparse_direction_NS_24const_host_device_scalarIT2_EEPKiS8_PKS5_SA_S6_PS5_21rocsparse_index_base_b.uses_flat_scratch, 0
	.set _ZN9rocsparseL19gebsrmvn_2xn_kernelILj128ELj6ELj16E21rocsparse_complex_numIdEEEvi20rocsparse_direction_NS_24const_host_device_scalarIT2_EEPKiS8_PKS5_SA_S6_PS5_21rocsparse_index_base_b.has_dyn_sized_stack, 0
	.set _ZN9rocsparseL19gebsrmvn_2xn_kernelILj128ELj6ELj16E21rocsparse_complex_numIdEEEvi20rocsparse_direction_NS_24const_host_device_scalarIT2_EEPKiS8_PKS5_SA_S6_PS5_21rocsparse_index_base_b.has_recursion, 0
	.set _ZN9rocsparseL19gebsrmvn_2xn_kernelILj128ELj6ELj16E21rocsparse_complex_numIdEEEvi20rocsparse_direction_NS_24const_host_device_scalarIT2_EEPKiS8_PKS5_SA_S6_PS5_21rocsparse_index_base_b.has_indirect_call, 0
	.section	.AMDGPU.csdata,"",@progbits
; Kernel info:
; codeLenInByte = 2688
; TotalNumSgprs: 16
; NumVgprs: 96
; ScratchSize: 0
; MemoryBound: 0
; FloatMode: 240
; IeeeMode: 1
; LDSByteSize: 0 bytes/workgroup (compile time only)
; SGPRBlocks: 0
; VGPRBlocks: 5
; NumSGPRsForWavesPerEU: 16
; NumVGPRsForWavesPerEU: 96
; NamedBarCnt: 0
; Occupancy: 10
; WaveLimiterHint : 1
; COMPUTE_PGM_RSRC2:SCRATCH_EN: 0
; COMPUTE_PGM_RSRC2:USER_SGPR: 2
; COMPUTE_PGM_RSRC2:TRAP_HANDLER: 0
; COMPUTE_PGM_RSRC2:TGID_X_EN: 1
; COMPUTE_PGM_RSRC2:TGID_Y_EN: 0
; COMPUTE_PGM_RSRC2:TGID_Z_EN: 0
; COMPUTE_PGM_RSRC2:TIDIG_COMP_CNT: 0
	.section	.text._ZN9rocsparseL19gebsrmvn_2xn_kernelILj128ELj6ELj32E21rocsparse_complex_numIdEEEvi20rocsparse_direction_NS_24const_host_device_scalarIT2_EEPKiS8_PKS5_SA_S6_PS5_21rocsparse_index_base_b,"axG",@progbits,_ZN9rocsparseL19gebsrmvn_2xn_kernelILj128ELj6ELj32E21rocsparse_complex_numIdEEEvi20rocsparse_direction_NS_24const_host_device_scalarIT2_EEPKiS8_PKS5_SA_S6_PS5_21rocsparse_index_base_b,comdat
	.globl	_ZN9rocsparseL19gebsrmvn_2xn_kernelILj128ELj6ELj32E21rocsparse_complex_numIdEEEvi20rocsparse_direction_NS_24const_host_device_scalarIT2_EEPKiS8_PKS5_SA_S6_PS5_21rocsparse_index_base_b ; -- Begin function _ZN9rocsparseL19gebsrmvn_2xn_kernelILj128ELj6ELj32E21rocsparse_complex_numIdEEEvi20rocsparse_direction_NS_24const_host_device_scalarIT2_EEPKiS8_PKS5_SA_S6_PS5_21rocsparse_index_base_b
	.p2align	8
	.type	_ZN9rocsparseL19gebsrmvn_2xn_kernelILj128ELj6ELj32E21rocsparse_complex_numIdEEEvi20rocsparse_direction_NS_24const_host_device_scalarIT2_EEPKiS8_PKS5_SA_S6_PS5_21rocsparse_index_base_b,@function
_ZN9rocsparseL19gebsrmvn_2xn_kernelILj128ELj6ELj32E21rocsparse_complex_numIdEEEvi20rocsparse_direction_NS_24const_host_device_scalarIT2_EEPKiS8_PKS5_SA_S6_PS5_21rocsparse_index_base_b: ; @_ZN9rocsparseL19gebsrmvn_2xn_kernelILj128ELj6ELj32E21rocsparse_complex_numIdEEEvi20rocsparse_direction_NS_24const_host_device_scalarIT2_EEPKiS8_PKS5_SA_S6_PS5_21rocsparse_index_base_b
; %bb.0:
	s_clause 0x1
	s_load_b64 s[12:13], s[0:1], 0x50
	s_load_b64 s[2:3], s[0:1], 0x8
	v_mov_b32_e32 v1, 0
	s_add_nc_u64 s[4:5], s[0:1], 8
	s_load_b64 s[6:7], s[0:1], 0x38
	s_wait_kmcnt 0x0
	s_bitcmp1_b32 s13, 0
	s_cselect_b32 s3, s5, s3
	s_cselect_b32 s2, s4, s2
	flat_load_b128 v[2:5], v1, s[2:3]
	s_wait_xcnt 0x0
	s_add_nc_u64 s[2:3], s[0:1], 56
	s_delay_alu instid0(SALU_CYCLE_1)
	s_cselect_b32 s3, s3, s7
	s_cselect_b32 s2, s2, s6
	flat_load_b128 v[6:9], v1, s[2:3]
	s_wait_loadcnt_dscnt 0x101
	v_cmp_eq_f64_e32 vcc_lo, 0, v[2:3]
	s_wait_xcnt 0x0
	v_cmp_eq_f64_e64 s2, 0, v[4:5]
	s_and_b32 s4, vcc_lo, s2
	s_mov_b32 s2, -1
	s_and_saveexec_b32 s3, s4
	s_cbranch_execz .LBB251_2
; %bb.1:
	s_wait_loadcnt_dscnt 0x0
	v_cmp_neq_f64_e32 vcc_lo, 1.0, v[6:7]
	v_cmp_neq_f64_e64 s2, 0, v[8:9]
	s_or_b32 s2, vcc_lo, s2
	s_delay_alu instid0(SALU_CYCLE_1)
	s_or_not1_b32 s2, s2, exec_lo
.LBB251_2:
	s_or_b32 exec_lo, exec_lo, s3
	s_and_saveexec_b32 s3, s2
	s_cbranch_execz .LBB251_21
; %bb.3:
	s_load_b64 s[2:3], s[0:1], 0x0
	s_bfe_u32 s4, ttmp6, 0x4000c
	s_and_b32 s5, ttmp6, 15
	s_add_co_i32 s4, s4, 1
	s_getreg_b32 s6, hwreg(HW_REG_IB_STS2, 6, 4)
	s_mul_i32 s4, ttmp9, s4
	v_lshrrev_b32_e32 v1, 5, v0
	s_add_co_i32 s5, s5, s4
	s_cmp_eq_u32 s6, 0
	s_cselect_b32 s4, ttmp9, s5
	s_delay_alu instid0(VALU_DEP_1) | instid1(SALU_CYCLE_1)
	v_lshl_or_b32 v10, s4, 2, v1
	s_wait_kmcnt 0x0
	s_delay_alu instid0(VALU_DEP_1)
	v_cmp_gt_i32_e32 vcc_lo, s2, v10
	s_and_b32 exec_lo, exec_lo, vcc_lo
	s_cbranch_execz .LBB251_21
; %bb.4:
	s_load_b256 s[4:11], s[0:1], 0x18
	v_ashrrev_i32_e32 v11, 31, v10
	s_cmp_lg_u32 s3, 0
	s_wait_kmcnt 0x0
	s_delay_alu instid0(VALU_DEP_1)
	v_lshl_add_u64 v[12:13], v[10:11], 2, s[4:5]
	v_and_b32_e32 v11, 31, v0
	global_load_b64 v[12:13], v[12:13], off
	s_wait_loadcnt 0x0
	v_subrev_nc_u32_e32 v0, s12, v12
	v_subrev_nc_u32_e32 v18, s12, v13
	s_delay_alu instid0(VALU_DEP_2) | instskip(NEXT) | instid1(VALU_DEP_1)
	v_add_nc_u32_e32 v19, v0, v11
	v_cmp_lt_i32_e64 s2, v19, v18
	s_cbranch_scc0 .LBB251_10
; %bb.5:
	v_mov_b64_e32 v[0:1], 0
	v_mov_b64_e32 v[14:15], 0
	;; [unrolled: 1-line block ×4, first 2 shown]
	s_and_saveexec_b32 s3, s2
	s_cbranch_execz .LBB251_9
; %bb.6:
	v_mad_u32 v20, v19, 12, 10
	v_mov_b64_e32 v[0:1], 0
	v_mov_b64_e32 v[14:15], 0
	;; [unrolled: 1-line block ×4, first 2 shown]
	v_mov_b32_e32 v21, v19
	s_mov_b32 s4, 0
.LBB251_7:                              ; =>This Inner Loop Header: Depth=1
	global_load_b32 v22, v21, s[6:7] scale_offset
	v_dual_add_nc_u32 v46, -10, v20 :: v_dual_add_nc_u32 v58, -6, v20
	s_wait_xcnt 0x0
	v_dual_add_nc_u32 v21, 32, v21 :: v_dual_add_nc_u32 v71, -4, v20
	s_delay_alu instid0(VALU_DEP_1) | instskip(SKIP_3) | instid1(VALU_DEP_1)
	v_cmp_ge_i32_e32 vcc_lo, v21, v18
	s_or_b32 s4, vcc_lo, s4
	s_wait_loadcnt 0x0
	v_subrev_nc_u32_e32 v22, s12, v22
	v_mul_lo_u32 v74, v22, 6
	s_clause 0x1
	global_load_b128 v[22:25], v46, s[8:9] offset:16 scale_offset
	global_load_b128 v[26:29], v46, s[8:9] scale_offset
	global_load_b128 v[30:33], v74, s[10:11] scale_offset
	s_clause 0x1
	global_load_b128 v[34:37], v46, s[8:9] offset:32 scale_offset
	global_load_b128 v[38:41], v46, s[8:9] offset:48 scale_offset
	;; [unrolled: 1-line block ×4, first 2 shown]
	v_dual_add_nc_u32 v70, 2, v74 :: v_dual_add_nc_u32 v94, -2, v20
	v_add_nc_u32_e32 v95, 4, v74
	global_load_b128 v[50:53], v58, s[8:9] scale_offset
	global_load_b128 v[54:57], v70, s[10:11] scale_offset
	s_clause 0x1
	global_load_b128 v[58:61], v71, s[8:9] scale_offset
	global_load_b128 v[62:65], v71, s[8:9] offset:16 scale_offset
	global_load_b128 v[66:69], v70, s[10:11] offset:16 scale_offset
	s_clause 0x1
	global_load_b128 v[70:73], v94, s[8:9] offset:16 scale_offset
	global_load_b128 v[74:77], v94, s[8:9] scale_offset
	global_load_b128 v[78:81], v95, s[10:11] scale_offset
	s_clause 0x1
	global_load_b128 v[82:85], v20, s[8:9] scale_offset
	global_load_b128 v[86:89], v20, s[8:9] offset:16 scale_offset
	global_load_b128 v[90:93], v95, s[10:11] offset:16 scale_offset
	s_wait_xcnt 0x1
	v_add_nc_u32_e32 v20, 0x180, v20
	s_wait_loadcnt 0xf
	v_fmac_f64_e32 v[14:15], v[26:27], v[30:31]
	v_fmac_f64_e32 v[0:1], v[28:29], v[30:31]
	;; [unrolled: 1-line block ×4, first 2 shown]
	s_delay_alu instid0(VALU_DEP_4) | instskip(NEXT) | instid1(VALU_DEP_4)
	v_fma_f64 v[14:15], -v[28:29], v[32:33], v[14:15]
	v_fmac_f64_e32 v[0:1], v[26:27], v[32:33]
	s_delay_alu instid0(VALU_DEP_4) | instskip(NEXT) | instid1(VALU_DEP_4)
	v_fma_f64 v[16:17], -v[24:25], v[32:33], v[16:17]
	v_fmac_f64_e32 v[12:13], v[22:23], v[32:33]
	s_wait_loadcnt 0xc
	s_delay_alu instid0(VALU_DEP_4) | instskip(NEXT) | instid1(VALU_DEP_4)
	v_fmac_f64_e32 v[14:15], v[34:35], v[42:43]
	v_fmac_f64_e32 v[0:1], v[36:37], v[42:43]
	s_delay_alu instid0(VALU_DEP_4) | instskip(NEXT) | instid1(VALU_DEP_4)
	v_fmac_f64_e32 v[16:17], v[38:39], v[42:43]
	v_fmac_f64_e32 v[12:13], v[40:41], v[42:43]
	s_delay_alu instid0(VALU_DEP_4) | instskip(NEXT) | instid1(VALU_DEP_4)
	v_fma_f64 v[14:15], -v[36:37], v[44:45], v[14:15]
	v_fmac_f64_e32 v[0:1], v[34:35], v[44:45]
	s_delay_alu instid0(VALU_DEP_4) | instskip(NEXT) | instid1(VALU_DEP_4)
	v_fma_f64 v[16:17], -v[40:41], v[44:45], v[16:17]
	v_fmac_f64_e32 v[12:13], v[38:39], v[44:45]
	s_wait_loadcnt 0x9
	s_delay_alu instid0(VALU_DEP_4) | instskip(NEXT) | instid1(VALU_DEP_4)
	v_fmac_f64_e32 v[14:15], v[50:51], v[54:55]
	v_fmac_f64_e32 v[0:1], v[52:53], v[54:55]
	s_delay_alu instid0(VALU_DEP_4) | instskip(NEXT) | instid1(VALU_DEP_4)
	v_fmac_f64_e32 v[16:17], v[46:47], v[54:55]
	v_fmac_f64_e32 v[12:13], v[48:49], v[54:55]
	s_delay_alu instid0(VALU_DEP_4) | instskip(NEXT) | instid1(VALU_DEP_4)
	v_fma_f64 v[14:15], -v[52:53], v[56:57], v[14:15]
	v_fmac_f64_e32 v[0:1], v[50:51], v[56:57]
	s_delay_alu instid0(VALU_DEP_4) | instskip(NEXT) | instid1(VALU_DEP_4)
	v_fma_f64 v[16:17], -v[48:49], v[56:57], v[16:17]
	v_fmac_f64_e32 v[12:13], v[46:47], v[56:57]
	s_wait_loadcnt 0x6
	s_delay_alu instid0(VALU_DEP_4) | instskip(NEXT) | instid1(VALU_DEP_4)
	v_fmac_f64_e32 v[14:15], v[58:59], v[66:67]
	v_fmac_f64_e32 v[0:1], v[60:61], v[66:67]
	s_delay_alu instid0(VALU_DEP_4) | instskip(NEXT) | instid1(VALU_DEP_4)
	v_fmac_f64_e32 v[16:17], v[62:63], v[66:67]
	v_fmac_f64_e32 v[12:13], v[64:65], v[66:67]
	s_delay_alu instid0(VALU_DEP_4) | instskip(NEXT) | instid1(VALU_DEP_4)
	v_fma_f64 v[14:15], -v[60:61], v[68:69], v[14:15]
	v_fmac_f64_e32 v[0:1], v[58:59], v[68:69]
	s_delay_alu instid0(VALU_DEP_4) | instskip(NEXT) | instid1(VALU_DEP_4)
	v_fma_f64 v[16:17], -v[64:65], v[68:69], v[16:17]
	v_fmac_f64_e32 v[12:13], v[62:63], v[68:69]
	s_wait_loadcnt 0x3
	s_delay_alu instid0(VALU_DEP_4) | instskip(NEXT) | instid1(VALU_DEP_4)
	v_fmac_f64_e32 v[14:15], v[74:75], v[78:79]
	v_fmac_f64_e32 v[0:1], v[76:77], v[78:79]
	s_delay_alu instid0(VALU_DEP_4) | instskip(NEXT) | instid1(VALU_DEP_4)
	v_fmac_f64_e32 v[16:17], v[70:71], v[78:79]
	v_fmac_f64_e32 v[12:13], v[72:73], v[78:79]
	s_delay_alu instid0(VALU_DEP_4) | instskip(NEXT) | instid1(VALU_DEP_4)
	v_fma_f64 v[14:15], -v[76:77], v[80:81], v[14:15]
	v_fmac_f64_e32 v[0:1], v[74:75], v[80:81]
	s_delay_alu instid0(VALU_DEP_4) | instskip(NEXT) | instid1(VALU_DEP_4)
	v_fma_f64 v[16:17], -v[72:73], v[80:81], v[16:17]
	v_fmac_f64_e32 v[12:13], v[70:71], v[80:81]
	s_wait_loadcnt 0x0
	s_delay_alu instid0(VALU_DEP_4) | instskip(NEXT) | instid1(VALU_DEP_4)
	v_fmac_f64_e32 v[14:15], v[82:83], v[90:91]
	v_fmac_f64_e32 v[0:1], v[84:85], v[90:91]
	s_delay_alu instid0(VALU_DEP_4) | instskip(NEXT) | instid1(VALU_DEP_4)
	v_fmac_f64_e32 v[16:17], v[86:87], v[90:91]
	v_fmac_f64_e32 v[12:13], v[88:89], v[90:91]
	s_delay_alu instid0(VALU_DEP_4) | instskip(NEXT) | instid1(VALU_DEP_4)
	v_fma_f64 v[14:15], -v[84:85], v[92:93], v[14:15]
	v_fmac_f64_e32 v[0:1], v[82:83], v[92:93]
	s_delay_alu instid0(VALU_DEP_4) | instskip(NEXT) | instid1(VALU_DEP_4)
	v_fma_f64 v[16:17], -v[88:89], v[92:93], v[16:17]
	v_fmac_f64_e32 v[12:13], v[86:87], v[92:93]
	s_and_not1_b32 exec_lo, exec_lo, s4
	s_cbranch_execnz .LBB251_7
; %bb.8:
	s_or_b32 exec_lo, exec_lo, s4
.LBB251_9:
	s_delay_alu instid0(SALU_CYCLE_1)
	s_or_b32 exec_lo, exec_lo, s3
	s_cbranch_execz .LBB251_11
	s_branch .LBB251_16
.LBB251_10:
                                        ; implicit-def: $vgpr0_vgpr1
                                        ; implicit-def: $vgpr14_vgpr15
                                        ; implicit-def: $vgpr16_vgpr17
                                        ; implicit-def: $vgpr12_vgpr13
.LBB251_11:
	v_mov_b64_e32 v[0:1], 0
	v_mov_b64_e32 v[14:15], 0
	;; [unrolled: 1-line block ×4, first 2 shown]
	s_and_saveexec_b32 s3, s2
	s_cbranch_execz .LBB251_15
; %bb.12:
	v_mad_u32 v20, v19, 12, 11
	v_mov_b64_e32 v[0:1], 0
	v_mov_b64_e32 v[14:15], 0
	;; [unrolled: 1-line block ×4, first 2 shown]
	s_mov_b32 s2, 0
.LBB251_13:                             ; =>This Inner Loop Header: Depth=1
	global_load_b32 v21, v19, s[6:7] scale_offset
	v_dual_add_nc_u32 v54, -11, v20 :: v_dual_add_nc_u32 v38, -5, v20
	v_dual_add_nc_u32 v46, -4, v20 :: v_dual_add_nc_u32 v62, -3, v20
	;; [unrolled: 1-line block ×3, first 2 shown]
	s_wait_xcnt 0x0
	v_dual_add_nc_u32 v82, -1, v20 :: v_dual_add_nc_u32 v19, 32, v19
	s_delay_alu instid0(VALU_DEP_1) | instskip(SKIP_3) | instid1(VALU_DEP_1)
	v_cmp_ge_i32_e32 vcc_lo, v19, v18
	s_or_b32 s2, vcc_lo, s2
	s_wait_loadcnt 0x0
	v_subrev_nc_u32_e32 v21, s12, v21
	v_mul_lo_u32 v21, v21, 6
	s_clause 0x2
	global_load_b128 v[22:25], v54, s[8:9] offset:16 scale_offset
	global_load_b128 v[26:29], v54, s[8:9] scale_offset
	global_load_b128 v[30:33], v38, s[8:9] scale_offset
	;; [unrolled: 1-line block ×4, first 2 shown]
	global_load_b128 v[42:45], v21, s[10:11] offset:16 scale_offset
	v_add_nc_u32_e32 v70, 2, v21
	s_clause 0x2
	global_load_b128 v[46:49], v54, s[8:9] offset:48 scale_offset
	global_load_b128 v[50:53], v54, s[8:9] offset:32 scale_offset
	global_load_b128 v[54:57], v62, s[8:9] scale_offset
	global_load_b128 v[58:61], v70, s[10:11] scale_offset
	;; [unrolled: 1-line block ×3, first 2 shown]
	global_load_b128 v[66:69], v70, s[10:11] offset:16 scale_offset
	s_wait_xcnt 0x0
	v_dual_add_nc_u32 v70, -7, v20 :: v_dual_add_nc_u32 v21, 4, v21
	s_clause 0x1
	global_load_b128 v[70:73], v70, s[8:9] scale_offset
	global_load_b128 v[74:77], v82, s[8:9] scale_offset
	;; [unrolled: 1-line block ×3, first 2 shown]
	s_clause 0x1
	global_load_b128 v[82:85], v20, s[8:9] scale_offset
	global_load_b128 v[86:89], v94, s[8:9] scale_offset
	global_load_b128 v[90:93], v21, s[10:11] offset:16 scale_offset
	s_wait_xcnt 0x2
	v_add_nc_u32_e32 v20, 0x180, v20
	s_wait_loadcnt 0xe
	v_fmac_f64_e32 v[14:15], v[26:27], v[34:35]
	v_fmac_f64_e32 v[0:1], v[28:29], v[34:35]
	;; [unrolled: 1-line block ×4, first 2 shown]
	s_delay_alu instid0(VALU_DEP_4) | instskip(NEXT) | instid1(VALU_DEP_4)
	v_fma_f64 v[14:15], -v[28:29], v[36:37], v[14:15]
	v_fmac_f64_e32 v[0:1], v[26:27], v[36:37]
	s_delay_alu instid0(VALU_DEP_4) | instskip(NEXT) | instid1(VALU_DEP_4)
	v_fma_f64 v[16:17], -v[32:33], v[36:37], v[16:17]
	v_fmac_f64_e32 v[12:13], v[30:31], v[36:37]
	s_wait_loadcnt 0xc
	s_delay_alu instid0(VALU_DEP_4) | instskip(NEXT) | instid1(VALU_DEP_4)
	v_fmac_f64_e32 v[14:15], v[22:23], v[42:43]
	v_fmac_f64_e32 v[0:1], v[24:25], v[42:43]
	s_delay_alu instid0(VALU_DEP_4) | instskip(NEXT) | instid1(VALU_DEP_4)
	v_fmac_f64_e32 v[16:17], v[38:39], v[42:43]
	v_fmac_f64_e32 v[12:13], v[40:41], v[42:43]
	s_delay_alu instid0(VALU_DEP_4) | instskip(NEXT) | instid1(VALU_DEP_4)
	v_fma_f64 v[14:15], -v[24:25], v[44:45], v[14:15]
	v_fmac_f64_e32 v[0:1], v[22:23], v[44:45]
	s_delay_alu instid0(VALU_DEP_4) | instskip(NEXT) | instid1(VALU_DEP_4)
	v_fma_f64 v[16:17], -v[40:41], v[44:45], v[16:17]
	v_fmac_f64_e32 v[12:13], v[38:39], v[44:45]
	s_wait_loadcnt 0x8
	s_delay_alu instid0(VALU_DEP_4) | instskip(NEXT) | instid1(VALU_DEP_4)
	v_fmac_f64_e32 v[14:15], v[50:51], v[58:59]
	v_fmac_f64_e32 v[0:1], v[52:53], v[58:59]
	s_delay_alu instid0(VALU_DEP_4) | instskip(NEXT) | instid1(VALU_DEP_4)
	v_fmac_f64_e32 v[16:17], v[54:55], v[58:59]
	v_fmac_f64_e32 v[12:13], v[56:57], v[58:59]
	;; [unrolled: 13-line block ×5, first 2 shown]
	s_delay_alu instid0(VALU_DEP_4) | instskip(NEXT) | instid1(VALU_DEP_4)
	v_fma_f64 v[14:15], -v[88:89], v[92:93], v[14:15]
	v_fmac_f64_e32 v[0:1], v[86:87], v[92:93]
	s_delay_alu instid0(VALU_DEP_4) | instskip(NEXT) | instid1(VALU_DEP_4)
	v_fma_f64 v[16:17], -v[84:85], v[92:93], v[16:17]
	v_fmac_f64_e32 v[12:13], v[82:83], v[92:93]
	s_and_not1_b32 exec_lo, exec_lo, s2
	s_cbranch_execnz .LBB251_13
; %bb.14:
	s_or_b32 exec_lo, exec_lo, s2
.LBB251_15:
	s_delay_alu instid0(SALU_CYCLE_1)
	s_or_b32 exec_lo, exec_lo, s3
.LBB251_16:
	v_mbcnt_lo_u32_b32 v28, -1, 0
	s_delay_alu instid0(VALU_DEP_1) | instskip(NEXT) | instid1(VALU_DEP_1)
	v_xor_b32_e32 v18, 16, v28
	v_cmp_gt_i32_e32 vcc_lo, 32, v18
	v_cndmask_b32_e32 v18, v28, v18, vcc_lo
	s_delay_alu instid0(VALU_DEP_1)
	v_lshlrev_b32_e32 v25, 2, v18
	ds_bpermute_b32 v20, v25, v0
	ds_bpermute_b32 v21, v25, v1
	s_wait_dscnt 0x0
	v_add_f64_e32 v[0:1], v[0:1], v[20:21]
	ds_bpermute_b32 v18, v25, v14
	ds_bpermute_b32 v19, v25, v15
	;; [unrolled: 1-line block ×6, first 2 shown]
	s_wait_dscnt 0x4
	v_dual_add_f64 v[14:15], v[14:15], v[18:19] :: v_dual_bitop2_b32 v18, 8, v28 bitop3:0x14
	s_wait_dscnt 0x2
	v_add_f64_e32 v[16:17], v[16:17], v[22:23]
	s_delay_alu instid0(VALU_DEP_2) | instskip(SKIP_2) | instid1(VALU_DEP_1)
	v_cmp_gt_i32_e32 vcc_lo, 32, v18
	v_cndmask_b32_e32 v18, v28, v18, vcc_lo
	s_wait_dscnt 0x0
	v_dual_add_f64 v[12:13], v[12:13], v[24:25] :: v_dual_lshlrev_b32 v25, 2, v18
	ds_bpermute_b32 v20, v25, v0
	ds_bpermute_b32 v21, v25, v1
	;; [unrolled: 1-line block ×8, first 2 shown]
	s_wait_dscnt 0x4
	v_dual_add_f64 v[14:15], v[14:15], v[18:19] :: v_dual_bitop2_b32 v18, 4, v28 bitop3:0x14
	s_wait_dscnt 0x2
	v_add_f64_e32 v[16:17], v[16:17], v[22:23]
	s_delay_alu instid0(VALU_DEP_2) | instskip(SKIP_3) | instid1(VALU_DEP_2)
	v_cmp_gt_i32_e32 vcc_lo, 32, v18
	v_cndmask_b32_e32 v18, v28, v18, vcc_lo
	v_add_f64_e32 v[0:1], v[0:1], v[20:21]
	s_wait_dscnt 0x0
	v_dual_add_f64 v[12:13], v[12:13], v[24:25] :: v_dual_lshlrev_b32 v25, 2, v18
	ds_bpermute_b32 v18, v25, v14
	ds_bpermute_b32 v19, v25, v15
	;; [unrolled: 1-line block ×8, first 2 shown]
	s_wait_dscnt 0x6
	v_add_f64_e32 v[14:15], v[14:15], v[18:19]
	s_wait_dscnt 0x2
	v_add_f64_e32 v[18:19], v[0:1], v[20:21]
	v_add_f64_e32 v[20:21], v[16:17], v[22:23]
	s_wait_dscnt 0x0
	v_add_f64_e32 v[22:23], v[12:13], v[24:25]
	v_xor_b32_e32 v0, 2, v28
	s_delay_alu instid0(VALU_DEP_1) | instskip(SKIP_1) | instid1(VALU_DEP_1)
	v_cmp_gt_i32_e32 vcc_lo, 32, v0
	v_cndmask_b32_e32 v0, v28, v0, vcc_lo
	v_lshlrev_b32_e32 v16, 2, v0
	ds_bpermute_b32 v0, v16, v14
	ds_bpermute_b32 v1, v16, v15
	;; [unrolled: 1-line block ×8, first 2 shown]
	s_wait_dscnt 0x4
	v_add_f64_e32 v[16:17], v[18:19], v[12:13]
	v_xor_b32_e32 v18, 1, v28
	s_wait_dscnt 0x2
	v_add_f64_e32 v[12:13], v[20:21], v[24:25]
	s_delay_alu instid0(VALU_DEP_2)
	v_cmp_gt_i32_e32 vcc_lo, 32, v18
	v_add_f64_e32 v[0:1], v[14:15], v[0:1]
	s_wait_dscnt 0x0
	v_add_f64_e32 v[14:15], v[22:23], v[26:27]
	v_cndmask_b32_e32 v18, v28, v18, vcc_lo
	v_cmp_eq_u32_e32 vcc_lo, 31, v11
	s_delay_alu instid0(VALU_DEP_2)
	v_lshlrev_b32_e32 v21, 2, v18
	ds_bpermute_b32 v22, v21, v16
	ds_bpermute_b32 v23, v21, v17
	;; [unrolled: 1-line block ×8, first 2 shown]
	s_and_b32 exec_lo, exec_lo, vcc_lo
	s_cbranch_execz .LBB251_21
; %bb.17:
	v_cmp_eq_f64_e32 vcc_lo, 0, v[6:7]
	v_cmp_eq_f64_e64 s2, 0, v[8:9]
	s_wait_dscnt 0x2
	v_add_f64_e32 v[0:1], v[0:1], v[24:25]
	v_add_f64_e32 v[16:17], v[16:17], v[22:23]
	;; [unrolled: 1-line block ×3, first 2 shown]
	s_wait_dscnt 0x0
	v_add_f64_e32 v[14:15], v[14:15], v[20:21]
	s_load_b64 s[0:1], s[0:1], 0x48
	s_and_b32 s2, vcc_lo, s2
	s_delay_alu instid0(SALU_CYCLE_1) | instskip(NEXT) | instid1(SALU_CYCLE_1)
	s_and_saveexec_b32 s3, s2
	s_xor_b32 s2, exec_lo, s3
	s_cbranch_execz .LBB251_19
; %bb.18:
	s_delay_alu instid0(VALU_DEP_3) | instskip(SKIP_1) | instid1(VALU_DEP_3)
	v_mul_f64_e64 v[6:7], v[16:17], -v[4:5]
	v_mul_f64_e32 v[8:9], v[2:3], v[16:17]
	v_mul_f64_e64 v[16:17], v[14:15], -v[4:5]
	v_mul_f64_e32 v[18:19], v[2:3], v[14:15]
                                        ; implicit-def: $vgpr14_vgpr15
	s_delay_alu instid0(VALU_DEP_4) | instskip(NEXT) | instid1(VALU_DEP_4)
	v_fmac_f64_e32 v[6:7], v[2:3], v[0:1]
	v_fmac_f64_e32 v[8:9], v[4:5], v[0:1]
	s_delay_alu instid0(VALU_DEP_4) | instskip(NEXT) | instid1(VALU_DEP_4)
	v_fmac_f64_e32 v[16:17], v[2:3], v[12:13]
	v_fmac_f64_e32 v[18:19], v[4:5], v[12:13]
	v_lshlrev_b32_e32 v0, 1, v10
                                        ; implicit-def: $vgpr10
                                        ; implicit-def: $vgpr12_vgpr13
                                        ; implicit-def: $vgpr4_vgpr5
	s_wait_kmcnt 0x0
	s_clause 0x1
	global_store_b128 v0, v[6:9], s[0:1] scale_offset
	global_store_b128 v0, v[16:19], s[0:1] offset:16 scale_offset
                                        ; implicit-def: $vgpr0_vgpr1
                                        ; implicit-def: $vgpr16_vgpr17
                                        ; implicit-def: $vgpr8_vgpr9
.LBB251_19:
	s_wait_xcnt 0x0
	s_and_not1_saveexec_b32 s2, s2
	s_cbranch_execz .LBB251_21
; %bb.20:
	s_delay_alu instid0(VALU_DEP_3) | instskip(SKIP_1) | instid1(VALU_DEP_3)
	v_dual_mul_f64 v[26:27], v[16:17], -v[4:5] :: v_dual_lshlrev_b32 v30, 1, v10
	v_mul_f64_e32 v[16:17], v[2:3], v[16:17]
	v_mul_f64_e64 v[28:29], v[14:15], -v[4:5]
	v_mul_f64_e32 v[10:11], v[2:3], v[14:15]
	s_wait_kmcnt 0x0
	s_clause 0x1
	global_load_b128 v[18:21], v30, s[0:1] scale_offset
	global_load_b128 v[22:25], v30, s[0:1] offset:16 scale_offset
	v_fmac_f64_e32 v[26:27], v[2:3], v[0:1]
	v_fmac_f64_e32 v[16:17], v[4:5], v[0:1]
	;; [unrolled: 1-line block ×4, first 2 shown]
	s_wait_loadcnt 0x1
	s_delay_alu instid0(VALU_DEP_4) | instskip(NEXT) | instid1(VALU_DEP_4)
	v_fmac_f64_e32 v[26:27], v[6:7], v[18:19]
	v_fmac_f64_e32 v[16:17], v[8:9], v[18:19]
	s_wait_loadcnt 0x0
	s_delay_alu instid0(VALU_DEP_4) | instskip(NEXT) | instid1(VALU_DEP_4)
	v_fmac_f64_e32 v[28:29], v[6:7], v[22:23]
	v_fmac_f64_e32 v[10:11], v[8:9], v[22:23]
	s_delay_alu instid0(VALU_DEP_4) | instskip(NEXT) | instid1(VALU_DEP_4)
	v_fma_f64 v[14:15], -v[8:9], v[20:21], v[26:27]
	v_fmac_f64_e32 v[16:17], v[6:7], v[20:21]
	s_delay_alu instid0(VALU_DEP_4) | instskip(NEXT) | instid1(VALU_DEP_4)
	v_fma_f64 v[8:9], -v[8:9], v[24:25], v[28:29]
	v_fmac_f64_e32 v[10:11], v[6:7], v[24:25]
	s_clause 0x1
	global_store_b128 v30, v[14:17], s[0:1] scale_offset
	global_store_b128 v30, v[8:11], s[0:1] offset:16 scale_offset
.LBB251_21:
	s_sendmsg sendmsg(MSG_DEALLOC_VGPRS)
	s_endpgm
	.section	.rodata,"a",@progbits
	.p2align	6, 0x0
	.amdhsa_kernel _ZN9rocsparseL19gebsrmvn_2xn_kernelILj128ELj6ELj32E21rocsparse_complex_numIdEEEvi20rocsparse_direction_NS_24const_host_device_scalarIT2_EEPKiS8_PKS5_SA_S6_PS5_21rocsparse_index_base_b
		.amdhsa_group_segment_fixed_size 0
		.amdhsa_private_segment_fixed_size 0
		.amdhsa_kernarg_size 88
		.amdhsa_user_sgpr_count 2
		.amdhsa_user_sgpr_dispatch_ptr 0
		.amdhsa_user_sgpr_queue_ptr 0
		.amdhsa_user_sgpr_kernarg_segment_ptr 1
		.amdhsa_user_sgpr_dispatch_id 0
		.amdhsa_user_sgpr_kernarg_preload_length 0
		.amdhsa_user_sgpr_kernarg_preload_offset 0
		.amdhsa_user_sgpr_private_segment_size 0
		.amdhsa_wavefront_size32 1
		.amdhsa_uses_dynamic_stack 0
		.amdhsa_enable_private_segment 0
		.amdhsa_system_sgpr_workgroup_id_x 1
		.amdhsa_system_sgpr_workgroup_id_y 0
		.amdhsa_system_sgpr_workgroup_id_z 0
		.amdhsa_system_sgpr_workgroup_info 0
		.amdhsa_system_vgpr_workitem_id 0
		.amdhsa_next_free_vgpr 96
		.amdhsa_next_free_sgpr 14
		.amdhsa_named_barrier_count 0
		.amdhsa_reserve_vcc 1
		.amdhsa_float_round_mode_32 0
		.amdhsa_float_round_mode_16_64 0
		.amdhsa_float_denorm_mode_32 3
		.amdhsa_float_denorm_mode_16_64 3
		.amdhsa_fp16_overflow 0
		.amdhsa_memory_ordered 1
		.amdhsa_forward_progress 1
		.amdhsa_inst_pref_size 22
		.amdhsa_round_robin_scheduling 0
		.amdhsa_exception_fp_ieee_invalid_op 0
		.amdhsa_exception_fp_denorm_src 0
		.amdhsa_exception_fp_ieee_div_zero 0
		.amdhsa_exception_fp_ieee_overflow 0
		.amdhsa_exception_fp_ieee_underflow 0
		.amdhsa_exception_fp_ieee_inexact 0
		.amdhsa_exception_int_div_zero 0
	.end_amdhsa_kernel
	.section	.text._ZN9rocsparseL19gebsrmvn_2xn_kernelILj128ELj6ELj32E21rocsparse_complex_numIdEEEvi20rocsparse_direction_NS_24const_host_device_scalarIT2_EEPKiS8_PKS5_SA_S6_PS5_21rocsparse_index_base_b,"axG",@progbits,_ZN9rocsparseL19gebsrmvn_2xn_kernelILj128ELj6ELj32E21rocsparse_complex_numIdEEEvi20rocsparse_direction_NS_24const_host_device_scalarIT2_EEPKiS8_PKS5_SA_S6_PS5_21rocsparse_index_base_b,comdat
.Lfunc_end251:
	.size	_ZN9rocsparseL19gebsrmvn_2xn_kernelILj128ELj6ELj32E21rocsparse_complex_numIdEEEvi20rocsparse_direction_NS_24const_host_device_scalarIT2_EEPKiS8_PKS5_SA_S6_PS5_21rocsparse_index_base_b, .Lfunc_end251-_ZN9rocsparseL19gebsrmvn_2xn_kernelILj128ELj6ELj32E21rocsparse_complex_numIdEEEvi20rocsparse_direction_NS_24const_host_device_scalarIT2_EEPKiS8_PKS5_SA_S6_PS5_21rocsparse_index_base_b
                                        ; -- End function
	.set _ZN9rocsparseL19gebsrmvn_2xn_kernelILj128ELj6ELj32E21rocsparse_complex_numIdEEEvi20rocsparse_direction_NS_24const_host_device_scalarIT2_EEPKiS8_PKS5_SA_S6_PS5_21rocsparse_index_base_b.num_vgpr, 96
	.set _ZN9rocsparseL19gebsrmvn_2xn_kernelILj128ELj6ELj32E21rocsparse_complex_numIdEEEvi20rocsparse_direction_NS_24const_host_device_scalarIT2_EEPKiS8_PKS5_SA_S6_PS5_21rocsparse_index_base_b.num_agpr, 0
	.set _ZN9rocsparseL19gebsrmvn_2xn_kernelILj128ELj6ELj32E21rocsparse_complex_numIdEEEvi20rocsparse_direction_NS_24const_host_device_scalarIT2_EEPKiS8_PKS5_SA_S6_PS5_21rocsparse_index_base_b.numbered_sgpr, 14
	.set _ZN9rocsparseL19gebsrmvn_2xn_kernelILj128ELj6ELj32E21rocsparse_complex_numIdEEEvi20rocsparse_direction_NS_24const_host_device_scalarIT2_EEPKiS8_PKS5_SA_S6_PS5_21rocsparse_index_base_b.num_named_barrier, 0
	.set _ZN9rocsparseL19gebsrmvn_2xn_kernelILj128ELj6ELj32E21rocsparse_complex_numIdEEEvi20rocsparse_direction_NS_24const_host_device_scalarIT2_EEPKiS8_PKS5_SA_S6_PS5_21rocsparse_index_base_b.private_seg_size, 0
	.set _ZN9rocsparseL19gebsrmvn_2xn_kernelILj128ELj6ELj32E21rocsparse_complex_numIdEEEvi20rocsparse_direction_NS_24const_host_device_scalarIT2_EEPKiS8_PKS5_SA_S6_PS5_21rocsparse_index_base_b.uses_vcc, 1
	.set _ZN9rocsparseL19gebsrmvn_2xn_kernelILj128ELj6ELj32E21rocsparse_complex_numIdEEEvi20rocsparse_direction_NS_24const_host_device_scalarIT2_EEPKiS8_PKS5_SA_S6_PS5_21rocsparse_index_base_b.uses_flat_scratch, 0
	.set _ZN9rocsparseL19gebsrmvn_2xn_kernelILj128ELj6ELj32E21rocsparse_complex_numIdEEEvi20rocsparse_direction_NS_24const_host_device_scalarIT2_EEPKiS8_PKS5_SA_S6_PS5_21rocsparse_index_base_b.has_dyn_sized_stack, 0
	.set _ZN9rocsparseL19gebsrmvn_2xn_kernelILj128ELj6ELj32E21rocsparse_complex_numIdEEEvi20rocsparse_direction_NS_24const_host_device_scalarIT2_EEPKiS8_PKS5_SA_S6_PS5_21rocsparse_index_base_b.has_recursion, 0
	.set _ZN9rocsparseL19gebsrmvn_2xn_kernelILj128ELj6ELj32E21rocsparse_complex_numIdEEEvi20rocsparse_direction_NS_24const_host_device_scalarIT2_EEPKiS8_PKS5_SA_S6_PS5_21rocsparse_index_base_b.has_indirect_call, 0
	.section	.AMDGPU.csdata,"",@progbits
; Kernel info:
; codeLenInByte = 2804
; TotalNumSgprs: 16
; NumVgprs: 96
; ScratchSize: 0
; MemoryBound: 0
; FloatMode: 240
; IeeeMode: 1
; LDSByteSize: 0 bytes/workgroup (compile time only)
; SGPRBlocks: 0
; VGPRBlocks: 5
; NumSGPRsForWavesPerEU: 16
; NumVGPRsForWavesPerEU: 96
; NamedBarCnt: 0
; Occupancy: 10
; WaveLimiterHint : 1
; COMPUTE_PGM_RSRC2:SCRATCH_EN: 0
; COMPUTE_PGM_RSRC2:USER_SGPR: 2
; COMPUTE_PGM_RSRC2:TRAP_HANDLER: 0
; COMPUTE_PGM_RSRC2:TGID_X_EN: 1
; COMPUTE_PGM_RSRC2:TGID_Y_EN: 0
; COMPUTE_PGM_RSRC2:TGID_Z_EN: 0
; COMPUTE_PGM_RSRC2:TIDIG_COMP_CNT: 0
	.section	.text._ZN9rocsparseL19gebsrmvn_2xn_kernelILj128ELj6ELj64E21rocsparse_complex_numIdEEEvi20rocsparse_direction_NS_24const_host_device_scalarIT2_EEPKiS8_PKS5_SA_S6_PS5_21rocsparse_index_base_b,"axG",@progbits,_ZN9rocsparseL19gebsrmvn_2xn_kernelILj128ELj6ELj64E21rocsparse_complex_numIdEEEvi20rocsparse_direction_NS_24const_host_device_scalarIT2_EEPKiS8_PKS5_SA_S6_PS5_21rocsparse_index_base_b,comdat
	.globl	_ZN9rocsparseL19gebsrmvn_2xn_kernelILj128ELj6ELj64E21rocsparse_complex_numIdEEEvi20rocsparse_direction_NS_24const_host_device_scalarIT2_EEPKiS8_PKS5_SA_S6_PS5_21rocsparse_index_base_b ; -- Begin function _ZN9rocsparseL19gebsrmvn_2xn_kernelILj128ELj6ELj64E21rocsparse_complex_numIdEEEvi20rocsparse_direction_NS_24const_host_device_scalarIT2_EEPKiS8_PKS5_SA_S6_PS5_21rocsparse_index_base_b
	.p2align	8
	.type	_ZN9rocsparseL19gebsrmvn_2xn_kernelILj128ELj6ELj64E21rocsparse_complex_numIdEEEvi20rocsparse_direction_NS_24const_host_device_scalarIT2_EEPKiS8_PKS5_SA_S6_PS5_21rocsparse_index_base_b,@function
_ZN9rocsparseL19gebsrmvn_2xn_kernelILj128ELj6ELj64E21rocsparse_complex_numIdEEEvi20rocsparse_direction_NS_24const_host_device_scalarIT2_EEPKiS8_PKS5_SA_S6_PS5_21rocsparse_index_base_b: ; @_ZN9rocsparseL19gebsrmvn_2xn_kernelILj128ELj6ELj64E21rocsparse_complex_numIdEEEvi20rocsparse_direction_NS_24const_host_device_scalarIT2_EEPKiS8_PKS5_SA_S6_PS5_21rocsparse_index_base_b
; %bb.0:
	s_clause 0x1
	s_load_b64 s[12:13], s[0:1], 0x50
	s_load_b64 s[2:3], s[0:1], 0x8
	v_mov_b32_e32 v1, 0
	s_add_nc_u64 s[4:5], s[0:1], 8
	s_load_b64 s[6:7], s[0:1], 0x38
	s_wait_kmcnt 0x0
	s_bitcmp1_b32 s13, 0
	s_cselect_b32 s3, s5, s3
	s_cselect_b32 s2, s4, s2
	flat_load_b128 v[2:5], v1, s[2:3]
	s_wait_xcnt 0x0
	s_add_nc_u64 s[2:3], s[0:1], 56
	s_delay_alu instid0(SALU_CYCLE_1)
	s_cselect_b32 s3, s3, s7
	s_cselect_b32 s2, s2, s6
	flat_load_b128 v[6:9], v1, s[2:3]
	s_wait_loadcnt_dscnt 0x101
	v_cmp_eq_f64_e32 vcc_lo, 0, v[2:3]
	s_wait_xcnt 0x0
	v_cmp_eq_f64_e64 s2, 0, v[4:5]
	s_and_b32 s4, vcc_lo, s2
	s_mov_b32 s2, -1
	s_and_saveexec_b32 s3, s4
	s_cbranch_execz .LBB252_2
; %bb.1:
	s_wait_loadcnt_dscnt 0x0
	v_cmp_neq_f64_e32 vcc_lo, 1.0, v[6:7]
	v_cmp_neq_f64_e64 s2, 0, v[8:9]
	s_or_b32 s2, vcc_lo, s2
	s_delay_alu instid0(SALU_CYCLE_1)
	s_or_not1_b32 s2, s2, exec_lo
.LBB252_2:
	s_or_b32 exec_lo, exec_lo, s3
	s_and_saveexec_b32 s3, s2
	s_cbranch_execz .LBB252_21
; %bb.3:
	s_load_b64 s[2:3], s[0:1], 0x0
	s_bfe_u32 s4, ttmp6, 0x4000c
	s_and_b32 s5, ttmp6, 15
	s_add_co_i32 s4, s4, 1
	s_getreg_b32 s6, hwreg(HW_REG_IB_STS2, 6, 4)
	s_mul_i32 s4, ttmp9, s4
	v_lshrrev_b32_e32 v1, 6, v0
	s_add_co_i32 s5, s5, s4
	s_cmp_eq_u32 s6, 0
	s_cselect_b32 s4, ttmp9, s5
	s_delay_alu instid0(VALU_DEP_1) | instid1(SALU_CYCLE_1)
	v_lshl_or_b32 v10, s4, 1, v1
	s_wait_kmcnt 0x0
	s_delay_alu instid0(VALU_DEP_1)
	v_cmp_gt_i32_e32 vcc_lo, s2, v10
	s_and_b32 exec_lo, exec_lo, vcc_lo
	s_cbranch_execz .LBB252_21
; %bb.4:
	s_load_b256 s[4:11], s[0:1], 0x18
	v_ashrrev_i32_e32 v11, 31, v10
	s_cmp_lg_u32 s3, 0
	s_wait_kmcnt 0x0
	s_delay_alu instid0(VALU_DEP_1)
	v_lshl_add_u64 v[12:13], v[10:11], 2, s[4:5]
	v_and_b32_e32 v11, 63, v0
	global_load_b64 v[12:13], v[12:13], off
	s_wait_loadcnt 0x0
	v_subrev_nc_u32_e32 v0, s12, v12
	v_subrev_nc_u32_e32 v18, s12, v13
	s_delay_alu instid0(VALU_DEP_2) | instskip(NEXT) | instid1(VALU_DEP_1)
	v_add_nc_u32_e32 v19, v0, v11
	v_cmp_lt_i32_e64 s2, v19, v18
	s_cbranch_scc0 .LBB252_10
; %bb.5:
	v_mov_b64_e32 v[0:1], 0
	v_mov_b64_e32 v[14:15], 0
	;; [unrolled: 1-line block ×4, first 2 shown]
	s_and_saveexec_b32 s3, s2
	s_cbranch_execz .LBB252_9
; %bb.6:
	v_mad_u32 v20, v19, 12, 10
	v_mov_b64_e32 v[0:1], 0
	v_mov_b64_e32 v[14:15], 0
	v_mov_b64_e32 v[16:17], 0
	v_mov_b64_e32 v[12:13], 0
	v_mov_b32_e32 v21, v19
	s_mov_b32 s4, 0
.LBB252_7:                              ; =>This Inner Loop Header: Depth=1
	global_load_b32 v22, v21, s[6:7] scale_offset
	v_dual_add_nc_u32 v46, -10, v20 :: v_dual_add_nc_u32 v58, -6, v20
	s_wait_xcnt 0x0
	v_dual_add_nc_u32 v21, 64, v21 :: v_dual_add_nc_u32 v71, -4, v20
	s_delay_alu instid0(VALU_DEP_1) | instskip(SKIP_3) | instid1(VALU_DEP_1)
	v_cmp_ge_i32_e32 vcc_lo, v21, v18
	s_or_b32 s4, vcc_lo, s4
	s_wait_loadcnt 0x0
	v_subrev_nc_u32_e32 v22, s12, v22
	v_mul_lo_u32 v74, v22, 6
	s_clause 0x1
	global_load_b128 v[22:25], v46, s[8:9] offset:16 scale_offset
	global_load_b128 v[26:29], v46, s[8:9] scale_offset
	global_load_b128 v[30:33], v74, s[10:11] scale_offset
	s_clause 0x1
	global_load_b128 v[34:37], v46, s[8:9] offset:32 scale_offset
	global_load_b128 v[38:41], v46, s[8:9] offset:48 scale_offset
	;; [unrolled: 1-line block ×4, first 2 shown]
	v_dual_add_nc_u32 v70, 2, v74 :: v_dual_add_nc_u32 v94, -2, v20
	v_add_nc_u32_e32 v95, 4, v74
	global_load_b128 v[50:53], v58, s[8:9] scale_offset
	global_load_b128 v[54:57], v70, s[10:11] scale_offset
	s_clause 0x1
	global_load_b128 v[58:61], v71, s[8:9] scale_offset
	global_load_b128 v[62:65], v71, s[8:9] offset:16 scale_offset
	global_load_b128 v[66:69], v70, s[10:11] offset:16 scale_offset
	s_clause 0x1
	global_load_b128 v[70:73], v94, s[8:9] offset:16 scale_offset
	global_load_b128 v[74:77], v94, s[8:9] scale_offset
	global_load_b128 v[78:81], v95, s[10:11] scale_offset
	s_clause 0x1
	global_load_b128 v[82:85], v20, s[8:9] scale_offset
	global_load_b128 v[86:89], v20, s[8:9] offset:16 scale_offset
	global_load_b128 v[90:93], v95, s[10:11] offset:16 scale_offset
	s_wait_xcnt 0x1
	v_add_nc_u32_e32 v20, 0x300, v20
	s_wait_loadcnt 0xf
	v_fmac_f64_e32 v[14:15], v[26:27], v[30:31]
	v_fmac_f64_e32 v[0:1], v[28:29], v[30:31]
	;; [unrolled: 1-line block ×4, first 2 shown]
	s_delay_alu instid0(VALU_DEP_4) | instskip(NEXT) | instid1(VALU_DEP_4)
	v_fma_f64 v[14:15], -v[28:29], v[32:33], v[14:15]
	v_fmac_f64_e32 v[0:1], v[26:27], v[32:33]
	s_delay_alu instid0(VALU_DEP_4) | instskip(NEXT) | instid1(VALU_DEP_4)
	v_fma_f64 v[16:17], -v[24:25], v[32:33], v[16:17]
	v_fmac_f64_e32 v[12:13], v[22:23], v[32:33]
	s_wait_loadcnt 0xc
	s_delay_alu instid0(VALU_DEP_4) | instskip(NEXT) | instid1(VALU_DEP_4)
	v_fmac_f64_e32 v[14:15], v[34:35], v[42:43]
	v_fmac_f64_e32 v[0:1], v[36:37], v[42:43]
	s_delay_alu instid0(VALU_DEP_4) | instskip(NEXT) | instid1(VALU_DEP_4)
	v_fmac_f64_e32 v[16:17], v[38:39], v[42:43]
	v_fmac_f64_e32 v[12:13], v[40:41], v[42:43]
	s_delay_alu instid0(VALU_DEP_4) | instskip(NEXT) | instid1(VALU_DEP_4)
	v_fma_f64 v[14:15], -v[36:37], v[44:45], v[14:15]
	v_fmac_f64_e32 v[0:1], v[34:35], v[44:45]
	s_delay_alu instid0(VALU_DEP_4) | instskip(NEXT) | instid1(VALU_DEP_4)
	v_fma_f64 v[16:17], -v[40:41], v[44:45], v[16:17]
	v_fmac_f64_e32 v[12:13], v[38:39], v[44:45]
	s_wait_loadcnt 0x9
	s_delay_alu instid0(VALU_DEP_4) | instskip(NEXT) | instid1(VALU_DEP_4)
	v_fmac_f64_e32 v[14:15], v[50:51], v[54:55]
	v_fmac_f64_e32 v[0:1], v[52:53], v[54:55]
	s_delay_alu instid0(VALU_DEP_4) | instskip(NEXT) | instid1(VALU_DEP_4)
	v_fmac_f64_e32 v[16:17], v[46:47], v[54:55]
	v_fmac_f64_e32 v[12:13], v[48:49], v[54:55]
	;; [unrolled: 13-line block ×5, first 2 shown]
	s_delay_alu instid0(VALU_DEP_4) | instskip(NEXT) | instid1(VALU_DEP_4)
	v_fma_f64 v[14:15], -v[84:85], v[92:93], v[14:15]
	v_fmac_f64_e32 v[0:1], v[82:83], v[92:93]
	s_delay_alu instid0(VALU_DEP_4) | instskip(NEXT) | instid1(VALU_DEP_4)
	v_fma_f64 v[16:17], -v[88:89], v[92:93], v[16:17]
	v_fmac_f64_e32 v[12:13], v[86:87], v[92:93]
	s_and_not1_b32 exec_lo, exec_lo, s4
	s_cbranch_execnz .LBB252_7
; %bb.8:
	s_or_b32 exec_lo, exec_lo, s4
.LBB252_9:
	s_delay_alu instid0(SALU_CYCLE_1)
	s_or_b32 exec_lo, exec_lo, s3
	s_cbranch_execz .LBB252_11
	s_branch .LBB252_16
.LBB252_10:
                                        ; implicit-def: $vgpr0_vgpr1
                                        ; implicit-def: $vgpr14_vgpr15
                                        ; implicit-def: $vgpr16_vgpr17
                                        ; implicit-def: $vgpr12_vgpr13
.LBB252_11:
	v_mov_b64_e32 v[0:1], 0
	v_mov_b64_e32 v[14:15], 0
	;; [unrolled: 1-line block ×4, first 2 shown]
	s_and_saveexec_b32 s3, s2
	s_cbranch_execz .LBB252_15
; %bb.12:
	v_mad_u32 v20, v19, 12, 11
	v_mov_b64_e32 v[0:1], 0
	v_mov_b64_e32 v[14:15], 0
	v_mov_b64_e32 v[16:17], 0
	v_mov_b64_e32 v[12:13], 0
	s_mov_b32 s2, 0
.LBB252_13:                             ; =>This Inner Loop Header: Depth=1
	global_load_b32 v21, v19, s[6:7] scale_offset
	v_dual_add_nc_u32 v54, -11, v20 :: v_dual_add_nc_u32 v38, -5, v20
	v_dual_add_nc_u32 v46, -4, v20 :: v_dual_add_nc_u32 v62, -3, v20
	;; [unrolled: 1-line block ×3, first 2 shown]
	s_wait_xcnt 0x0
	v_dual_add_nc_u32 v82, -1, v20 :: v_dual_add_nc_u32 v19, 64, v19
	s_delay_alu instid0(VALU_DEP_1) | instskip(SKIP_3) | instid1(VALU_DEP_1)
	v_cmp_ge_i32_e32 vcc_lo, v19, v18
	s_or_b32 s2, vcc_lo, s2
	s_wait_loadcnt 0x0
	v_subrev_nc_u32_e32 v21, s12, v21
	v_mul_lo_u32 v21, v21, 6
	s_clause 0x2
	global_load_b128 v[22:25], v54, s[8:9] offset:16 scale_offset
	global_load_b128 v[26:29], v54, s[8:9] scale_offset
	global_load_b128 v[30:33], v38, s[8:9] scale_offset
	;; [unrolled: 1-line block ×4, first 2 shown]
	global_load_b128 v[42:45], v21, s[10:11] offset:16 scale_offset
	v_add_nc_u32_e32 v70, 2, v21
	s_clause 0x2
	global_load_b128 v[46:49], v54, s[8:9] offset:48 scale_offset
	global_load_b128 v[50:53], v54, s[8:9] offset:32 scale_offset
	global_load_b128 v[54:57], v62, s[8:9] scale_offset
	global_load_b128 v[58:61], v70, s[10:11] scale_offset
	;; [unrolled: 1-line block ×3, first 2 shown]
	global_load_b128 v[66:69], v70, s[10:11] offset:16 scale_offset
	s_wait_xcnt 0x0
	v_dual_add_nc_u32 v70, -7, v20 :: v_dual_add_nc_u32 v21, 4, v21
	s_clause 0x1
	global_load_b128 v[70:73], v70, s[8:9] scale_offset
	global_load_b128 v[74:77], v82, s[8:9] scale_offset
	;; [unrolled: 1-line block ×3, first 2 shown]
	s_clause 0x1
	global_load_b128 v[82:85], v20, s[8:9] scale_offset
	global_load_b128 v[86:89], v94, s[8:9] scale_offset
	global_load_b128 v[90:93], v21, s[10:11] offset:16 scale_offset
	s_wait_xcnt 0x2
	v_add_nc_u32_e32 v20, 0x300, v20
	s_wait_loadcnt 0xe
	v_fmac_f64_e32 v[14:15], v[26:27], v[34:35]
	v_fmac_f64_e32 v[0:1], v[28:29], v[34:35]
	;; [unrolled: 1-line block ×4, first 2 shown]
	s_delay_alu instid0(VALU_DEP_4) | instskip(NEXT) | instid1(VALU_DEP_4)
	v_fma_f64 v[14:15], -v[28:29], v[36:37], v[14:15]
	v_fmac_f64_e32 v[0:1], v[26:27], v[36:37]
	s_delay_alu instid0(VALU_DEP_4) | instskip(NEXT) | instid1(VALU_DEP_4)
	v_fma_f64 v[16:17], -v[32:33], v[36:37], v[16:17]
	v_fmac_f64_e32 v[12:13], v[30:31], v[36:37]
	s_wait_loadcnt 0xc
	s_delay_alu instid0(VALU_DEP_4) | instskip(NEXT) | instid1(VALU_DEP_4)
	v_fmac_f64_e32 v[14:15], v[22:23], v[42:43]
	v_fmac_f64_e32 v[0:1], v[24:25], v[42:43]
	s_delay_alu instid0(VALU_DEP_4) | instskip(NEXT) | instid1(VALU_DEP_4)
	v_fmac_f64_e32 v[16:17], v[38:39], v[42:43]
	v_fmac_f64_e32 v[12:13], v[40:41], v[42:43]
	s_delay_alu instid0(VALU_DEP_4) | instskip(NEXT) | instid1(VALU_DEP_4)
	v_fma_f64 v[14:15], -v[24:25], v[44:45], v[14:15]
	v_fmac_f64_e32 v[0:1], v[22:23], v[44:45]
	s_delay_alu instid0(VALU_DEP_4) | instskip(NEXT) | instid1(VALU_DEP_4)
	v_fma_f64 v[16:17], -v[40:41], v[44:45], v[16:17]
	v_fmac_f64_e32 v[12:13], v[38:39], v[44:45]
	s_wait_loadcnt 0x8
	s_delay_alu instid0(VALU_DEP_4) | instskip(NEXT) | instid1(VALU_DEP_4)
	v_fmac_f64_e32 v[14:15], v[50:51], v[58:59]
	v_fmac_f64_e32 v[0:1], v[52:53], v[58:59]
	s_delay_alu instid0(VALU_DEP_4) | instskip(NEXT) | instid1(VALU_DEP_4)
	v_fmac_f64_e32 v[16:17], v[54:55], v[58:59]
	v_fmac_f64_e32 v[12:13], v[56:57], v[58:59]
	;; [unrolled: 13-line block ×5, first 2 shown]
	s_delay_alu instid0(VALU_DEP_4) | instskip(NEXT) | instid1(VALU_DEP_4)
	v_fma_f64 v[14:15], -v[88:89], v[92:93], v[14:15]
	v_fmac_f64_e32 v[0:1], v[86:87], v[92:93]
	s_delay_alu instid0(VALU_DEP_4) | instskip(NEXT) | instid1(VALU_DEP_4)
	v_fma_f64 v[16:17], -v[84:85], v[92:93], v[16:17]
	v_fmac_f64_e32 v[12:13], v[82:83], v[92:93]
	s_and_not1_b32 exec_lo, exec_lo, s2
	s_cbranch_execnz .LBB252_13
; %bb.14:
	s_or_b32 exec_lo, exec_lo, s2
.LBB252_15:
	s_delay_alu instid0(SALU_CYCLE_1)
	s_or_b32 exec_lo, exec_lo, s3
.LBB252_16:
	v_mbcnt_lo_u32_b32 v28, -1, 0
	s_delay_alu instid0(VALU_DEP_1) | instskip(NEXT) | instid1(VALU_DEP_1)
	v_or_b32_e32 v18, 32, v28
	v_cmp_gt_i32_e32 vcc_lo, 32, v18
	v_cndmask_b32_e32 v18, v28, v18, vcc_lo
	s_delay_alu instid0(VALU_DEP_1)
	v_lshlrev_b32_e32 v25, 2, v18
	ds_bpermute_b32 v20, v25, v0
	ds_bpermute_b32 v21, v25, v1
	s_wait_dscnt 0x0
	v_add_f64_e32 v[0:1], v[0:1], v[20:21]
	ds_bpermute_b32 v18, v25, v14
	ds_bpermute_b32 v19, v25, v15
	ds_bpermute_b32 v22, v25, v16
	ds_bpermute_b32 v23, v25, v17
	ds_bpermute_b32 v24, v25, v12
	ds_bpermute_b32 v25, v25, v13
	s_wait_dscnt 0x4
	v_dual_add_f64 v[14:15], v[14:15], v[18:19] :: v_dual_bitop2_b32 v18, 16, v28 bitop3:0x14
	s_wait_dscnt 0x2
	v_add_f64_e32 v[16:17], v[16:17], v[22:23]
	s_delay_alu instid0(VALU_DEP_2) | instskip(SKIP_2) | instid1(VALU_DEP_1)
	v_cmp_gt_i32_e32 vcc_lo, 32, v18
	v_cndmask_b32_e32 v18, v28, v18, vcc_lo
	s_wait_dscnt 0x0
	v_dual_add_f64 v[12:13], v[12:13], v[24:25] :: v_dual_lshlrev_b32 v25, 2, v18
	ds_bpermute_b32 v20, v25, v0
	ds_bpermute_b32 v21, v25, v1
	;; [unrolled: 1-line block ×8, first 2 shown]
	s_wait_dscnt 0x4
	v_dual_add_f64 v[14:15], v[14:15], v[18:19] :: v_dual_bitop2_b32 v18, 8, v28 bitop3:0x14
	s_wait_dscnt 0x2
	v_add_f64_e32 v[16:17], v[16:17], v[22:23]
	s_delay_alu instid0(VALU_DEP_2) | instskip(SKIP_3) | instid1(VALU_DEP_2)
	v_cmp_gt_i32_e32 vcc_lo, 32, v18
	v_cndmask_b32_e32 v18, v28, v18, vcc_lo
	v_add_f64_e32 v[0:1], v[0:1], v[20:21]
	s_wait_dscnt 0x0
	v_dual_add_f64 v[12:13], v[12:13], v[24:25] :: v_dual_lshlrev_b32 v25, 2, v18
	ds_bpermute_b32 v18, v25, v14
	ds_bpermute_b32 v19, v25, v15
	;; [unrolled: 1-line block ×5, first 2 shown]
	s_wait_dscnt 0x3
	v_dual_add_f64 v[14:15], v[14:15], v[18:19] :: v_dual_bitop2_b32 v18, 4, v28 bitop3:0x14
	ds_bpermute_b32 v22, v25, v16
	ds_bpermute_b32 v23, v25, v17
	;; [unrolled: 1-line block ×3, first 2 shown]
	v_cmp_gt_i32_e32 vcc_lo, 32, v18
	v_cndmask_b32_e32 v18, v28, v18, vcc_lo
	s_wait_dscnt 0x4
	v_add_f64_e32 v[0:1], v[0:1], v[20:21]
	s_wait_dscnt 0x1
	v_add_f64_e32 v[16:17], v[16:17], v[22:23]
	s_wait_dscnt 0x0
	v_dual_add_f64 v[12:13], v[12:13], v[24:25] :: v_dual_lshlrev_b32 v25, 2, v18
	ds_bpermute_b32 v18, v25, v14
	ds_bpermute_b32 v19, v25, v15
	;; [unrolled: 1-line block ×4, first 2 shown]
	s_wait_dscnt 0x2
	v_add_f64_e32 v[14:15], v[14:15], v[18:19]
	ds_bpermute_b32 v22, v25, v16
	ds_bpermute_b32 v23, v25, v17
	;; [unrolled: 1-line block ×4, first 2 shown]
	s_wait_dscnt 0x4
	v_add_f64_e32 v[18:19], v[0:1], v[20:21]
	v_xor_b32_e32 v0, 2, v28
	s_delay_alu instid0(VALU_DEP_1)
	v_cmp_gt_i32_e32 vcc_lo, 32, v0
	s_wait_dscnt 0x2
	v_add_f64_e32 v[20:21], v[16:17], v[22:23]
	v_cndmask_b32_e32 v0, v28, v0, vcc_lo
	s_wait_dscnt 0x0
	v_add_f64_e32 v[22:23], v[12:13], v[24:25]
	s_delay_alu instid0(VALU_DEP_2)
	v_lshlrev_b32_e32 v16, 2, v0
	ds_bpermute_b32 v0, v16, v14
	ds_bpermute_b32 v1, v16, v15
	;; [unrolled: 1-line block ×8, first 2 shown]
	s_wait_dscnt 0x6
	v_add_f64_e32 v[0:1], v[14:15], v[0:1]
	s_wait_dscnt 0x4
	v_add_f64_e32 v[16:17], v[18:19], v[12:13]
	v_xor_b32_e32 v18, 1, v28
	s_delay_alu instid0(VALU_DEP_1)
	v_cmp_gt_i32_e32 vcc_lo, 32, v18
	s_wait_dscnt 0x2
	v_add_f64_e32 v[12:13], v[20:21], v[24:25]
	v_cndmask_b32_e32 v18, v28, v18, vcc_lo
	s_wait_dscnt 0x0
	v_add_f64_e32 v[14:15], v[22:23], v[26:27]
	v_cmp_eq_u32_e32 vcc_lo, 63, v11
	s_delay_alu instid0(VALU_DEP_3)
	v_lshlrev_b32_e32 v21, 2, v18
	ds_bpermute_b32 v24, v21, v0
	ds_bpermute_b32 v25, v21, v1
	;; [unrolled: 1-line block ×8, first 2 shown]
	s_and_b32 exec_lo, exec_lo, vcc_lo
	s_cbranch_execz .LBB252_21
; %bb.17:
	v_cmp_eq_f64_e32 vcc_lo, 0, v[6:7]
	v_cmp_eq_f64_e64 s2, 0, v[8:9]
	s_wait_dscnt 0x6
	v_add_f64_e32 v[0:1], v[0:1], v[24:25]
	s_wait_dscnt 0x4
	v_add_f64_e32 v[16:17], v[16:17], v[22:23]
	;; [unrolled: 2-line block ×4, first 2 shown]
	s_load_b64 s[0:1], s[0:1], 0x48
	s_and_b32 s2, vcc_lo, s2
	s_delay_alu instid0(SALU_CYCLE_1) | instskip(NEXT) | instid1(SALU_CYCLE_1)
	s_and_saveexec_b32 s3, s2
	s_xor_b32 s2, exec_lo, s3
	s_cbranch_execz .LBB252_19
; %bb.18:
	s_delay_alu instid0(VALU_DEP_3) | instskip(SKIP_1) | instid1(VALU_DEP_3)
	v_mul_f64_e64 v[6:7], v[16:17], -v[4:5]
	v_mul_f64_e32 v[8:9], v[2:3], v[16:17]
	v_mul_f64_e64 v[16:17], v[14:15], -v[4:5]
	v_mul_f64_e32 v[18:19], v[2:3], v[14:15]
                                        ; implicit-def: $vgpr14_vgpr15
	s_delay_alu instid0(VALU_DEP_4) | instskip(NEXT) | instid1(VALU_DEP_4)
	v_fmac_f64_e32 v[6:7], v[2:3], v[0:1]
	v_fmac_f64_e32 v[8:9], v[4:5], v[0:1]
	s_delay_alu instid0(VALU_DEP_4) | instskip(NEXT) | instid1(VALU_DEP_4)
	v_fmac_f64_e32 v[16:17], v[2:3], v[12:13]
	v_fmac_f64_e32 v[18:19], v[4:5], v[12:13]
	v_lshlrev_b32_e32 v0, 1, v10
                                        ; implicit-def: $vgpr10
                                        ; implicit-def: $vgpr12_vgpr13
                                        ; implicit-def: $vgpr4_vgpr5
	s_wait_kmcnt 0x0
	s_clause 0x1
	global_store_b128 v0, v[6:9], s[0:1] scale_offset
	global_store_b128 v0, v[16:19], s[0:1] offset:16 scale_offset
                                        ; implicit-def: $vgpr0_vgpr1
                                        ; implicit-def: $vgpr16_vgpr17
                                        ; implicit-def: $vgpr8_vgpr9
.LBB252_19:
	s_wait_xcnt 0x0
	s_and_not1_saveexec_b32 s2, s2
	s_cbranch_execz .LBB252_21
; %bb.20:
	s_delay_alu instid0(VALU_DEP_3) | instskip(SKIP_1) | instid1(VALU_DEP_3)
	v_dual_mul_f64 v[26:27], v[16:17], -v[4:5] :: v_dual_lshlrev_b32 v30, 1, v10
	v_mul_f64_e32 v[16:17], v[2:3], v[16:17]
	v_mul_f64_e64 v[28:29], v[14:15], -v[4:5]
	v_mul_f64_e32 v[10:11], v[2:3], v[14:15]
	s_wait_kmcnt 0x0
	s_clause 0x1
	global_load_b128 v[18:21], v30, s[0:1] scale_offset
	global_load_b128 v[22:25], v30, s[0:1] offset:16 scale_offset
	v_fmac_f64_e32 v[26:27], v[2:3], v[0:1]
	v_fmac_f64_e32 v[16:17], v[4:5], v[0:1]
	;; [unrolled: 1-line block ×4, first 2 shown]
	s_wait_loadcnt 0x1
	s_delay_alu instid0(VALU_DEP_4) | instskip(NEXT) | instid1(VALU_DEP_4)
	v_fmac_f64_e32 v[26:27], v[6:7], v[18:19]
	v_fmac_f64_e32 v[16:17], v[8:9], v[18:19]
	s_wait_loadcnt 0x0
	s_delay_alu instid0(VALU_DEP_4) | instskip(NEXT) | instid1(VALU_DEP_4)
	v_fmac_f64_e32 v[28:29], v[6:7], v[22:23]
	v_fmac_f64_e32 v[10:11], v[8:9], v[22:23]
	s_delay_alu instid0(VALU_DEP_4) | instskip(NEXT) | instid1(VALU_DEP_4)
	v_fma_f64 v[14:15], -v[8:9], v[20:21], v[26:27]
	v_fmac_f64_e32 v[16:17], v[6:7], v[20:21]
	s_delay_alu instid0(VALU_DEP_4) | instskip(NEXT) | instid1(VALU_DEP_4)
	v_fma_f64 v[8:9], -v[8:9], v[24:25], v[28:29]
	v_fmac_f64_e32 v[10:11], v[6:7], v[24:25]
	s_clause 0x1
	global_store_b128 v30, v[14:17], s[0:1] scale_offset
	global_store_b128 v30, v[8:11], s[0:1] offset:16 scale_offset
.LBB252_21:
	s_sendmsg sendmsg(MSG_DEALLOC_VGPRS)
	s_endpgm
	.section	.rodata,"a",@progbits
	.p2align	6, 0x0
	.amdhsa_kernel _ZN9rocsparseL19gebsrmvn_2xn_kernelILj128ELj6ELj64E21rocsparse_complex_numIdEEEvi20rocsparse_direction_NS_24const_host_device_scalarIT2_EEPKiS8_PKS5_SA_S6_PS5_21rocsparse_index_base_b
		.amdhsa_group_segment_fixed_size 0
		.amdhsa_private_segment_fixed_size 0
		.amdhsa_kernarg_size 88
		.amdhsa_user_sgpr_count 2
		.amdhsa_user_sgpr_dispatch_ptr 0
		.amdhsa_user_sgpr_queue_ptr 0
		.amdhsa_user_sgpr_kernarg_segment_ptr 1
		.amdhsa_user_sgpr_dispatch_id 0
		.amdhsa_user_sgpr_kernarg_preload_length 0
		.amdhsa_user_sgpr_kernarg_preload_offset 0
		.amdhsa_user_sgpr_private_segment_size 0
		.amdhsa_wavefront_size32 1
		.amdhsa_uses_dynamic_stack 0
		.amdhsa_enable_private_segment 0
		.amdhsa_system_sgpr_workgroup_id_x 1
		.amdhsa_system_sgpr_workgroup_id_y 0
		.amdhsa_system_sgpr_workgroup_id_z 0
		.amdhsa_system_sgpr_workgroup_info 0
		.amdhsa_system_vgpr_workitem_id 0
		.amdhsa_next_free_vgpr 96
		.amdhsa_next_free_sgpr 14
		.amdhsa_named_barrier_count 0
		.amdhsa_reserve_vcc 1
		.amdhsa_float_round_mode_32 0
		.amdhsa_float_round_mode_16_64 0
		.amdhsa_float_denorm_mode_32 3
		.amdhsa_float_denorm_mode_16_64 3
		.amdhsa_fp16_overflow 0
		.amdhsa_memory_ordered 1
		.amdhsa_forward_progress 1
		.amdhsa_inst_pref_size 23
		.amdhsa_round_robin_scheduling 0
		.amdhsa_exception_fp_ieee_invalid_op 0
		.amdhsa_exception_fp_denorm_src 0
		.amdhsa_exception_fp_ieee_div_zero 0
		.amdhsa_exception_fp_ieee_overflow 0
		.amdhsa_exception_fp_ieee_underflow 0
		.amdhsa_exception_fp_ieee_inexact 0
		.amdhsa_exception_int_div_zero 0
	.end_amdhsa_kernel
	.section	.text._ZN9rocsparseL19gebsrmvn_2xn_kernelILj128ELj6ELj64E21rocsparse_complex_numIdEEEvi20rocsparse_direction_NS_24const_host_device_scalarIT2_EEPKiS8_PKS5_SA_S6_PS5_21rocsparse_index_base_b,"axG",@progbits,_ZN9rocsparseL19gebsrmvn_2xn_kernelILj128ELj6ELj64E21rocsparse_complex_numIdEEEvi20rocsparse_direction_NS_24const_host_device_scalarIT2_EEPKiS8_PKS5_SA_S6_PS5_21rocsparse_index_base_b,comdat
.Lfunc_end252:
	.size	_ZN9rocsparseL19gebsrmvn_2xn_kernelILj128ELj6ELj64E21rocsparse_complex_numIdEEEvi20rocsparse_direction_NS_24const_host_device_scalarIT2_EEPKiS8_PKS5_SA_S6_PS5_21rocsparse_index_base_b, .Lfunc_end252-_ZN9rocsparseL19gebsrmvn_2xn_kernelILj128ELj6ELj64E21rocsparse_complex_numIdEEEvi20rocsparse_direction_NS_24const_host_device_scalarIT2_EEPKiS8_PKS5_SA_S6_PS5_21rocsparse_index_base_b
                                        ; -- End function
	.set _ZN9rocsparseL19gebsrmvn_2xn_kernelILj128ELj6ELj64E21rocsparse_complex_numIdEEEvi20rocsparse_direction_NS_24const_host_device_scalarIT2_EEPKiS8_PKS5_SA_S6_PS5_21rocsparse_index_base_b.num_vgpr, 96
	.set _ZN9rocsparseL19gebsrmvn_2xn_kernelILj128ELj6ELj64E21rocsparse_complex_numIdEEEvi20rocsparse_direction_NS_24const_host_device_scalarIT2_EEPKiS8_PKS5_SA_S6_PS5_21rocsparse_index_base_b.num_agpr, 0
	.set _ZN9rocsparseL19gebsrmvn_2xn_kernelILj128ELj6ELj64E21rocsparse_complex_numIdEEEvi20rocsparse_direction_NS_24const_host_device_scalarIT2_EEPKiS8_PKS5_SA_S6_PS5_21rocsparse_index_base_b.numbered_sgpr, 14
	.set _ZN9rocsparseL19gebsrmvn_2xn_kernelILj128ELj6ELj64E21rocsparse_complex_numIdEEEvi20rocsparse_direction_NS_24const_host_device_scalarIT2_EEPKiS8_PKS5_SA_S6_PS5_21rocsparse_index_base_b.num_named_barrier, 0
	.set _ZN9rocsparseL19gebsrmvn_2xn_kernelILj128ELj6ELj64E21rocsparse_complex_numIdEEEvi20rocsparse_direction_NS_24const_host_device_scalarIT2_EEPKiS8_PKS5_SA_S6_PS5_21rocsparse_index_base_b.private_seg_size, 0
	.set _ZN9rocsparseL19gebsrmvn_2xn_kernelILj128ELj6ELj64E21rocsparse_complex_numIdEEEvi20rocsparse_direction_NS_24const_host_device_scalarIT2_EEPKiS8_PKS5_SA_S6_PS5_21rocsparse_index_base_b.uses_vcc, 1
	.set _ZN9rocsparseL19gebsrmvn_2xn_kernelILj128ELj6ELj64E21rocsparse_complex_numIdEEEvi20rocsparse_direction_NS_24const_host_device_scalarIT2_EEPKiS8_PKS5_SA_S6_PS5_21rocsparse_index_base_b.uses_flat_scratch, 0
	.set _ZN9rocsparseL19gebsrmvn_2xn_kernelILj128ELj6ELj64E21rocsparse_complex_numIdEEEvi20rocsparse_direction_NS_24const_host_device_scalarIT2_EEPKiS8_PKS5_SA_S6_PS5_21rocsparse_index_base_b.has_dyn_sized_stack, 0
	.set _ZN9rocsparseL19gebsrmvn_2xn_kernelILj128ELj6ELj64E21rocsparse_complex_numIdEEEvi20rocsparse_direction_NS_24const_host_device_scalarIT2_EEPKiS8_PKS5_SA_S6_PS5_21rocsparse_index_base_b.has_recursion, 0
	.set _ZN9rocsparseL19gebsrmvn_2xn_kernelILj128ELj6ELj64E21rocsparse_complex_numIdEEEvi20rocsparse_direction_NS_24const_host_device_scalarIT2_EEPKiS8_PKS5_SA_S6_PS5_21rocsparse_index_base_b.has_indirect_call, 0
	.section	.AMDGPU.csdata,"",@progbits
; Kernel info:
; codeLenInByte = 2944
; TotalNumSgprs: 16
; NumVgprs: 96
; ScratchSize: 0
; MemoryBound: 0
; FloatMode: 240
; IeeeMode: 1
; LDSByteSize: 0 bytes/workgroup (compile time only)
; SGPRBlocks: 0
; VGPRBlocks: 5
; NumSGPRsForWavesPerEU: 16
; NumVGPRsForWavesPerEU: 96
; NamedBarCnt: 0
; Occupancy: 10
; WaveLimiterHint : 1
; COMPUTE_PGM_RSRC2:SCRATCH_EN: 0
; COMPUTE_PGM_RSRC2:USER_SGPR: 2
; COMPUTE_PGM_RSRC2:TRAP_HANDLER: 0
; COMPUTE_PGM_RSRC2:TGID_X_EN: 1
; COMPUTE_PGM_RSRC2:TGID_Y_EN: 0
; COMPUTE_PGM_RSRC2:TGID_Z_EN: 0
; COMPUTE_PGM_RSRC2:TIDIG_COMP_CNT: 0
	.section	.text._ZN9rocsparseL19gebsrmvn_2xn_kernelILj128ELj7ELj4E21rocsparse_complex_numIdEEEvi20rocsparse_direction_NS_24const_host_device_scalarIT2_EEPKiS8_PKS5_SA_S6_PS5_21rocsparse_index_base_b,"axG",@progbits,_ZN9rocsparseL19gebsrmvn_2xn_kernelILj128ELj7ELj4E21rocsparse_complex_numIdEEEvi20rocsparse_direction_NS_24const_host_device_scalarIT2_EEPKiS8_PKS5_SA_S6_PS5_21rocsparse_index_base_b,comdat
	.globl	_ZN9rocsparseL19gebsrmvn_2xn_kernelILj128ELj7ELj4E21rocsparse_complex_numIdEEEvi20rocsparse_direction_NS_24const_host_device_scalarIT2_EEPKiS8_PKS5_SA_S6_PS5_21rocsparse_index_base_b ; -- Begin function _ZN9rocsparseL19gebsrmvn_2xn_kernelILj128ELj7ELj4E21rocsparse_complex_numIdEEEvi20rocsparse_direction_NS_24const_host_device_scalarIT2_EEPKiS8_PKS5_SA_S6_PS5_21rocsparse_index_base_b
	.p2align	8
	.type	_ZN9rocsparseL19gebsrmvn_2xn_kernelILj128ELj7ELj4E21rocsparse_complex_numIdEEEvi20rocsparse_direction_NS_24const_host_device_scalarIT2_EEPKiS8_PKS5_SA_S6_PS5_21rocsparse_index_base_b,@function
_ZN9rocsparseL19gebsrmvn_2xn_kernelILj128ELj7ELj4E21rocsparse_complex_numIdEEEvi20rocsparse_direction_NS_24const_host_device_scalarIT2_EEPKiS8_PKS5_SA_S6_PS5_21rocsparse_index_base_b: ; @_ZN9rocsparseL19gebsrmvn_2xn_kernelILj128ELj7ELj4E21rocsparse_complex_numIdEEEvi20rocsparse_direction_NS_24const_host_device_scalarIT2_EEPKiS8_PKS5_SA_S6_PS5_21rocsparse_index_base_b
; %bb.0:
	s_clause 0x1
	s_load_b64 s[12:13], s[0:1], 0x50
	s_load_b64 s[2:3], s[0:1], 0x8
	v_mov_b32_e32 v1, 0
	s_add_nc_u64 s[4:5], s[0:1], 8
	s_load_b64 s[6:7], s[0:1], 0x38
	s_wait_kmcnt 0x0
	s_bitcmp1_b32 s13, 0
	s_cselect_b32 s3, s5, s3
	s_cselect_b32 s2, s4, s2
	flat_load_b128 v[2:5], v1, s[2:3]
	s_wait_xcnt 0x0
	s_add_nc_u64 s[2:3], s[0:1], 56
	s_delay_alu instid0(SALU_CYCLE_1)
	s_cselect_b32 s3, s3, s7
	s_cselect_b32 s2, s2, s6
	flat_load_b128 v[6:9], v1, s[2:3]
	s_wait_loadcnt_dscnt 0x101
	v_cmp_eq_f64_e32 vcc_lo, 0, v[2:3]
	s_wait_xcnt 0x0
	v_cmp_eq_f64_e64 s2, 0, v[4:5]
	s_and_b32 s4, vcc_lo, s2
	s_mov_b32 s2, -1
	s_and_saveexec_b32 s3, s4
	s_cbranch_execz .LBB253_2
; %bb.1:
	s_wait_loadcnt_dscnt 0x0
	v_cmp_neq_f64_e32 vcc_lo, 1.0, v[6:7]
	v_cmp_neq_f64_e64 s2, 0, v[8:9]
	s_or_b32 s2, vcc_lo, s2
	s_delay_alu instid0(SALU_CYCLE_1)
	s_or_not1_b32 s2, s2, exec_lo
.LBB253_2:
	s_or_b32 exec_lo, exec_lo, s3
	s_and_saveexec_b32 s3, s2
	s_cbranch_execz .LBB253_21
; %bb.3:
	s_load_b64 s[2:3], s[0:1], 0x0
	s_bfe_u32 s4, ttmp6, 0x4000c
	s_and_b32 s5, ttmp6, 15
	s_add_co_i32 s4, s4, 1
	s_getreg_b32 s6, hwreg(HW_REG_IB_STS2, 6, 4)
	s_mul_i32 s4, ttmp9, s4
	v_lshrrev_b32_e32 v1, 2, v0
	s_add_co_i32 s5, s5, s4
	s_cmp_eq_u32 s6, 0
	s_cselect_b32 s4, ttmp9, s5
	s_delay_alu instid0(VALU_DEP_1) | instid1(SALU_CYCLE_1)
	v_lshl_or_b32 v10, s4, 5, v1
	s_wait_kmcnt 0x0
	s_delay_alu instid0(VALU_DEP_1)
	v_cmp_gt_i32_e32 vcc_lo, s2, v10
	s_and_b32 exec_lo, exec_lo, vcc_lo
	s_cbranch_execz .LBB253_21
; %bb.4:
	s_load_b256 s[4:11], s[0:1], 0x18
	v_ashrrev_i32_e32 v11, 31, v10
	s_cmp_lg_u32 s3, 0
	s_wait_kmcnt 0x0
	s_delay_alu instid0(VALU_DEP_1)
	v_lshl_add_u64 v[12:13], v[10:11], 2, s[4:5]
	v_and_b32_e32 v11, 3, v0
	global_load_b64 v[12:13], v[12:13], off
	s_wait_loadcnt 0x0
	v_subrev_nc_u32_e32 v0, s12, v12
	v_subrev_nc_u32_e32 v18, s12, v13
	s_delay_alu instid0(VALU_DEP_2) | instskip(NEXT) | instid1(VALU_DEP_1)
	v_add_nc_u32_e32 v19, v0, v11
	v_cmp_lt_i32_e64 s2, v19, v18
	s_cbranch_scc0 .LBB253_10
; %bb.5:
	v_mov_b64_e32 v[0:1], 0
	v_mov_b64_e32 v[14:15], 0
	;; [unrolled: 1-line block ×4, first 2 shown]
	s_and_saveexec_b32 s3, s2
	s_cbranch_execz .LBB253_9
; %bb.6:
	v_mad_u32 v20, v19, 14, 12
	v_mov_b64_e32 v[0:1], 0
	v_mov_b64_e32 v[14:15], 0
	v_mov_b64_e32 v[16:17], 0
	v_mov_b64_e32 v[12:13], 0
	v_mov_b32_e32 v21, v19
	s_mov_b32 s4, 0
.LBB253_7:                              ; =>This Inner Loop Header: Depth=1
	global_load_b32 v22, v21, s[6:7] scale_offset
	v_dual_add_nc_u32 v34, -12, v20 :: v_dual_add_nc_u32 v46, -10, v20
	s_wait_xcnt 0x0
	v_dual_add_nc_u32 v21, 4, v21 :: v_dual_add_nc_u32 v58, -8, v20
	v_dual_add_nc_u32 v70, -6, v20 :: v_dual_add_nc_u32 v82, -4, v20
	v_add_nc_u32_e32 v90, -2, v20
	s_wait_loadcnt 0x0
	v_subrev_nc_u32_e32 v22, s12, v22
	s_delay_alu instid0(VALU_DEP_1)
	v_mul_lo_u32 v94, v22, 7
	s_clause 0x1
	global_load_b128 v[22:25], v34, s[8:9] offset:16 scale_offset
	global_load_b128 v[26:29], v34, s[8:9] scale_offset
	global_load_b128 v[30:33], v94, s[10:11] scale_offset
	global_load_b128 v[34:37], v46, s[8:9] offset:16 scale_offset
	v_dual_add_nc_u32 v47, 1, v94 :: v_dual_add_nc_u32 v59, 2, v94
	v_dual_add_nc_u32 v71, 3, v94 :: v_dual_add_nc_u32 v83, 4, v94
	global_load_b128 v[38:41], v46, s[8:9] scale_offset
	global_load_b128 v[42:45], v47, s[10:11] scale_offset
	s_clause 0x1
	global_load_b128 v[46:49], v58, s[8:9] offset:16 scale_offset
	global_load_b128 v[50:53], v58, s[8:9] scale_offset
	global_load_b128 v[54:57], v59, s[10:11] scale_offset
	s_clause 0x1
	global_load_b128 v[58:61], v70, s[8:9] offset:16 scale_offset
	;; [unrolled: 4-line block ×4, first 2 shown]
	global_load_b128 v[86:89], v90, s[8:9] scale_offset
	s_wait_loadcnt 0xe
	v_fmac_f64_e32 v[14:15], v[26:27], v[30:31]
	s_wait_xcnt 0x0
	v_add_nc_u32_e32 v90, 5, v94
	v_fmac_f64_e32 v[0:1], v[28:29], v[30:31]
	v_fmac_f64_e32 v[16:17], v[22:23], v[30:31]
	;; [unrolled: 1-line block ×3, first 2 shown]
	v_dual_fma_f64 v[14:15], -v[28:29], v[32:33], v[14:15] :: v_dual_add_nc_u32 v30, 6, v94
	global_load_b128 v[90:93], v90, s[10:11] scale_offset
	v_fmac_f64_e32 v[0:1], v[26:27], v[32:33]
	v_fma_f64 v[16:17], -v[24:25], v[32:33], v[16:17]
	v_fmac_f64_e32 v[12:13], v[22:23], v[32:33]
	s_clause 0x1
	global_load_b128 v[22:25], v20, s[8:9] offset:16 scale_offset
	global_load_b128 v[26:29], v20, s[8:9] scale_offset
	global_load_b128 v[30:33], v30, s[10:11] scale_offset
	s_wait_xcnt 0x1
	v_add_nc_u32_e32 v20, 56, v20
	v_cmp_ge_i32_e32 vcc_lo, v21, v18
	s_or_b32 s4, vcc_lo, s4
	s_wait_loadcnt 0xf
	v_fmac_f64_e32 v[14:15], v[38:39], v[42:43]
	v_fmac_f64_e32 v[0:1], v[40:41], v[42:43]
	;; [unrolled: 1-line block ×4, first 2 shown]
	s_delay_alu instid0(VALU_DEP_4) | instskip(NEXT) | instid1(VALU_DEP_4)
	v_fma_f64 v[14:15], -v[40:41], v[44:45], v[14:15]
	v_fmac_f64_e32 v[0:1], v[38:39], v[44:45]
	s_delay_alu instid0(VALU_DEP_4) | instskip(NEXT) | instid1(VALU_DEP_4)
	v_fma_f64 v[16:17], -v[36:37], v[44:45], v[16:17]
	v_fmac_f64_e32 v[12:13], v[34:35], v[44:45]
	s_wait_loadcnt 0xc
	s_delay_alu instid0(VALU_DEP_4) | instskip(NEXT) | instid1(VALU_DEP_4)
	v_fmac_f64_e32 v[14:15], v[50:51], v[54:55]
	v_fmac_f64_e32 v[0:1], v[52:53], v[54:55]
	s_delay_alu instid0(VALU_DEP_4) | instskip(NEXT) | instid1(VALU_DEP_4)
	v_fmac_f64_e32 v[16:17], v[46:47], v[54:55]
	v_fmac_f64_e32 v[12:13], v[48:49], v[54:55]
	s_delay_alu instid0(VALU_DEP_4) | instskip(NEXT) | instid1(VALU_DEP_4)
	v_fma_f64 v[14:15], -v[52:53], v[56:57], v[14:15]
	v_fmac_f64_e32 v[0:1], v[50:51], v[56:57]
	s_delay_alu instid0(VALU_DEP_4) | instskip(NEXT) | instid1(VALU_DEP_4)
	v_fma_f64 v[16:17], -v[48:49], v[56:57], v[16:17]
	v_fmac_f64_e32 v[12:13], v[46:47], v[56:57]
	s_wait_loadcnt 0x9
	s_delay_alu instid0(VALU_DEP_4) | instskip(NEXT) | instid1(VALU_DEP_4)
	v_fmac_f64_e32 v[14:15], v[62:63], v[66:67]
	v_fmac_f64_e32 v[0:1], v[64:65], v[66:67]
	s_delay_alu instid0(VALU_DEP_4) | instskip(NEXT) | instid1(VALU_DEP_4)
	v_fmac_f64_e32 v[16:17], v[58:59], v[66:67]
	v_fmac_f64_e32 v[12:13], v[60:61], v[66:67]
	s_delay_alu instid0(VALU_DEP_4) | instskip(NEXT) | instid1(VALU_DEP_4)
	v_fma_f64 v[14:15], -v[64:65], v[68:69], v[14:15]
	v_fmac_f64_e32 v[0:1], v[62:63], v[68:69]
	s_delay_alu instid0(VALU_DEP_4) | instskip(NEXT) | instid1(VALU_DEP_4)
	v_fma_f64 v[16:17], -v[60:61], v[68:69], v[16:17]
	v_fmac_f64_e32 v[12:13], v[58:59], v[68:69]
	s_wait_loadcnt 0x6
	s_delay_alu instid0(VALU_DEP_4) | instskip(NEXT) | instid1(VALU_DEP_4)
	v_fmac_f64_e32 v[14:15], v[74:75], v[78:79]
	v_fmac_f64_e32 v[0:1], v[76:77], v[78:79]
	s_delay_alu instid0(VALU_DEP_4) | instskip(NEXT) | instid1(VALU_DEP_4)
	v_fmac_f64_e32 v[16:17], v[70:71], v[78:79]
	v_fmac_f64_e32 v[12:13], v[72:73], v[78:79]
	s_delay_alu instid0(VALU_DEP_4) | instskip(NEXT) | instid1(VALU_DEP_4)
	v_fma_f64 v[14:15], -v[76:77], v[80:81], v[14:15]
	v_fmac_f64_e32 v[0:1], v[74:75], v[80:81]
	s_delay_alu instid0(VALU_DEP_4) | instskip(NEXT) | instid1(VALU_DEP_4)
	v_fma_f64 v[16:17], -v[72:73], v[80:81], v[16:17]
	v_fmac_f64_e32 v[12:13], v[70:71], v[80:81]
	s_wait_loadcnt 0x3
	s_delay_alu instid0(VALU_DEP_4) | instskip(NEXT) | instid1(VALU_DEP_4)
	v_fmac_f64_e32 v[14:15], v[86:87], v[90:91]
	v_fmac_f64_e32 v[0:1], v[88:89], v[90:91]
	s_delay_alu instid0(VALU_DEP_4) | instskip(NEXT) | instid1(VALU_DEP_4)
	v_fmac_f64_e32 v[16:17], v[82:83], v[90:91]
	v_fmac_f64_e32 v[12:13], v[84:85], v[90:91]
	s_delay_alu instid0(VALU_DEP_4) | instskip(NEXT) | instid1(VALU_DEP_4)
	v_fma_f64 v[14:15], -v[88:89], v[92:93], v[14:15]
	v_fmac_f64_e32 v[0:1], v[86:87], v[92:93]
	s_delay_alu instid0(VALU_DEP_4) | instskip(NEXT) | instid1(VALU_DEP_4)
	v_fma_f64 v[16:17], -v[84:85], v[92:93], v[16:17]
	v_fmac_f64_e32 v[12:13], v[82:83], v[92:93]
	s_wait_loadcnt 0x0
	s_delay_alu instid0(VALU_DEP_4) | instskip(NEXT) | instid1(VALU_DEP_4)
	v_fmac_f64_e32 v[14:15], v[26:27], v[30:31]
	v_fmac_f64_e32 v[0:1], v[28:29], v[30:31]
	s_delay_alu instid0(VALU_DEP_4) | instskip(NEXT) | instid1(VALU_DEP_4)
	v_fmac_f64_e32 v[16:17], v[22:23], v[30:31]
	v_fmac_f64_e32 v[12:13], v[24:25], v[30:31]
	s_delay_alu instid0(VALU_DEP_4) | instskip(NEXT) | instid1(VALU_DEP_4)
	v_fma_f64 v[14:15], -v[28:29], v[32:33], v[14:15]
	v_fmac_f64_e32 v[0:1], v[26:27], v[32:33]
	s_delay_alu instid0(VALU_DEP_4) | instskip(NEXT) | instid1(VALU_DEP_4)
	v_fma_f64 v[16:17], -v[24:25], v[32:33], v[16:17]
	v_fmac_f64_e32 v[12:13], v[22:23], v[32:33]
	s_and_not1_b32 exec_lo, exec_lo, s4
	s_cbranch_execnz .LBB253_7
; %bb.8:
	s_or_b32 exec_lo, exec_lo, s4
.LBB253_9:
	s_delay_alu instid0(SALU_CYCLE_1)
	s_or_b32 exec_lo, exec_lo, s3
	s_cbranch_execz .LBB253_11
	s_branch .LBB253_16
.LBB253_10:
                                        ; implicit-def: $vgpr0_vgpr1
                                        ; implicit-def: $vgpr14_vgpr15
                                        ; implicit-def: $vgpr16_vgpr17
                                        ; implicit-def: $vgpr12_vgpr13
.LBB253_11:
	v_mov_b64_e32 v[0:1], 0
	v_mov_b64_e32 v[14:15], 0
	v_mov_b64_e32 v[16:17], 0
	v_mov_b64_e32 v[12:13], 0
	s_and_saveexec_b32 s3, s2
	s_cbranch_execz .LBB253_15
; %bb.12:
	v_mad_u32 v20, v19, 14, 13
	v_mov_b64_e32 v[0:1], 0
	v_mov_b64_e32 v[14:15], 0
	v_mov_b64_e32 v[16:17], 0
	v_mov_b64_e32 v[12:13], 0
	s_mov_b32 s2, 0
.LBB253_13:                             ; =>This Inner Loop Header: Depth=1
	global_load_b32 v21, v19, s[6:7] scale_offset
	v_dual_add_nc_u32 v38, -13, v20 :: v_dual_add_nc_u32 v39, -6, v20
	v_dual_add_nc_u32 v90, -8, v20 :: v_dual_add_nc_u32 v58, -4, v20
	s_wait_xcnt 0x0
	v_dual_add_nc_u32 v82, -2, v20 :: v_dual_add_nc_u32 v19, 4, v19
	s_delay_alu instid0(VALU_DEP_1) | instskip(SKIP_3) | instid1(VALU_DEP_1)
	v_cmp_ge_i32_e32 vcc_lo, v19, v18
	s_or_b32 s2, vcc_lo, s2
	s_wait_loadcnt 0x0
	v_subrev_nc_u32_e32 v21, s12, v21
	v_mul_lo_u32 v21, v21, 7
	s_clause 0x2
	global_load_b128 v[22:25], v38, s[8:9] offset:16 scale_offset
	global_load_b128 v[26:29], v38, s[8:9] scale_offset
	global_load_b128 v[30:33], v39, s[8:9] scale_offset
	;; [unrolled: 1-line block ×3, first 2 shown]
	v_dual_add_nc_u32 v46, -5, v20 :: v_dual_add_nc_u32 v70, -3, v20
	v_dual_add_nc_u32 v71, 3, v21 :: v_dual_add_nc_u32 v47, 1, v21
	global_load_b128 v[38:41], v46, s[8:9] scale_offset
	global_load_b128 v[42:45], v47, s[10:11] scale_offset
	s_wait_xcnt 0x1
	v_dual_add_nc_u32 v46, -11, v20 :: v_dual_add_nc_u32 v59, 2, v21
	v_dual_add_nc_u32 v83, 4, v21 :: v_dual_add_nc_u32 v91, -1, v20
	s_clause 0x1
	global_load_b128 v[46:49], v46, s[8:9] scale_offset
	global_load_b128 v[50:53], v58, s[8:9] scale_offset
	;; [unrolled: 1-line block ×3, first 2 shown]
	s_wait_xcnt 0x1
	v_add_nc_u32_e32 v58, -10, v20
	s_clause 0x1
	global_load_b128 v[58:61], v58, s[8:9] scale_offset
	global_load_b128 v[62:65], v70, s[8:9] scale_offset
	;; [unrolled: 1-line block ×3, first 2 shown]
	s_wait_xcnt 0x1
	v_add_nc_u32_e32 v70, -9, v20
	s_clause 0x1
	global_load_b128 v[70:73], v70, s[8:9] scale_offset
	global_load_b128 v[74:77], v82, s[8:9] scale_offset
	;; [unrolled: 1-line block ×3, first 2 shown]
	s_clause 0x1
	global_load_b128 v[82:85], v90, s[8:9] scale_offset
	global_load_b128 v[86:89], v91, s[8:9] scale_offset
	s_wait_xcnt 0x1
	v_dual_add_nc_u32 v90, 5, v21 :: v_dual_add_nc_u32 v21, 6, v21
	global_load_b128 v[90:93], v90, s[10:11] scale_offset
	s_wait_loadcnt 0xe
	v_fmac_f64_e32 v[14:15], v[26:27], v[34:35]
	v_fmac_f64_e32 v[0:1], v[28:29], v[34:35]
	;; [unrolled: 1-line block ×4, first 2 shown]
	v_add_nc_u32_e32 v34, -7, v20
	v_fma_f64 v[14:15], -v[28:29], v[36:37], v[14:15]
	v_fmac_f64_e32 v[0:1], v[26:27], v[36:37]
	v_fma_f64 v[16:17], -v[32:33], v[36:37], v[16:17]
	v_fmac_f64_e32 v[12:13], v[30:31], v[36:37]
	s_clause 0x1
	global_load_b128 v[26:29], v20, s[8:9] scale_offset
	global_load_b128 v[30:33], v34, s[8:9] scale_offset
	;; [unrolled: 1-line block ×3, first 2 shown]
	v_add_nc_u32_e32 v20, 56, v20
	s_wait_loadcnt 0xf
	v_fmac_f64_e32 v[14:15], v[22:23], v[42:43]
	v_fmac_f64_e32 v[0:1], v[24:25], v[42:43]
	;; [unrolled: 1-line block ×4, first 2 shown]
	s_delay_alu instid0(VALU_DEP_4) | instskip(NEXT) | instid1(VALU_DEP_4)
	v_fma_f64 v[14:15], -v[24:25], v[44:45], v[14:15]
	v_fmac_f64_e32 v[0:1], v[22:23], v[44:45]
	s_delay_alu instid0(VALU_DEP_4) | instskip(NEXT) | instid1(VALU_DEP_4)
	v_fma_f64 v[16:17], -v[40:41], v[44:45], v[16:17]
	v_fmac_f64_e32 v[12:13], v[38:39], v[44:45]
	s_wait_loadcnt 0xc
	s_delay_alu instid0(VALU_DEP_4) | instskip(NEXT) | instid1(VALU_DEP_4)
	v_fmac_f64_e32 v[14:15], v[46:47], v[54:55]
	v_fmac_f64_e32 v[0:1], v[48:49], v[54:55]
	s_delay_alu instid0(VALU_DEP_4) | instskip(NEXT) | instid1(VALU_DEP_4)
	v_fmac_f64_e32 v[16:17], v[50:51], v[54:55]
	v_fmac_f64_e32 v[12:13], v[52:53], v[54:55]
	s_delay_alu instid0(VALU_DEP_4) | instskip(NEXT) | instid1(VALU_DEP_4)
	v_fma_f64 v[14:15], -v[48:49], v[56:57], v[14:15]
	v_fmac_f64_e32 v[0:1], v[46:47], v[56:57]
	s_delay_alu instid0(VALU_DEP_4) | instskip(NEXT) | instid1(VALU_DEP_4)
	v_fma_f64 v[16:17], -v[52:53], v[56:57], v[16:17]
	v_fmac_f64_e32 v[12:13], v[50:51], v[56:57]
	s_wait_loadcnt 0x9
	s_delay_alu instid0(VALU_DEP_4) | instskip(NEXT) | instid1(VALU_DEP_4)
	v_fmac_f64_e32 v[14:15], v[58:59], v[66:67]
	v_fmac_f64_e32 v[0:1], v[60:61], v[66:67]
	s_delay_alu instid0(VALU_DEP_4) | instskip(NEXT) | instid1(VALU_DEP_4)
	v_fmac_f64_e32 v[16:17], v[62:63], v[66:67]
	v_fmac_f64_e32 v[12:13], v[64:65], v[66:67]
	;; [unrolled: 13-line block ×5, first 2 shown]
	s_delay_alu instid0(VALU_DEP_4) | instskip(NEXT) | instid1(VALU_DEP_4)
	v_fma_f64 v[14:15], -v[32:33], v[36:37], v[14:15]
	v_fmac_f64_e32 v[0:1], v[30:31], v[36:37]
	s_delay_alu instid0(VALU_DEP_4) | instskip(NEXT) | instid1(VALU_DEP_4)
	v_fma_f64 v[16:17], -v[28:29], v[36:37], v[16:17]
	v_fmac_f64_e32 v[12:13], v[26:27], v[36:37]
	s_and_not1_b32 exec_lo, exec_lo, s2
	s_cbranch_execnz .LBB253_13
; %bb.14:
	s_or_b32 exec_lo, exec_lo, s2
.LBB253_15:
	s_delay_alu instid0(SALU_CYCLE_1)
	s_or_b32 exec_lo, exec_lo, s3
.LBB253_16:
	v_mbcnt_lo_u32_b32 v28, -1, 0
	s_delay_alu instid0(VALU_DEP_1) | instskip(NEXT) | instid1(VALU_DEP_1)
	v_xor_b32_e32 v18, 2, v28
	v_cmp_gt_i32_e32 vcc_lo, 32, v18
	v_cndmask_b32_e32 v18, v28, v18, vcc_lo
	s_delay_alu instid0(VALU_DEP_1)
	v_lshlrev_b32_e32 v22, 2, v18
	ds_bpermute_b32 v20, v22, v0
	ds_bpermute_b32 v21, v22, v1
	s_wait_dscnt 0x0
	v_add_f64_e32 v[20:21], v[0:1], v[20:21]
	ds_bpermute_b32 v18, v22, v14
	ds_bpermute_b32 v19, v22, v15
	;; [unrolled: 1-line block ×6, first 2 shown]
	v_xor_b32_e32 v0, 1, v28
	s_delay_alu instid0(VALU_DEP_1)
	v_cmp_gt_i32_e32 vcc_lo, 32, v0
	v_cndmask_b32_e32 v0, v28, v0, vcc_lo
	v_cmp_eq_u32_e32 vcc_lo, 3, v11
	s_wait_dscnt 0x4
	v_add_f64_e32 v[22:23], v[14:15], v[18:19]
	s_wait_dscnt 0x2
	v_add_f64_e32 v[14:15], v[16:17], v[24:25]
	s_wait_dscnt 0x0
	v_dual_add_f64 v[18:19], v[12:13], v[26:27] :: v_dual_lshlrev_b32 v25, 2, v0
	ds_bpermute_b32 v16, v25, v20
	ds_bpermute_b32 v17, v25, v21
	;; [unrolled: 1-line block ×8, first 2 shown]
	s_and_b32 exec_lo, exec_lo, vcc_lo
	s_cbranch_execz .LBB253_21
; %bb.17:
	v_cmp_eq_f64_e32 vcc_lo, 0, v[6:7]
	v_cmp_eq_f64_e64 s2, 0, v[8:9]
	s_wait_dscnt 0x4
	v_add_f64_e32 v[0:1], v[22:23], v[0:1]
	v_add_f64_e32 v[16:17], v[20:21], v[16:17]
	s_wait_dscnt 0x2
	v_add_f64_e32 v[12:13], v[14:15], v[12:13]
	s_wait_dscnt 0x0
	v_add_f64_e32 v[14:15], v[18:19], v[24:25]
	s_load_b64 s[0:1], s[0:1], 0x48
	s_and_b32 s2, vcc_lo, s2
	s_delay_alu instid0(SALU_CYCLE_1) | instskip(NEXT) | instid1(SALU_CYCLE_1)
	s_and_saveexec_b32 s3, s2
	s_xor_b32 s2, exec_lo, s3
	s_cbranch_execz .LBB253_19
; %bb.18:
	s_delay_alu instid0(VALU_DEP_3) | instskip(SKIP_1) | instid1(VALU_DEP_3)
	v_mul_f64_e64 v[6:7], v[16:17], -v[4:5]
	v_mul_f64_e32 v[8:9], v[2:3], v[16:17]
	v_mul_f64_e64 v[16:17], v[14:15], -v[4:5]
	v_mul_f64_e32 v[18:19], v[2:3], v[14:15]
                                        ; implicit-def: $vgpr14_vgpr15
	s_delay_alu instid0(VALU_DEP_4) | instskip(NEXT) | instid1(VALU_DEP_4)
	v_fmac_f64_e32 v[6:7], v[2:3], v[0:1]
	v_fmac_f64_e32 v[8:9], v[4:5], v[0:1]
	s_delay_alu instid0(VALU_DEP_4) | instskip(NEXT) | instid1(VALU_DEP_4)
	v_fmac_f64_e32 v[16:17], v[2:3], v[12:13]
	v_fmac_f64_e32 v[18:19], v[4:5], v[12:13]
	v_lshlrev_b32_e32 v0, 1, v10
                                        ; implicit-def: $vgpr10
                                        ; implicit-def: $vgpr12_vgpr13
                                        ; implicit-def: $vgpr4_vgpr5
	s_wait_kmcnt 0x0
	s_clause 0x1
	global_store_b128 v0, v[6:9], s[0:1] scale_offset
	global_store_b128 v0, v[16:19], s[0:1] offset:16 scale_offset
                                        ; implicit-def: $vgpr0_vgpr1
                                        ; implicit-def: $vgpr16_vgpr17
                                        ; implicit-def: $vgpr8_vgpr9
.LBB253_19:
	s_wait_xcnt 0x0
	s_and_not1_saveexec_b32 s2, s2
	s_cbranch_execz .LBB253_21
; %bb.20:
	s_delay_alu instid0(VALU_DEP_3) | instskip(SKIP_1) | instid1(VALU_DEP_3)
	v_dual_mul_f64 v[26:27], v[16:17], -v[4:5] :: v_dual_lshlrev_b32 v30, 1, v10
	v_mul_f64_e32 v[16:17], v[2:3], v[16:17]
	v_mul_f64_e64 v[28:29], v[14:15], -v[4:5]
	v_mul_f64_e32 v[10:11], v[2:3], v[14:15]
	s_wait_kmcnt 0x0
	s_clause 0x1
	global_load_b128 v[18:21], v30, s[0:1] scale_offset
	global_load_b128 v[22:25], v30, s[0:1] offset:16 scale_offset
	v_fmac_f64_e32 v[26:27], v[2:3], v[0:1]
	v_fmac_f64_e32 v[16:17], v[4:5], v[0:1]
	;; [unrolled: 1-line block ×4, first 2 shown]
	s_wait_loadcnt 0x1
	s_delay_alu instid0(VALU_DEP_4) | instskip(NEXT) | instid1(VALU_DEP_4)
	v_fmac_f64_e32 v[26:27], v[6:7], v[18:19]
	v_fmac_f64_e32 v[16:17], v[8:9], v[18:19]
	s_wait_loadcnt 0x0
	s_delay_alu instid0(VALU_DEP_4) | instskip(NEXT) | instid1(VALU_DEP_4)
	v_fmac_f64_e32 v[28:29], v[6:7], v[22:23]
	v_fmac_f64_e32 v[10:11], v[8:9], v[22:23]
	s_delay_alu instid0(VALU_DEP_4) | instskip(NEXT) | instid1(VALU_DEP_4)
	v_fma_f64 v[14:15], -v[8:9], v[20:21], v[26:27]
	v_fmac_f64_e32 v[16:17], v[6:7], v[20:21]
	s_delay_alu instid0(VALU_DEP_4) | instskip(NEXT) | instid1(VALU_DEP_4)
	v_fma_f64 v[8:9], -v[8:9], v[24:25], v[28:29]
	v_fmac_f64_e32 v[10:11], v[6:7], v[24:25]
	s_clause 0x1
	global_store_b128 v30, v[14:17], s[0:1] scale_offset
	global_store_b128 v30, v[8:11], s[0:1] offset:16 scale_offset
.LBB253_21:
	s_sendmsg sendmsg(MSG_DEALLOC_VGPRS)
	s_endpgm
	.section	.rodata,"a",@progbits
	.p2align	6, 0x0
	.amdhsa_kernel _ZN9rocsparseL19gebsrmvn_2xn_kernelILj128ELj7ELj4E21rocsparse_complex_numIdEEEvi20rocsparse_direction_NS_24const_host_device_scalarIT2_EEPKiS8_PKS5_SA_S6_PS5_21rocsparse_index_base_b
		.amdhsa_group_segment_fixed_size 0
		.amdhsa_private_segment_fixed_size 0
		.amdhsa_kernarg_size 88
		.amdhsa_user_sgpr_count 2
		.amdhsa_user_sgpr_dispatch_ptr 0
		.amdhsa_user_sgpr_queue_ptr 0
		.amdhsa_user_sgpr_kernarg_segment_ptr 1
		.amdhsa_user_sgpr_dispatch_id 0
		.amdhsa_user_sgpr_kernarg_preload_length 0
		.amdhsa_user_sgpr_kernarg_preload_offset 0
		.amdhsa_user_sgpr_private_segment_size 0
		.amdhsa_wavefront_size32 1
		.amdhsa_uses_dynamic_stack 0
		.amdhsa_enable_private_segment 0
		.amdhsa_system_sgpr_workgroup_id_x 1
		.amdhsa_system_sgpr_workgroup_id_y 0
		.amdhsa_system_sgpr_workgroup_id_z 0
		.amdhsa_system_sgpr_workgroup_info 0
		.amdhsa_system_vgpr_workitem_id 0
		.amdhsa_next_free_vgpr 95
		.amdhsa_next_free_sgpr 14
		.amdhsa_named_barrier_count 0
		.amdhsa_reserve_vcc 1
		.amdhsa_float_round_mode_32 0
		.amdhsa_float_round_mode_16_64 0
		.amdhsa_float_denorm_mode_32 3
		.amdhsa_float_denorm_mode_16_64 3
		.amdhsa_fp16_overflow 0
		.amdhsa_memory_ordered 1
		.amdhsa_forward_progress 1
		.amdhsa_inst_pref_size 22
		.amdhsa_round_robin_scheduling 0
		.amdhsa_exception_fp_ieee_invalid_op 0
		.amdhsa_exception_fp_denorm_src 0
		.amdhsa_exception_fp_ieee_div_zero 0
		.amdhsa_exception_fp_ieee_overflow 0
		.amdhsa_exception_fp_ieee_underflow 0
		.amdhsa_exception_fp_ieee_inexact 0
		.amdhsa_exception_int_div_zero 0
	.end_amdhsa_kernel
	.section	.text._ZN9rocsparseL19gebsrmvn_2xn_kernelILj128ELj7ELj4E21rocsparse_complex_numIdEEEvi20rocsparse_direction_NS_24const_host_device_scalarIT2_EEPKiS8_PKS5_SA_S6_PS5_21rocsparse_index_base_b,"axG",@progbits,_ZN9rocsparseL19gebsrmvn_2xn_kernelILj128ELj7ELj4E21rocsparse_complex_numIdEEEvi20rocsparse_direction_NS_24const_host_device_scalarIT2_EEPKiS8_PKS5_SA_S6_PS5_21rocsparse_index_base_b,comdat
.Lfunc_end253:
	.size	_ZN9rocsparseL19gebsrmvn_2xn_kernelILj128ELj7ELj4E21rocsparse_complex_numIdEEEvi20rocsparse_direction_NS_24const_host_device_scalarIT2_EEPKiS8_PKS5_SA_S6_PS5_21rocsparse_index_base_b, .Lfunc_end253-_ZN9rocsparseL19gebsrmvn_2xn_kernelILj128ELj7ELj4E21rocsparse_complex_numIdEEEvi20rocsparse_direction_NS_24const_host_device_scalarIT2_EEPKiS8_PKS5_SA_S6_PS5_21rocsparse_index_base_b
                                        ; -- End function
	.set _ZN9rocsparseL19gebsrmvn_2xn_kernelILj128ELj7ELj4E21rocsparse_complex_numIdEEEvi20rocsparse_direction_NS_24const_host_device_scalarIT2_EEPKiS8_PKS5_SA_S6_PS5_21rocsparse_index_base_b.num_vgpr, 95
	.set _ZN9rocsparseL19gebsrmvn_2xn_kernelILj128ELj7ELj4E21rocsparse_complex_numIdEEEvi20rocsparse_direction_NS_24const_host_device_scalarIT2_EEPKiS8_PKS5_SA_S6_PS5_21rocsparse_index_base_b.num_agpr, 0
	.set _ZN9rocsparseL19gebsrmvn_2xn_kernelILj128ELj7ELj4E21rocsparse_complex_numIdEEEvi20rocsparse_direction_NS_24const_host_device_scalarIT2_EEPKiS8_PKS5_SA_S6_PS5_21rocsparse_index_base_b.numbered_sgpr, 14
	.set _ZN9rocsparseL19gebsrmvn_2xn_kernelILj128ELj7ELj4E21rocsparse_complex_numIdEEEvi20rocsparse_direction_NS_24const_host_device_scalarIT2_EEPKiS8_PKS5_SA_S6_PS5_21rocsparse_index_base_b.num_named_barrier, 0
	.set _ZN9rocsparseL19gebsrmvn_2xn_kernelILj128ELj7ELj4E21rocsparse_complex_numIdEEEvi20rocsparse_direction_NS_24const_host_device_scalarIT2_EEPKiS8_PKS5_SA_S6_PS5_21rocsparse_index_base_b.private_seg_size, 0
	.set _ZN9rocsparseL19gebsrmvn_2xn_kernelILj128ELj7ELj4E21rocsparse_complex_numIdEEEvi20rocsparse_direction_NS_24const_host_device_scalarIT2_EEPKiS8_PKS5_SA_S6_PS5_21rocsparse_index_base_b.uses_vcc, 1
	.set _ZN9rocsparseL19gebsrmvn_2xn_kernelILj128ELj7ELj4E21rocsparse_complex_numIdEEEvi20rocsparse_direction_NS_24const_host_device_scalarIT2_EEPKiS8_PKS5_SA_S6_PS5_21rocsparse_index_base_b.uses_flat_scratch, 0
	.set _ZN9rocsparseL19gebsrmvn_2xn_kernelILj128ELj7ELj4E21rocsparse_complex_numIdEEEvi20rocsparse_direction_NS_24const_host_device_scalarIT2_EEPKiS8_PKS5_SA_S6_PS5_21rocsparse_index_base_b.has_dyn_sized_stack, 0
	.set _ZN9rocsparseL19gebsrmvn_2xn_kernelILj128ELj7ELj4E21rocsparse_complex_numIdEEEvi20rocsparse_direction_NS_24const_host_device_scalarIT2_EEPKiS8_PKS5_SA_S6_PS5_21rocsparse_index_base_b.has_recursion, 0
	.set _ZN9rocsparseL19gebsrmvn_2xn_kernelILj128ELj7ELj4E21rocsparse_complex_numIdEEEvi20rocsparse_direction_NS_24const_host_device_scalarIT2_EEPKiS8_PKS5_SA_S6_PS5_21rocsparse_index_base_b.has_indirect_call, 0
	.section	.AMDGPU.csdata,"",@progbits
; Kernel info:
; codeLenInByte = 2708
; TotalNumSgprs: 16
; NumVgprs: 95
; ScratchSize: 0
; MemoryBound: 0
; FloatMode: 240
; IeeeMode: 1
; LDSByteSize: 0 bytes/workgroup (compile time only)
; SGPRBlocks: 0
; VGPRBlocks: 5
; NumSGPRsForWavesPerEU: 16
; NumVGPRsForWavesPerEU: 95
; NamedBarCnt: 0
; Occupancy: 10
; WaveLimiterHint : 1
; COMPUTE_PGM_RSRC2:SCRATCH_EN: 0
; COMPUTE_PGM_RSRC2:USER_SGPR: 2
; COMPUTE_PGM_RSRC2:TRAP_HANDLER: 0
; COMPUTE_PGM_RSRC2:TGID_X_EN: 1
; COMPUTE_PGM_RSRC2:TGID_Y_EN: 0
; COMPUTE_PGM_RSRC2:TGID_Z_EN: 0
; COMPUTE_PGM_RSRC2:TIDIG_COMP_CNT: 0
	.section	.text._ZN9rocsparseL19gebsrmvn_2xn_kernelILj128ELj7ELj8E21rocsparse_complex_numIdEEEvi20rocsparse_direction_NS_24const_host_device_scalarIT2_EEPKiS8_PKS5_SA_S6_PS5_21rocsparse_index_base_b,"axG",@progbits,_ZN9rocsparseL19gebsrmvn_2xn_kernelILj128ELj7ELj8E21rocsparse_complex_numIdEEEvi20rocsparse_direction_NS_24const_host_device_scalarIT2_EEPKiS8_PKS5_SA_S6_PS5_21rocsparse_index_base_b,comdat
	.globl	_ZN9rocsparseL19gebsrmvn_2xn_kernelILj128ELj7ELj8E21rocsparse_complex_numIdEEEvi20rocsparse_direction_NS_24const_host_device_scalarIT2_EEPKiS8_PKS5_SA_S6_PS5_21rocsparse_index_base_b ; -- Begin function _ZN9rocsparseL19gebsrmvn_2xn_kernelILj128ELj7ELj8E21rocsparse_complex_numIdEEEvi20rocsparse_direction_NS_24const_host_device_scalarIT2_EEPKiS8_PKS5_SA_S6_PS5_21rocsparse_index_base_b
	.p2align	8
	.type	_ZN9rocsparseL19gebsrmvn_2xn_kernelILj128ELj7ELj8E21rocsparse_complex_numIdEEEvi20rocsparse_direction_NS_24const_host_device_scalarIT2_EEPKiS8_PKS5_SA_S6_PS5_21rocsparse_index_base_b,@function
_ZN9rocsparseL19gebsrmvn_2xn_kernelILj128ELj7ELj8E21rocsparse_complex_numIdEEEvi20rocsparse_direction_NS_24const_host_device_scalarIT2_EEPKiS8_PKS5_SA_S6_PS5_21rocsparse_index_base_b: ; @_ZN9rocsparseL19gebsrmvn_2xn_kernelILj128ELj7ELj8E21rocsparse_complex_numIdEEEvi20rocsparse_direction_NS_24const_host_device_scalarIT2_EEPKiS8_PKS5_SA_S6_PS5_21rocsparse_index_base_b
; %bb.0:
	s_clause 0x1
	s_load_b64 s[12:13], s[0:1], 0x50
	s_load_b64 s[2:3], s[0:1], 0x8
	v_mov_b32_e32 v1, 0
	s_add_nc_u64 s[4:5], s[0:1], 8
	s_load_b64 s[6:7], s[0:1], 0x38
	s_wait_kmcnt 0x0
	s_bitcmp1_b32 s13, 0
	s_cselect_b32 s3, s5, s3
	s_cselect_b32 s2, s4, s2
	flat_load_b128 v[2:5], v1, s[2:3]
	s_wait_xcnt 0x0
	s_add_nc_u64 s[2:3], s[0:1], 56
	s_delay_alu instid0(SALU_CYCLE_1)
	s_cselect_b32 s3, s3, s7
	s_cselect_b32 s2, s2, s6
	flat_load_b128 v[6:9], v1, s[2:3]
	s_wait_loadcnt_dscnt 0x101
	v_cmp_eq_f64_e32 vcc_lo, 0, v[2:3]
	s_wait_xcnt 0x0
	v_cmp_eq_f64_e64 s2, 0, v[4:5]
	s_and_b32 s4, vcc_lo, s2
	s_mov_b32 s2, -1
	s_and_saveexec_b32 s3, s4
	s_cbranch_execz .LBB254_2
; %bb.1:
	s_wait_loadcnt_dscnt 0x0
	v_cmp_neq_f64_e32 vcc_lo, 1.0, v[6:7]
	v_cmp_neq_f64_e64 s2, 0, v[8:9]
	s_or_b32 s2, vcc_lo, s2
	s_delay_alu instid0(SALU_CYCLE_1)
	s_or_not1_b32 s2, s2, exec_lo
.LBB254_2:
	s_or_b32 exec_lo, exec_lo, s3
	s_and_saveexec_b32 s3, s2
	s_cbranch_execz .LBB254_21
; %bb.3:
	s_load_b64 s[2:3], s[0:1], 0x0
	s_bfe_u32 s4, ttmp6, 0x4000c
	s_and_b32 s5, ttmp6, 15
	s_add_co_i32 s4, s4, 1
	s_getreg_b32 s6, hwreg(HW_REG_IB_STS2, 6, 4)
	s_mul_i32 s4, ttmp9, s4
	v_lshrrev_b32_e32 v1, 3, v0
	s_add_co_i32 s5, s5, s4
	s_cmp_eq_u32 s6, 0
	s_cselect_b32 s4, ttmp9, s5
	s_delay_alu instid0(VALU_DEP_1) | instid1(SALU_CYCLE_1)
	v_lshl_or_b32 v10, s4, 4, v1
	s_wait_kmcnt 0x0
	s_delay_alu instid0(VALU_DEP_1)
	v_cmp_gt_i32_e32 vcc_lo, s2, v10
	s_and_b32 exec_lo, exec_lo, vcc_lo
	s_cbranch_execz .LBB254_21
; %bb.4:
	s_load_b256 s[4:11], s[0:1], 0x18
	v_ashrrev_i32_e32 v11, 31, v10
	s_cmp_lg_u32 s3, 0
	s_wait_kmcnt 0x0
	s_delay_alu instid0(VALU_DEP_1)
	v_lshl_add_u64 v[12:13], v[10:11], 2, s[4:5]
	v_and_b32_e32 v11, 7, v0
	global_load_b64 v[12:13], v[12:13], off
	s_wait_loadcnt 0x0
	v_subrev_nc_u32_e32 v0, s12, v12
	v_subrev_nc_u32_e32 v18, s12, v13
	s_delay_alu instid0(VALU_DEP_2) | instskip(NEXT) | instid1(VALU_DEP_1)
	v_add_nc_u32_e32 v19, v0, v11
	v_cmp_lt_i32_e64 s2, v19, v18
	s_cbranch_scc0 .LBB254_10
; %bb.5:
	v_mov_b64_e32 v[0:1], 0
	v_mov_b64_e32 v[14:15], 0
	;; [unrolled: 1-line block ×4, first 2 shown]
	s_and_saveexec_b32 s3, s2
	s_cbranch_execz .LBB254_9
; %bb.6:
	v_mad_u32 v20, v19, 14, 12
	v_mov_b64_e32 v[0:1], 0
	v_mov_b64_e32 v[14:15], 0
	;; [unrolled: 1-line block ×4, first 2 shown]
	v_mov_b32_e32 v21, v19
	s_mov_b32 s4, 0
.LBB254_7:                              ; =>This Inner Loop Header: Depth=1
	global_load_b32 v22, v21, s[6:7] scale_offset
	v_dual_add_nc_u32 v34, -12, v20 :: v_dual_add_nc_u32 v46, -10, v20
	s_wait_xcnt 0x0
	v_dual_add_nc_u32 v21, 8, v21 :: v_dual_add_nc_u32 v58, -8, v20
	v_dual_add_nc_u32 v70, -6, v20 :: v_dual_add_nc_u32 v82, -4, v20
	v_add_nc_u32_e32 v90, -2, v20
	s_delay_alu instid0(VALU_DEP_3) | instskip(SKIP_3) | instid1(VALU_DEP_1)
	v_cmp_ge_i32_e32 vcc_lo, v21, v18
	s_or_b32 s4, vcc_lo, s4
	s_wait_loadcnt 0x0
	v_subrev_nc_u32_e32 v22, s12, v22
	v_mul_lo_u32 v94, v22, 7
	s_clause 0x1
	global_load_b128 v[22:25], v34, s[8:9] offset:16 scale_offset
	global_load_b128 v[26:29], v34, s[8:9] scale_offset
	global_load_b128 v[30:33], v94, s[10:11] scale_offset
	global_load_b128 v[34:37], v46, s[8:9] offset:16 scale_offset
	v_dual_add_nc_u32 v47, 1, v94 :: v_dual_add_nc_u32 v59, 2, v94
	v_dual_add_nc_u32 v71, 3, v94 :: v_dual_add_nc_u32 v83, 4, v94
	global_load_b128 v[38:41], v46, s[8:9] scale_offset
	global_load_b128 v[42:45], v47, s[10:11] scale_offset
	s_clause 0x1
	global_load_b128 v[46:49], v58, s[8:9] offset:16 scale_offset
	global_load_b128 v[50:53], v58, s[8:9] scale_offset
	global_load_b128 v[54:57], v59, s[10:11] scale_offset
	s_clause 0x1
	global_load_b128 v[58:61], v70, s[8:9] offset:16 scale_offset
	;; [unrolled: 4-line block ×4, first 2 shown]
	global_load_b128 v[86:89], v90, s[8:9] scale_offset
	s_wait_loadcnt 0xe
	v_fmac_f64_e32 v[14:15], v[26:27], v[30:31]
	s_wait_xcnt 0x0
	v_add_nc_u32_e32 v90, 5, v94
	v_fmac_f64_e32 v[0:1], v[28:29], v[30:31]
	v_fmac_f64_e32 v[16:17], v[22:23], v[30:31]
	;; [unrolled: 1-line block ×3, first 2 shown]
	v_dual_fma_f64 v[14:15], -v[28:29], v[32:33], v[14:15] :: v_dual_add_nc_u32 v30, 6, v94
	global_load_b128 v[90:93], v90, s[10:11] scale_offset
	v_fmac_f64_e32 v[0:1], v[26:27], v[32:33]
	v_fma_f64 v[16:17], -v[24:25], v[32:33], v[16:17]
	v_fmac_f64_e32 v[12:13], v[22:23], v[32:33]
	s_clause 0x1
	global_load_b128 v[22:25], v20, s[8:9] offset:16 scale_offset
	global_load_b128 v[26:29], v20, s[8:9] scale_offset
	global_load_b128 v[30:33], v30, s[10:11] scale_offset
	s_wait_xcnt 0x1
	v_add_nc_u32_e32 v20, 0x70, v20
	s_wait_loadcnt 0xf
	v_fmac_f64_e32 v[14:15], v[38:39], v[42:43]
	v_fmac_f64_e32 v[0:1], v[40:41], v[42:43]
	;; [unrolled: 1-line block ×4, first 2 shown]
	s_delay_alu instid0(VALU_DEP_4) | instskip(NEXT) | instid1(VALU_DEP_4)
	v_fma_f64 v[14:15], -v[40:41], v[44:45], v[14:15]
	v_fmac_f64_e32 v[0:1], v[38:39], v[44:45]
	s_delay_alu instid0(VALU_DEP_4) | instskip(NEXT) | instid1(VALU_DEP_4)
	v_fma_f64 v[16:17], -v[36:37], v[44:45], v[16:17]
	v_fmac_f64_e32 v[12:13], v[34:35], v[44:45]
	s_wait_loadcnt 0xc
	s_delay_alu instid0(VALU_DEP_4) | instskip(NEXT) | instid1(VALU_DEP_4)
	v_fmac_f64_e32 v[14:15], v[50:51], v[54:55]
	v_fmac_f64_e32 v[0:1], v[52:53], v[54:55]
	s_delay_alu instid0(VALU_DEP_4) | instskip(NEXT) | instid1(VALU_DEP_4)
	v_fmac_f64_e32 v[16:17], v[46:47], v[54:55]
	v_fmac_f64_e32 v[12:13], v[48:49], v[54:55]
	s_delay_alu instid0(VALU_DEP_4) | instskip(NEXT) | instid1(VALU_DEP_4)
	v_fma_f64 v[14:15], -v[52:53], v[56:57], v[14:15]
	v_fmac_f64_e32 v[0:1], v[50:51], v[56:57]
	s_delay_alu instid0(VALU_DEP_4) | instskip(NEXT) | instid1(VALU_DEP_4)
	v_fma_f64 v[16:17], -v[48:49], v[56:57], v[16:17]
	v_fmac_f64_e32 v[12:13], v[46:47], v[56:57]
	s_wait_loadcnt 0x9
	s_delay_alu instid0(VALU_DEP_4) | instskip(NEXT) | instid1(VALU_DEP_4)
	v_fmac_f64_e32 v[14:15], v[62:63], v[66:67]
	v_fmac_f64_e32 v[0:1], v[64:65], v[66:67]
	s_delay_alu instid0(VALU_DEP_4) | instskip(NEXT) | instid1(VALU_DEP_4)
	v_fmac_f64_e32 v[16:17], v[58:59], v[66:67]
	v_fmac_f64_e32 v[12:13], v[60:61], v[66:67]
	;; [unrolled: 13-line block ×5, first 2 shown]
	s_delay_alu instid0(VALU_DEP_4) | instskip(NEXT) | instid1(VALU_DEP_4)
	v_fma_f64 v[14:15], -v[28:29], v[32:33], v[14:15]
	v_fmac_f64_e32 v[0:1], v[26:27], v[32:33]
	s_delay_alu instid0(VALU_DEP_4) | instskip(NEXT) | instid1(VALU_DEP_4)
	v_fma_f64 v[16:17], -v[24:25], v[32:33], v[16:17]
	v_fmac_f64_e32 v[12:13], v[22:23], v[32:33]
	s_and_not1_b32 exec_lo, exec_lo, s4
	s_cbranch_execnz .LBB254_7
; %bb.8:
	s_or_b32 exec_lo, exec_lo, s4
.LBB254_9:
	s_delay_alu instid0(SALU_CYCLE_1)
	s_or_b32 exec_lo, exec_lo, s3
	s_cbranch_execz .LBB254_11
	s_branch .LBB254_16
.LBB254_10:
                                        ; implicit-def: $vgpr0_vgpr1
                                        ; implicit-def: $vgpr14_vgpr15
                                        ; implicit-def: $vgpr16_vgpr17
                                        ; implicit-def: $vgpr12_vgpr13
.LBB254_11:
	v_mov_b64_e32 v[0:1], 0
	v_mov_b64_e32 v[14:15], 0
	;; [unrolled: 1-line block ×4, first 2 shown]
	s_and_saveexec_b32 s3, s2
	s_cbranch_execz .LBB254_15
; %bb.12:
	v_mad_u32 v20, v19, 14, 13
	v_mov_b64_e32 v[0:1], 0
	v_mov_b64_e32 v[14:15], 0
	;; [unrolled: 1-line block ×4, first 2 shown]
	s_mov_b32 s2, 0
.LBB254_13:                             ; =>This Inner Loop Header: Depth=1
	global_load_b32 v21, v19, s[6:7] scale_offset
	v_dual_add_nc_u32 v38, -13, v20 :: v_dual_add_nc_u32 v39, -6, v20
	v_dual_add_nc_u32 v90, -8, v20 :: v_dual_add_nc_u32 v58, -4, v20
	s_wait_xcnt 0x0
	v_dual_add_nc_u32 v82, -2, v20 :: v_dual_add_nc_u32 v19, 8, v19
	s_delay_alu instid0(VALU_DEP_1) | instskip(SKIP_3) | instid1(VALU_DEP_1)
	v_cmp_ge_i32_e32 vcc_lo, v19, v18
	s_or_b32 s2, vcc_lo, s2
	s_wait_loadcnt 0x0
	v_subrev_nc_u32_e32 v21, s12, v21
	v_mul_lo_u32 v21, v21, 7
	s_clause 0x2
	global_load_b128 v[22:25], v38, s[8:9] offset:16 scale_offset
	global_load_b128 v[26:29], v38, s[8:9] scale_offset
	global_load_b128 v[30:33], v39, s[8:9] scale_offset
	;; [unrolled: 1-line block ×3, first 2 shown]
	v_dual_add_nc_u32 v46, -5, v20 :: v_dual_add_nc_u32 v70, -3, v20
	v_dual_add_nc_u32 v71, 3, v21 :: v_dual_add_nc_u32 v47, 1, v21
	global_load_b128 v[38:41], v46, s[8:9] scale_offset
	global_load_b128 v[42:45], v47, s[10:11] scale_offset
	s_wait_xcnt 0x1
	v_dual_add_nc_u32 v46, -11, v20 :: v_dual_add_nc_u32 v59, 2, v21
	v_dual_add_nc_u32 v83, 4, v21 :: v_dual_add_nc_u32 v91, -1, v20
	s_clause 0x1
	global_load_b128 v[46:49], v46, s[8:9] scale_offset
	global_load_b128 v[50:53], v58, s[8:9] scale_offset
	;; [unrolled: 1-line block ×3, first 2 shown]
	s_wait_xcnt 0x1
	v_add_nc_u32_e32 v58, -10, v20
	s_clause 0x1
	global_load_b128 v[58:61], v58, s[8:9] scale_offset
	global_load_b128 v[62:65], v70, s[8:9] scale_offset
	;; [unrolled: 1-line block ×3, first 2 shown]
	s_wait_xcnt 0x1
	v_add_nc_u32_e32 v70, -9, v20
	s_clause 0x1
	global_load_b128 v[70:73], v70, s[8:9] scale_offset
	global_load_b128 v[74:77], v82, s[8:9] scale_offset
	;; [unrolled: 1-line block ×3, first 2 shown]
	s_clause 0x1
	global_load_b128 v[82:85], v90, s[8:9] scale_offset
	global_load_b128 v[86:89], v91, s[8:9] scale_offset
	s_wait_xcnt 0x1
	v_dual_add_nc_u32 v90, 5, v21 :: v_dual_add_nc_u32 v21, 6, v21
	global_load_b128 v[90:93], v90, s[10:11] scale_offset
	s_wait_loadcnt 0xe
	v_fmac_f64_e32 v[14:15], v[26:27], v[34:35]
	v_fmac_f64_e32 v[0:1], v[28:29], v[34:35]
	;; [unrolled: 1-line block ×4, first 2 shown]
	v_add_nc_u32_e32 v34, -7, v20
	v_fma_f64 v[14:15], -v[28:29], v[36:37], v[14:15]
	v_fmac_f64_e32 v[0:1], v[26:27], v[36:37]
	v_fma_f64 v[16:17], -v[32:33], v[36:37], v[16:17]
	v_fmac_f64_e32 v[12:13], v[30:31], v[36:37]
	s_clause 0x1
	global_load_b128 v[26:29], v20, s[8:9] scale_offset
	global_load_b128 v[30:33], v34, s[8:9] scale_offset
	;; [unrolled: 1-line block ×3, first 2 shown]
	v_add_nc_u32_e32 v20, 0x70, v20
	s_wait_loadcnt 0xf
	v_fmac_f64_e32 v[14:15], v[22:23], v[42:43]
	v_fmac_f64_e32 v[0:1], v[24:25], v[42:43]
	;; [unrolled: 1-line block ×4, first 2 shown]
	s_delay_alu instid0(VALU_DEP_4) | instskip(NEXT) | instid1(VALU_DEP_4)
	v_fma_f64 v[14:15], -v[24:25], v[44:45], v[14:15]
	v_fmac_f64_e32 v[0:1], v[22:23], v[44:45]
	s_delay_alu instid0(VALU_DEP_4) | instskip(NEXT) | instid1(VALU_DEP_4)
	v_fma_f64 v[16:17], -v[40:41], v[44:45], v[16:17]
	v_fmac_f64_e32 v[12:13], v[38:39], v[44:45]
	s_wait_loadcnt 0xc
	s_delay_alu instid0(VALU_DEP_4) | instskip(NEXT) | instid1(VALU_DEP_4)
	v_fmac_f64_e32 v[14:15], v[46:47], v[54:55]
	v_fmac_f64_e32 v[0:1], v[48:49], v[54:55]
	s_delay_alu instid0(VALU_DEP_4) | instskip(NEXT) | instid1(VALU_DEP_4)
	v_fmac_f64_e32 v[16:17], v[50:51], v[54:55]
	v_fmac_f64_e32 v[12:13], v[52:53], v[54:55]
	s_delay_alu instid0(VALU_DEP_4) | instskip(NEXT) | instid1(VALU_DEP_4)
	v_fma_f64 v[14:15], -v[48:49], v[56:57], v[14:15]
	v_fmac_f64_e32 v[0:1], v[46:47], v[56:57]
	s_delay_alu instid0(VALU_DEP_4) | instskip(NEXT) | instid1(VALU_DEP_4)
	v_fma_f64 v[16:17], -v[52:53], v[56:57], v[16:17]
	v_fmac_f64_e32 v[12:13], v[50:51], v[56:57]
	s_wait_loadcnt 0x9
	s_delay_alu instid0(VALU_DEP_4) | instskip(NEXT) | instid1(VALU_DEP_4)
	v_fmac_f64_e32 v[14:15], v[58:59], v[66:67]
	v_fmac_f64_e32 v[0:1], v[60:61], v[66:67]
	s_delay_alu instid0(VALU_DEP_4) | instskip(NEXT) | instid1(VALU_DEP_4)
	v_fmac_f64_e32 v[16:17], v[62:63], v[66:67]
	v_fmac_f64_e32 v[12:13], v[64:65], v[66:67]
	;; [unrolled: 13-line block ×5, first 2 shown]
	s_delay_alu instid0(VALU_DEP_4) | instskip(NEXT) | instid1(VALU_DEP_4)
	v_fma_f64 v[14:15], -v[32:33], v[36:37], v[14:15]
	v_fmac_f64_e32 v[0:1], v[30:31], v[36:37]
	s_delay_alu instid0(VALU_DEP_4) | instskip(NEXT) | instid1(VALU_DEP_4)
	v_fma_f64 v[16:17], -v[28:29], v[36:37], v[16:17]
	v_fmac_f64_e32 v[12:13], v[26:27], v[36:37]
	s_and_not1_b32 exec_lo, exec_lo, s2
	s_cbranch_execnz .LBB254_13
; %bb.14:
	s_or_b32 exec_lo, exec_lo, s2
.LBB254_15:
	s_delay_alu instid0(SALU_CYCLE_1)
	s_or_b32 exec_lo, exec_lo, s3
.LBB254_16:
	v_mbcnt_lo_u32_b32 v28, -1, 0
	s_delay_alu instid0(VALU_DEP_1) | instskip(NEXT) | instid1(VALU_DEP_1)
	v_xor_b32_e32 v18, 4, v28
	v_cmp_gt_i32_e32 vcc_lo, 32, v18
	v_cndmask_b32_e32 v18, v28, v18, vcc_lo
	s_delay_alu instid0(VALU_DEP_1)
	v_lshlrev_b32_e32 v25, 2, v18
	ds_bpermute_b32 v18, v25, v14
	ds_bpermute_b32 v19, v25, v15
	;; [unrolled: 1-line block ×4, first 2 shown]
	s_wait_dscnt 0x2
	v_add_f64_e32 v[14:15], v[14:15], v[18:19]
	s_wait_dscnt 0x0
	v_add_f64_e32 v[18:19], v[0:1], v[20:21]
	ds_bpermute_b32 v22, v25, v16
	ds_bpermute_b32 v23, v25, v17
	;; [unrolled: 1-line block ×4, first 2 shown]
	v_xor_b32_e32 v0, 2, v28
	s_delay_alu instid0(VALU_DEP_1)
	v_cmp_gt_i32_e32 vcc_lo, 32, v0
	v_cndmask_b32_e32 v0, v28, v0, vcc_lo
	s_wait_dscnt 0x2
	v_add_f64_e32 v[20:21], v[16:17], v[22:23]
	s_wait_dscnt 0x0
	v_add_f64_e32 v[22:23], v[12:13], v[24:25]
	v_lshlrev_b32_e32 v16, 2, v0
	ds_bpermute_b32 v0, v16, v14
	ds_bpermute_b32 v1, v16, v15
	;; [unrolled: 1-line block ×8, first 2 shown]
	s_wait_dscnt 0x4
	v_add_f64_e32 v[16:17], v[18:19], v[12:13]
	v_xor_b32_e32 v18, 1, v28
	s_delay_alu instid0(VALU_DEP_1) | instskip(SKIP_3) | instid1(VALU_DEP_2)
	v_cmp_gt_i32_e32 vcc_lo, 32, v18
	v_dual_add_f64 v[0:1], v[14:15], v[0:1] :: v_dual_cndmask_b32 v18, v28, v18, vcc_lo
	v_cmp_eq_u32_e32 vcc_lo, 7, v11
	s_wait_dscnt 0x2
	v_dual_add_f64 v[12:13], v[20:21], v[24:25] :: v_dual_lshlrev_b32 v21, 2, v18
	s_wait_dscnt 0x0
	v_add_f64_e32 v[14:15], v[22:23], v[26:27]
	ds_bpermute_b32 v22, v21, v16
	ds_bpermute_b32 v23, v21, v17
	;; [unrolled: 1-line block ×8, first 2 shown]
	s_and_b32 exec_lo, exec_lo, vcc_lo
	s_cbranch_execz .LBB254_21
; %bb.17:
	v_cmp_eq_f64_e32 vcc_lo, 0, v[6:7]
	v_cmp_eq_f64_e64 s2, 0, v[8:9]
	s_wait_dscnt 0x4
	v_add_f64_e32 v[0:1], v[0:1], v[24:25]
	v_add_f64_e32 v[16:17], v[16:17], v[22:23]
	s_wait_dscnt 0x2
	v_add_f64_e32 v[12:13], v[12:13], v[18:19]
	s_wait_dscnt 0x0
	v_add_f64_e32 v[14:15], v[14:15], v[20:21]
	s_load_b64 s[0:1], s[0:1], 0x48
	s_and_b32 s2, vcc_lo, s2
	s_delay_alu instid0(SALU_CYCLE_1) | instskip(NEXT) | instid1(SALU_CYCLE_1)
	s_and_saveexec_b32 s3, s2
	s_xor_b32 s2, exec_lo, s3
	s_cbranch_execz .LBB254_19
; %bb.18:
	s_delay_alu instid0(VALU_DEP_3) | instskip(SKIP_1) | instid1(VALU_DEP_3)
	v_mul_f64_e64 v[6:7], v[16:17], -v[4:5]
	v_mul_f64_e32 v[8:9], v[2:3], v[16:17]
	v_mul_f64_e64 v[16:17], v[14:15], -v[4:5]
	v_mul_f64_e32 v[18:19], v[2:3], v[14:15]
                                        ; implicit-def: $vgpr14_vgpr15
	s_delay_alu instid0(VALU_DEP_4) | instskip(NEXT) | instid1(VALU_DEP_4)
	v_fmac_f64_e32 v[6:7], v[2:3], v[0:1]
	v_fmac_f64_e32 v[8:9], v[4:5], v[0:1]
	s_delay_alu instid0(VALU_DEP_4) | instskip(NEXT) | instid1(VALU_DEP_4)
	v_fmac_f64_e32 v[16:17], v[2:3], v[12:13]
	v_fmac_f64_e32 v[18:19], v[4:5], v[12:13]
	v_lshlrev_b32_e32 v0, 1, v10
                                        ; implicit-def: $vgpr10
                                        ; implicit-def: $vgpr12_vgpr13
                                        ; implicit-def: $vgpr4_vgpr5
	s_wait_kmcnt 0x0
	s_clause 0x1
	global_store_b128 v0, v[6:9], s[0:1] scale_offset
	global_store_b128 v0, v[16:19], s[0:1] offset:16 scale_offset
                                        ; implicit-def: $vgpr0_vgpr1
                                        ; implicit-def: $vgpr16_vgpr17
                                        ; implicit-def: $vgpr8_vgpr9
.LBB254_19:
	s_wait_xcnt 0x0
	s_and_not1_saveexec_b32 s2, s2
	s_cbranch_execz .LBB254_21
; %bb.20:
	s_delay_alu instid0(VALU_DEP_3) | instskip(SKIP_1) | instid1(VALU_DEP_3)
	v_dual_mul_f64 v[26:27], v[16:17], -v[4:5] :: v_dual_lshlrev_b32 v30, 1, v10
	v_mul_f64_e32 v[16:17], v[2:3], v[16:17]
	v_mul_f64_e64 v[28:29], v[14:15], -v[4:5]
	v_mul_f64_e32 v[10:11], v[2:3], v[14:15]
	s_wait_kmcnt 0x0
	s_clause 0x1
	global_load_b128 v[18:21], v30, s[0:1] scale_offset
	global_load_b128 v[22:25], v30, s[0:1] offset:16 scale_offset
	v_fmac_f64_e32 v[26:27], v[2:3], v[0:1]
	v_fmac_f64_e32 v[16:17], v[4:5], v[0:1]
	;; [unrolled: 1-line block ×4, first 2 shown]
	s_wait_loadcnt 0x1
	s_delay_alu instid0(VALU_DEP_4) | instskip(NEXT) | instid1(VALU_DEP_4)
	v_fmac_f64_e32 v[26:27], v[6:7], v[18:19]
	v_fmac_f64_e32 v[16:17], v[8:9], v[18:19]
	s_wait_loadcnt 0x0
	s_delay_alu instid0(VALU_DEP_4) | instskip(NEXT) | instid1(VALU_DEP_4)
	v_fmac_f64_e32 v[28:29], v[6:7], v[22:23]
	v_fmac_f64_e32 v[10:11], v[8:9], v[22:23]
	s_delay_alu instid0(VALU_DEP_4) | instskip(NEXT) | instid1(VALU_DEP_4)
	v_fma_f64 v[14:15], -v[8:9], v[20:21], v[26:27]
	v_fmac_f64_e32 v[16:17], v[6:7], v[20:21]
	s_delay_alu instid0(VALU_DEP_4) | instskip(NEXT) | instid1(VALU_DEP_4)
	v_fma_f64 v[8:9], -v[8:9], v[24:25], v[28:29]
	v_fmac_f64_e32 v[10:11], v[6:7], v[24:25]
	s_clause 0x1
	global_store_b128 v30, v[14:17], s[0:1] scale_offset
	global_store_b128 v30, v[8:11], s[0:1] offset:16 scale_offset
.LBB254_21:
	s_sendmsg sendmsg(MSG_DEALLOC_VGPRS)
	s_endpgm
	.section	.rodata,"a",@progbits
	.p2align	6, 0x0
	.amdhsa_kernel _ZN9rocsparseL19gebsrmvn_2xn_kernelILj128ELj7ELj8E21rocsparse_complex_numIdEEEvi20rocsparse_direction_NS_24const_host_device_scalarIT2_EEPKiS8_PKS5_SA_S6_PS5_21rocsparse_index_base_b
		.amdhsa_group_segment_fixed_size 0
		.amdhsa_private_segment_fixed_size 0
		.amdhsa_kernarg_size 88
		.amdhsa_user_sgpr_count 2
		.amdhsa_user_sgpr_dispatch_ptr 0
		.amdhsa_user_sgpr_queue_ptr 0
		.amdhsa_user_sgpr_kernarg_segment_ptr 1
		.amdhsa_user_sgpr_dispatch_id 0
		.amdhsa_user_sgpr_kernarg_preload_length 0
		.amdhsa_user_sgpr_kernarg_preload_offset 0
		.amdhsa_user_sgpr_private_segment_size 0
		.amdhsa_wavefront_size32 1
		.amdhsa_uses_dynamic_stack 0
		.amdhsa_enable_private_segment 0
		.amdhsa_system_sgpr_workgroup_id_x 1
		.amdhsa_system_sgpr_workgroup_id_y 0
		.amdhsa_system_sgpr_workgroup_id_z 0
		.amdhsa_system_sgpr_workgroup_info 0
		.amdhsa_system_vgpr_workitem_id 0
		.amdhsa_next_free_vgpr 95
		.amdhsa_next_free_sgpr 14
		.amdhsa_named_barrier_count 0
		.amdhsa_reserve_vcc 1
		.amdhsa_float_round_mode_32 0
		.amdhsa_float_round_mode_16_64 0
		.amdhsa_float_denorm_mode_32 3
		.amdhsa_float_denorm_mode_16_64 3
		.amdhsa_fp16_overflow 0
		.amdhsa_memory_ordered 1
		.amdhsa_forward_progress 1
		.amdhsa_inst_pref_size 23
		.amdhsa_round_robin_scheduling 0
		.amdhsa_exception_fp_ieee_invalid_op 0
		.amdhsa_exception_fp_denorm_src 0
		.amdhsa_exception_fp_ieee_div_zero 0
		.amdhsa_exception_fp_ieee_overflow 0
		.amdhsa_exception_fp_ieee_underflow 0
		.amdhsa_exception_fp_ieee_inexact 0
		.amdhsa_exception_int_div_zero 0
	.end_amdhsa_kernel
	.section	.text._ZN9rocsparseL19gebsrmvn_2xn_kernelILj128ELj7ELj8E21rocsparse_complex_numIdEEEvi20rocsparse_direction_NS_24const_host_device_scalarIT2_EEPKiS8_PKS5_SA_S6_PS5_21rocsparse_index_base_b,"axG",@progbits,_ZN9rocsparseL19gebsrmvn_2xn_kernelILj128ELj7ELj8E21rocsparse_complex_numIdEEEvi20rocsparse_direction_NS_24const_host_device_scalarIT2_EEPKiS8_PKS5_SA_S6_PS5_21rocsparse_index_base_b,comdat
.Lfunc_end254:
	.size	_ZN9rocsparseL19gebsrmvn_2xn_kernelILj128ELj7ELj8E21rocsparse_complex_numIdEEEvi20rocsparse_direction_NS_24const_host_device_scalarIT2_EEPKiS8_PKS5_SA_S6_PS5_21rocsparse_index_base_b, .Lfunc_end254-_ZN9rocsparseL19gebsrmvn_2xn_kernelILj128ELj7ELj8E21rocsparse_complex_numIdEEEvi20rocsparse_direction_NS_24const_host_device_scalarIT2_EEPKiS8_PKS5_SA_S6_PS5_21rocsparse_index_base_b
                                        ; -- End function
	.set _ZN9rocsparseL19gebsrmvn_2xn_kernelILj128ELj7ELj8E21rocsparse_complex_numIdEEEvi20rocsparse_direction_NS_24const_host_device_scalarIT2_EEPKiS8_PKS5_SA_S6_PS5_21rocsparse_index_base_b.num_vgpr, 95
	.set _ZN9rocsparseL19gebsrmvn_2xn_kernelILj128ELj7ELj8E21rocsparse_complex_numIdEEEvi20rocsparse_direction_NS_24const_host_device_scalarIT2_EEPKiS8_PKS5_SA_S6_PS5_21rocsparse_index_base_b.num_agpr, 0
	.set _ZN9rocsparseL19gebsrmvn_2xn_kernelILj128ELj7ELj8E21rocsparse_complex_numIdEEEvi20rocsparse_direction_NS_24const_host_device_scalarIT2_EEPKiS8_PKS5_SA_S6_PS5_21rocsparse_index_base_b.numbered_sgpr, 14
	.set _ZN9rocsparseL19gebsrmvn_2xn_kernelILj128ELj7ELj8E21rocsparse_complex_numIdEEEvi20rocsparse_direction_NS_24const_host_device_scalarIT2_EEPKiS8_PKS5_SA_S6_PS5_21rocsparse_index_base_b.num_named_barrier, 0
	.set _ZN9rocsparseL19gebsrmvn_2xn_kernelILj128ELj7ELj8E21rocsparse_complex_numIdEEEvi20rocsparse_direction_NS_24const_host_device_scalarIT2_EEPKiS8_PKS5_SA_S6_PS5_21rocsparse_index_base_b.private_seg_size, 0
	.set _ZN9rocsparseL19gebsrmvn_2xn_kernelILj128ELj7ELj8E21rocsparse_complex_numIdEEEvi20rocsparse_direction_NS_24const_host_device_scalarIT2_EEPKiS8_PKS5_SA_S6_PS5_21rocsparse_index_base_b.uses_vcc, 1
	.set _ZN9rocsparseL19gebsrmvn_2xn_kernelILj128ELj7ELj8E21rocsparse_complex_numIdEEEvi20rocsparse_direction_NS_24const_host_device_scalarIT2_EEPKiS8_PKS5_SA_S6_PS5_21rocsparse_index_base_b.uses_flat_scratch, 0
	.set _ZN9rocsparseL19gebsrmvn_2xn_kernelILj128ELj7ELj8E21rocsparse_complex_numIdEEEvi20rocsparse_direction_NS_24const_host_device_scalarIT2_EEPKiS8_PKS5_SA_S6_PS5_21rocsparse_index_base_b.has_dyn_sized_stack, 0
	.set _ZN9rocsparseL19gebsrmvn_2xn_kernelILj128ELj7ELj8E21rocsparse_complex_numIdEEEvi20rocsparse_direction_NS_24const_host_device_scalarIT2_EEPKiS8_PKS5_SA_S6_PS5_21rocsparse_index_base_b.has_recursion, 0
	.set _ZN9rocsparseL19gebsrmvn_2xn_kernelILj128ELj7ELj8E21rocsparse_complex_numIdEEEvi20rocsparse_direction_NS_24const_host_device_scalarIT2_EEPKiS8_PKS5_SA_S6_PS5_21rocsparse_index_base_b.has_indirect_call, 0
	.section	.AMDGPU.csdata,"",@progbits
; Kernel info:
; codeLenInByte = 2832
; TotalNumSgprs: 16
; NumVgprs: 95
; ScratchSize: 0
; MemoryBound: 0
; FloatMode: 240
; IeeeMode: 1
; LDSByteSize: 0 bytes/workgroup (compile time only)
; SGPRBlocks: 0
; VGPRBlocks: 5
; NumSGPRsForWavesPerEU: 16
; NumVGPRsForWavesPerEU: 95
; NamedBarCnt: 0
; Occupancy: 10
; WaveLimiterHint : 1
; COMPUTE_PGM_RSRC2:SCRATCH_EN: 0
; COMPUTE_PGM_RSRC2:USER_SGPR: 2
; COMPUTE_PGM_RSRC2:TRAP_HANDLER: 0
; COMPUTE_PGM_RSRC2:TGID_X_EN: 1
; COMPUTE_PGM_RSRC2:TGID_Y_EN: 0
; COMPUTE_PGM_RSRC2:TGID_Z_EN: 0
; COMPUTE_PGM_RSRC2:TIDIG_COMP_CNT: 0
	.section	.text._ZN9rocsparseL19gebsrmvn_2xn_kernelILj128ELj7ELj16E21rocsparse_complex_numIdEEEvi20rocsparse_direction_NS_24const_host_device_scalarIT2_EEPKiS8_PKS5_SA_S6_PS5_21rocsparse_index_base_b,"axG",@progbits,_ZN9rocsparseL19gebsrmvn_2xn_kernelILj128ELj7ELj16E21rocsparse_complex_numIdEEEvi20rocsparse_direction_NS_24const_host_device_scalarIT2_EEPKiS8_PKS5_SA_S6_PS5_21rocsparse_index_base_b,comdat
	.globl	_ZN9rocsparseL19gebsrmvn_2xn_kernelILj128ELj7ELj16E21rocsparse_complex_numIdEEEvi20rocsparse_direction_NS_24const_host_device_scalarIT2_EEPKiS8_PKS5_SA_S6_PS5_21rocsparse_index_base_b ; -- Begin function _ZN9rocsparseL19gebsrmvn_2xn_kernelILj128ELj7ELj16E21rocsparse_complex_numIdEEEvi20rocsparse_direction_NS_24const_host_device_scalarIT2_EEPKiS8_PKS5_SA_S6_PS5_21rocsparse_index_base_b
	.p2align	8
	.type	_ZN9rocsparseL19gebsrmvn_2xn_kernelILj128ELj7ELj16E21rocsparse_complex_numIdEEEvi20rocsparse_direction_NS_24const_host_device_scalarIT2_EEPKiS8_PKS5_SA_S6_PS5_21rocsparse_index_base_b,@function
_ZN9rocsparseL19gebsrmvn_2xn_kernelILj128ELj7ELj16E21rocsparse_complex_numIdEEEvi20rocsparse_direction_NS_24const_host_device_scalarIT2_EEPKiS8_PKS5_SA_S6_PS5_21rocsparse_index_base_b: ; @_ZN9rocsparseL19gebsrmvn_2xn_kernelILj128ELj7ELj16E21rocsparse_complex_numIdEEEvi20rocsparse_direction_NS_24const_host_device_scalarIT2_EEPKiS8_PKS5_SA_S6_PS5_21rocsparse_index_base_b
; %bb.0:
	s_clause 0x1
	s_load_b64 s[12:13], s[0:1], 0x50
	s_load_b64 s[2:3], s[0:1], 0x8
	v_mov_b32_e32 v1, 0
	s_add_nc_u64 s[4:5], s[0:1], 8
	s_load_b64 s[6:7], s[0:1], 0x38
	s_wait_kmcnt 0x0
	s_bitcmp1_b32 s13, 0
	s_cselect_b32 s3, s5, s3
	s_cselect_b32 s2, s4, s2
	flat_load_b128 v[2:5], v1, s[2:3]
	s_wait_xcnt 0x0
	s_add_nc_u64 s[2:3], s[0:1], 56
	s_delay_alu instid0(SALU_CYCLE_1)
	s_cselect_b32 s3, s3, s7
	s_cselect_b32 s2, s2, s6
	flat_load_b128 v[6:9], v1, s[2:3]
	s_wait_loadcnt_dscnt 0x101
	v_cmp_eq_f64_e32 vcc_lo, 0, v[2:3]
	s_wait_xcnt 0x0
	v_cmp_eq_f64_e64 s2, 0, v[4:5]
	s_and_b32 s4, vcc_lo, s2
	s_mov_b32 s2, -1
	s_and_saveexec_b32 s3, s4
	s_cbranch_execz .LBB255_2
; %bb.1:
	s_wait_loadcnt_dscnt 0x0
	v_cmp_neq_f64_e32 vcc_lo, 1.0, v[6:7]
	v_cmp_neq_f64_e64 s2, 0, v[8:9]
	s_or_b32 s2, vcc_lo, s2
	s_delay_alu instid0(SALU_CYCLE_1)
	s_or_not1_b32 s2, s2, exec_lo
.LBB255_2:
	s_or_b32 exec_lo, exec_lo, s3
	s_and_saveexec_b32 s3, s2
	s_cbranch_execz .LBB255_21
; %bb.3:
	s_load_b64 s[2:3], s[0:1], 0x0
	s_bfe_u32 s4, ttmp6, 0x4000c
	s_and_b32 s5, ttmp6, 15
	s_add_co_i32 s4, s4, 1
	s_getreg_b32 s6, hwreg(HW_REG_IB_STS2, 6, 4)
	s_mul_i32 s4, ttmp9, s4
	v_lshrrev_b32_e32 v1, 4, v0
	s_add_co_i32 s5, s5, s4
	s_cmp_eq_u32 s6, 0
	s_cselect_b32 s4, ttmp9, s5
	s_delay_alu instid0(VALU_DEP_1) | instid1(SALU_CYCLE_1)
	v_lshl_or_b32 v10, s4, 3, v1
	s_wait_kmcnt 0x0
	s_delay_alu instid0(VALU_DEP_1)
	v_cmp_gt_i32_e32 vcc_lo, s2, v10
	s_and_b32 exec_lo, exec_lo, vcc_lo
	s_cbranch_execz .LBB255_21
; %bb.4:
	s_load_b256 s[4:11], s[0:1], 0x18
	v_ashrrev_i32_e32 v11, 31, v10
	s_cmp_lg_u32 s3, 0
	s_wait_kmcnt 0x0
	s_delay_alu instid0(VALU_DEP_1)
	v_lshl_add_u64 v[12:13], v[10:11], 2, s[4:5]
	v_and_b32_e32 v11, 15, v0
	global_load_b64 v[12:13], v[12:13], off
	s_wait_loadcnt 0x0
	v_subrev_nc_u32_e32 v0, s12, v12
	v_subrev_nc_u32_e32 v18, s12, v13
	s_delay_alu instid0(VALU_DEP_2) | instskip(NEXT) | instid1(VALU_DEP_1)
	v_add_nc_u32_e32 v19, v0, v11
	v_cmp_lt_i32_e64 s2, v19, v18
	s_cbranch_scc0 .LBB255_10
; %bb.5:
	v_mov_b64_e32 v[0:1], 0
	v_mov_b64_e32 v[14:15], 0
	;; [unrolled: 1-line block ×4, first 2 shown]
	s_and_saveexec_b32 s3, s2
	s_cbranch_execz .LBB255_9
; %bb.6:
	v_mad_u32 v20, v19, 14, 12
	v_mov_b64_e32 v[0:1], 0
	v_mov_b64_e32 v[14:15], 0
	;; [unrolled: 1-line block ×4, first 2 shown]
	v_mov_b32_e32 v21, v19
	s_mov_b32 s4, 0
.LBB255_7:                              ; =>This Inner Loop Header: Depth=1
	global_load_b32 v22, v21, s[6:7] scale_offset
	v_dual_add_nc_u32 v34, -12, v20 :: v_dual_add_nc_u32 v46, -10, v20
	s_wait_xcnt 0x0
	v_dual_add_nc_u32 v21, 16, v21 :: v_dual_add_nc_u32 v58, -8, v20
	v_dual_add_nc_u32 v70, -6, v20 :: v_dual_add_nc_u32 v82, -4, v20
	v_add_nc_u32_e32 v90, -2, v20
	s_delay_alu instid0(VALU_DEP_3) | instskip(SKIP_3) | instid1(VALU_DEP_1)
	v_cmp_ge_i32_e32 vcc_lo, v21, v18
	s_or_b32 s4, vcc_lo, s4
	s_wait_loadcnt 0x0
	v_subrev_nc_u32_e32 v22, s12, v22
	v_mul_lo_u32 v94, v22, 7
	s_clause 0x1
	global_load_b128 v[22:25], v34, s[8:9] offset:16 scale_offset
	global_load_b128 v[26:29], v34, s[8:9] scale_offset
	global_load_b128 v[30:33], v94, s[10:11] scale_offset
	global_load_b128 v[34:37], v46, s[8:9] offset:16 scale_offset
	v_dual_add_nc_u32 v47, 1, v94 :: v_dual_add_nc_u32 v59, 2, v94
	v_dual_add_nc_u32 v71, 3, v94 :: v_dual_add_nc_u32 v83, 4, v94
	global_load_b128 v[38:41], v46, s[8:9] scale_offset
	global_load_b128 v[42:45], v47, s[10:11] scale_offset
	s_clause 0x1
	global_load_b128 v[46:49], v58, s[8:9] offset:16 scale_offset
	global_load_b128 v[50:53], v58, s[8:9] scale_offset
	global_load_b128 v[54:57], v59, s[10:11] scale_offset
	s_clause 0x1
	global_load_b128 v[58:61], v70, s[8:9] offset:16 scale_offset
	;; [unrolled: 4-line block ×4, first 2 shown]
	global_load_b128 v[86:89], v90, s[8:9] scale_offset
	s_wait_loadcnt 0xe
	v_fmac_f64_e32 v[14:15], v[26:27], v[30:31]
	s_wait_xcnt 0x0
	v_add_nc_u32_e32 v90, 5, v94
	v_fmac_f64_e32 v[0:1], v[28:29], v[30:31]
	v_fmac_f64_e32 v[16:17], v[22:23], v[30:31]
	;; [unrolled: 1-line block ×3, first 2 shown]
	v_dual_fma_f64 v[14:15], -v[28:29], v[32:33], v[14:15] :: v_dual_add_nc_u32 v30, 6, v94
	global_load_b128 v[90:93], v90, s[10:11] scale_offset
	v_fmac_f64_e32 v[0:1], v[26:27], v[32:33]
	v_fma_f64 v[16:17], -v[24:25], v[32:33], v[16:17]
	v_fmac_f64_e32 v[12:13], v[22:23], v[32:33]
	s_clause 0x1
	global_load_b128 v[22:25], v20, s[8:9] offset:16 scale_offset
	global_load_b128 v[26:29], v20, s[8:9] scale_offset
	global_load_b128 v[30:33], v30, s[10:11] scale_offset
	s_wait_xcnt 0x1
	v_add_nc_u32_e32 v20, 0xe0, v20
	s_wait_loadcnt 0xf
	v_fmac_f64_e32 v[14:15], v[38:39], v[42:43]
	v_fmac_f64_e32 v[0:1], v[40:41], v[42:43]
	;; [unrolled: 1-line block ×4, first 2 shown]
	s_delay_alu instid0(VALU_DEP_4) | instskip(NEXT) | instid1(VALU_DEP_4)
	v_fma_f64 v[14:15], -v[40:41], v[44:45], v[14:15]
	v_fmac_f64_e32 v[0:1], v[38:39], v[44:45]
	s_delay_alu instid0(VALU_DEP_4) | instskip(NEXT) | instid1(VALU_DEP_4)
	v_fma_f64 v[16:17], -v[36:37], v[44:45], v[16:17]
	v_fmac_f64_e32 v[12:13], v[34:35], v[44:45]
	s_wait_loadcnt 0xc
	s_delay_alu instid0(VALU_DEP_4) | instskip(NEXT) | instid1(VALU_DEP_4)
	v_fmac_f64_e32 v[14:15], v[50:51], v[54:55]
	v_fmac_f64_e32 v[0:1], v[52:53], v[54:55]
	s_delay_alu instid0(VALU_DEP_4) | instskip(NEXT) | instid1(VALU_DEP_4)
	v_fmac_f64_e32 v[16:17], v[46:47], v[54:55]
	v_fmac_f64_e32 v[12:13], v[48:49], v[54:55]
	s_delay_alu instid0(VALU_DEP_4) | instskip(NEXT) | instid1(VALU_DEP_4)
	v_fma_f64 v[14:15], -v[52:53], v[56:57], v[14:15]
	v_fmac_f64_e32 v[0:1], v[50:51], v[56:57]
	s_delay_alu instid0(VALU_DEP_4) | instskip(NEXT) | instid1(VALU_DEP_4)
	v_fma_f64 v[16:17], -v[48:49], v[56:57], v[16:17]
	v_fmac_f64_e32 v[12:13], v[46:47], v[56:57]
	s_wait_loadcnt 0x9
	s_delay_alu instid0(VALU_DEP_4) | instskip(NEXT) | instid1(VALU_DEP_4)
	v_fmac_f64_e32 v[14:15], v[62:63], v[66:67]
	v_fmac_f64_e32 v[0:1], v[64:65], v[66:67]
	s_delay_alu instid0(VALU_DEP_4) | instskip(NEXT) | instid1(VALU_DEP_4)
	v_fmac_f64_e32 v[16:17], v[58:59], v[66:67]
	v_fmac_f64_e32 v[12:13], v[60:61], v[66:67]
	;; [unrolled: 13-line block ×5, first 2 shown]
	s_delay_alu instid0(VALU_DEP_4) | instskip(NEXT) | instid1(VALU_DEP_4)
	v_fma_f64 v[14:15], -v[28:29], v[32:33], v[14:15]
	v_fmac_f64_e32 v[0:1], v[26:27], v[32:33]
	s_delay_alu instid0(VALU_DEP_4) | instskip(NEXT) | instid1(VALU_DEP_4)
	v_fma_f64 v[16:17], -v[24:25], v[32:33], v[16:17]
	v_fmac_f64_e32 v[12:13], v[22:23], v[32:33]
	s_and_not1_b32 exec_lo, exec_lo, s4
	s_cbranch_execnz .LBB255_7
; %bb.8:
	s_or_b32 exec_lo, exec_lo, s4
.LBB255_9:
	s_delay_alu instid0(SALU_CYCLE_1)
	s_or_b32 exec_lo, exec_lo, s3
	s_cbranch_execz .LBB255_11
	s_branch .LBB255_16
.LBB255_10:
                                        ; implicit-def: $vgpr0_vgpr1
                                        ; implicit-def: $vgpr14_vgpr15
                                        ; implicit-def: $vgpr16_vgpr17
                                        ; implicit-def: $vgpr12_vgpr13
.LBB255_11:
	v_mov_b64_e32 v[0:1], 0
	v_mov_b64_e32 v[14:15], 0
	v_mov_b64_e32 v[16:17], 0
	v_mov_b64_e32 v[12:13], 0
	s_and_saveexec_b32 s3, s2
	s_cbranch_execz .LBB255_15
; %bb.12:
	v_mad_u32 v20, v19, 14, 13
	v_mov_b64_e32 v[0:1], 0
	v_mov_b64_e32 v[14:15], 0
	v_mov_b64_e32 v[16:17], 0
	v_mov_b64_e32 v[12:13], 0
	s_mov_b32 s2, 0
.LBB255_13:                             ; =>This Inner Loop Header: Depth=1
	global_load_b32 v21, v19, s[6:7] scale_offset
	v_dual_add_nc_u32 v38, -13, v20 :: v_dual_add_nc_u32 v39, -6, v20
	v_dual_add_nc_u32 v90, -8, v20 :: v_dual_add_nc_u32 v58, -4, v20
	s_wait_xcnt 0x0
	v_dual_add_nc_u32 v82, -2, v20 :: v_dual_add_nc_u32 v19, 16, v19
	s_delay_alu instid0(VALU_DEP_1) | instskip(SKIP_3) | instid1(VALU_DEP_1)
	v_cmp_ge_i32_e32 vcc_lo, v19, v18
	s_or_b32 s2, vcc_lo, s2
	s_wait_loadcnt 0x0
	v_subrev_nc_u32_e32 v21, s12, v21
	v_mul_lo_u32 v21, v21, 7
	s_clause 0x2
	global_load_b128 v[22:25], v38, s[8:9] offset:16 scale_offset
	global_load_b128 v[26:29], v38, s[8:9] scale_offset
	global_load_b128 v[30:33], v39, s[8:9] scale_offset
	;; [unrolled: 1-line block ×3, first 2 shown]
	v_dual_add_nc_u32 v46, -5, v20 :: v_dual_add_nc_u32 v70, -3, v20
	v_dual_add_nc_u32 v71, 3, v21 :: v_dual_add_nc_u32 v47, 1, v21
	global_load_b128 v[38:41], v46, s[8:9] scale_offset
	global_load_b128 v[42:45], v47, s[10:11] scale_offset
	s_wait_xcnt 0x1
	v_dual_add_nc_u32 v46, -11, v20 :: v_dual_add_nc_u32 v59, 2, v21
	v_dual_add_nc_u32 v83, 4, v21 :: v_dual_add_nc_u32 v91, -1, v20
	s_clause 0x1
	global_load_b128 v[46:49], v46, s[8:9] scale_offset
	global_load_b128 v[50:53], v58, s[8:9] scale_offset
	;; [unrolled: 1-line block ×3, first 2 shown]
	s_wait_xcnt 0x1
	v_add_nc_u32_e32 v58, -10, v20
	s_clause 0x1
	global_load_b128 v[58:61], v58, s[8:9] scale_offset
	global_load_b128 v[62:65], v70, s[8:9] scale_offset
	;; [unrolled: 1-line block ×3, first 2 shown]
	s_wait_xcnt 0x1
	v_add_nc_u32_e32 v70, -9, v20
	s_clause 0x1
	global_load_b128 v[70:73], v70, s[8:9] scale_offset
	global_load_b128 v[74:77], v82, s[8:9] scale_offset
	;; [unrolled: 1-line block ×3, first 2 shown]
	s_clause 0x1
	global_load_b128 v[82:85], v90, s[8:9] scale_offset
	global_load_b128 v[86:89], v91, s[8:9] scale_offset
	s_wait_xcnt 0x1
	v_dual_add_nc_u32 v90, 5, v21 :: v_dual_add_nc_u32 v21, 6, v21
	global_load_b128 v[90:93], v90, s[10:11] scale_offset
	s_wait_loadcnt 0xe
	v_fmac_f64_e32 v[14:15], v[26:27], v[34:35]
	v_fmac_f64_e32 v[0:1], v[28:29], v[34:35]
	;; [unrolled: 1-line block ×4, first 2 shown]
	v_add_nc_u32_e32 v34, -7, v20
	v_fma_f64 v[14:15], -v[28:29], v[36:37], v[14:15]
	v_fmac_f64_e32 v[0:1], v[26:27], v[36:37]
	v_fma_f64 v[16:17], -v[32:33], v[36:37], v[16:17]
	v_fmac_f64_e32 v[12:13], v[30:31], v[36:37]
	s_clause 0x1
	global_load_b128 v[26:29], v20, s[8:9] scale_offset
	global_load_b128 v[30:33], v34, s[8:9] scale_offset
	;; [unrolled: 1-line block ×3, first 2 shown]
	v_add_nc_u32_e32 v20, 0xe0, v20
	s_wait_loadcnt 0xf
	v_fmac_f64_e32 v[14:15], v[22:23], v[42:43]
	v_fmac_f64_e32 v[0:1], v[24:25], v[42:43]
	;; [unrolled: 1-line block ×4, first 2 shown]
	s_delay_alu instid0(VALU_DEP_4) | instskip(NEXT) | instid1(VALU_DEP_4)
	v_fma_f64 v[14:15], -v[24:25], v[44:45], v[14:15]
	v_fmac_f64_e32 v[0:1], v[22:23], v[44:45]
	s_delay_alu instid0(VALU_DEP_4) | instskip(NEXT) | instid1(VALU_DEP_4)
	v_fma_f64 v[16:17], -v[40:41], v[44:45], v[16:17]
	v_fmac_f64_e32 v[12:13], v[38:39], v[44:45]
	s_wait_loadcnt 0xc
	s_delay_alu instid0(VALU_DEP_4) | instskip(NEXT) | instid1(VALU_DEP_4)
	v_fmac_f64_e32 v[14:15], v[46:47], v[54:55]
	v_fmac_f64_e32 v[0:1], v[48:49], v[54:55]
	s_delay_alu instid0(VALU_DEP_4) | instskip(NEXT) | instid1(VALU_DEP_4)
	v_fmac_f64_e32 v[16:17], v[50:51], v[54:55]
	v_fmac_f64_e32 v[12:13], v[52:53], v[54:55]
	s_delay_alu instid0(VALU_DEP_4) | instskip(NEXT) | instid1(VALU_DEP_4)
	v_fma_f64 v[14:15], -v[48:49], v[56:57], v[14:15]
	v_fmac_f64_e32 v[0:1], v[46:47], v[56:57]
	s_delay_alu instid0(VALU_DEP_4) | instskip(NEXT) | instid1(VALU_DEP_4)
	v_fma_f64 v[16:17], -v[52:53], v[56:57], v[16:17]
	v_fmac_f64_e32 v[12:13], v[50:51], v[56:57]
	s_wait_loadcnt 0x9
	s_delay_alu instid0(VALU_DEP_4) | instskip(NEXT) | instid1(VALU_DEP_4)
	v_fmac_f64_e32 v[14:15], v[58:59], v[66:67]
	v_fmac_f64_e32 v[0:1], v[60:61], v[66:67]
	s_delay_alu instid0(VALU_DEP_4) | instskip(NEXT) | instid1(VALU_DEP_4)
	v_fmac_f64_e32 v[16:17], v[62:63], v[66:67]
	v_fmac_f64_e32 v[12:13], v[64:65], v[66:67]
	;; [unrolled: 13-line block ×5, first 2 shown]
	s_delay_alu instid0(VALU_DEP_4) | instskip(NEXT) | instid1(VALU_DEP_4)
	v_fma_f64 v[14:15], -v[32:33], v[36:37], v[14:15]
	v_fmac_f64_e32 v[0:1], v[30:31], v[36:37]
	s_delay_alu instid0(VALU_DEP_4) | instskip(NEXT) | instid1(VALU_DEP_4)
	v_fma_f64 v[16:17], -v[28:29], v[36:37], v[16:17]
	v_fmac_f64_e32 v[12:13], v[26:27], v[36:37]
	s_and_not1_b32 exec_lo, exec_lo, s2
	s_cbranch_execnz .LBB255_13
; %bb.14:
	s_or_b32 exec_lo, exec_lo, s2
.LBB255_15:
	s_delay_alu instid0(SALU_CYCLE_1)
	s_or_b32 exec_lo, exec_lo, s3
.LBB255_16:
	v_mbcnt_lo_u32_b32 v28, -1, 0
	s_delay_alu instid0(VALU_DEP_1) | instskip(NEXT) | instid1(VALU_DEP_1)
	v_xor_b32_e32 v18, 8, v28
	v_cmp_gt_i32_e32 vcc_lo, 32, v18
	v_cndmask_b32_e32 v18, v28, v18, vcc_lo
	s_delay_alu instid0(VALU_DEP_1)
	v_lshlrev_b32_e32 v25, 2, v18
	ds_bpermute_b32 v20, v25, v0
	ds_bpermute_b32 v21, v25, v1
	s_wait_dscnt 0x0
	v_add_f64_e32 v[0:1], v[0:1], v[20:21]
	ds_bpermute_b32 v18, v25, v14
	ds_bpermute_b32 v19, v25, v15
	;; [unrolled: 1-line block ×6, first 2 shown]
	s_wait_dscnt 0x4
	v_dual_add_f64 v[14:15], v[14:15], v[18:19] :: v_dual_bitop2_b32 v18, 4, v28 bitop3:0x14
	s_wait_dscnt 0x2
	v_add_f64_e32 v[16:17], v[16:17], v[22:23]
	s_delay_alu instid0(VALU_DEP_2) | instskip(SKIP_2) | instid1(VALU_DEP_1)
	v_cmp_gt_i32_e32 vcc_lo, 32, v18
	v_cndmask_b32_e32 v18, v28, v18, vcc_lo
	s_wait_dscnt 0x0
	v_dual_add_f64 v[12:13], v[12:13], v[24:25] :: v_dual_lshlrev_b32 v25, 2, v18
	ds_bpermute_b32 v20, v25, v0
	ds_bpermute_b32 v21, v25, v1
	;; [unrolled: 1-line block ×8, first 2 shown]
	s_wait_dscnt 0x4
	v_add_f64_e32 v[14:15], v[14:15], v[18:19]
	v_add_f64_e32 v[18:19], v[0:1], v[20:21]
	s_wait_dscnt 0x2
	v_dual_add_f64 v[20:21], v[16:17], v[22:23] :: v_dual_bitop2_b32 v0, 2, v28 bitop3:0x14
	s_delay_alu instid0(VALU_DEP_1) | instskip(SKIP_3) | instid1(VALU_DEP_1)
	v_cmp_gt_i32_e32 vcc_lo, 32, v0
	s_wait_dscnt 0x0
	v_add_f64_e32 v[22:23], v[12:13], v[24:25]
	v_cndmask_b32_e32 v0, v28, v0, vcc_lo
	v_lshlrev_b32_e32 v16, 2, v0
	ds_bpermute_b32 v0, v16, v14
	ds_bpermute_b32 v12, v16, v18
	;; [unrolled: 1-line block ×8, first 2 shown]
	s_wait_dscnt 0x5
	v_add_f64_e32 v[16:17], v[18:19], v[12:13]
	v_xor_b32_e32 v18, 1, v28
	s_wait_dscnt 0x2
	v_add_f64_e32 v[12:13], v[20:21], v[24:25]
	s_delay_alu instid0(VALU_DEP_2) | instskip(SKIP_2) | instid1(VALU_DEP_2)
	v_cmp_gt_i32_e32 vcc_lo, 32, v18
	v_dual_add_f64 v[0:1], v[14:15], v[0:1] :: v_dual_cndmask_b32 v18, v28, v18, vcc_lo
	v_cmp_eq_u32_e32 vcc_lo, 15, v11
	v_lshlrev_b32_e32 v21, 2, v18
	s_wait_dscnt 0x0
	v_add_f64_e32 v[14:15], v[22:23], v[26:27]
	ds_bpermute_b32 v22, v21, v16
	ds_bpermute_b32 v23, v21, v17
	;; [unrolled: 1-line block ×8, first 2 shown]
	s_and_b32 exec_lo, exec_lo, vcc_lo
	s_cbranch_execz .LBB255_21
; %bb.17:
	v_cmp_eq_f64_e32 vcc_lo, 0, v[6:7]
	v_cmp_eq_f64_e64 s2, 0, v[8:9]
	s_wait_dscnt 0x2
	v_add_f64_e32 v[0:1], v[0:1], v[24:25]
	v_add_f64_e32 v[16:17], v[16:17], v[22:23]
	;; [unrolled: 1-line block ×3, first 2 shown]
	s_wait_dscnt 0x0
	v_add_f64_e32 v[14:15], v[14:15], v[20:21]
	s_load_b64 s[0:1], s[0:1], 0x48
	s_and_b32 s2, vcc_lo, s2
	s_delay_alu instid0(SALU_CYCLE_1) | instskip(NEXT) | instid1(SALU_CYCLE_1)
	s_and_saveexec_b32 s3, s2
	s_xor_b32 s2, exec_lo, s3
	s_cbranch_execz .LBB255_19
; %bb.18:
	s_delay_alu instid0(VALU_DEP_3) | instskip(SKIP_1) | instid1(VALU_DEP_3)
	v_mul_f64_e64 v[6:7], v[16:17], -v[4:5]
	v_mul_f64_e32 v[8:9], v[2:3], v[16:17]
	v_mul_f64_e64 v[16:17], v[14:15], -v[4:5]
	v_mul_f64_e32 v[18:19], v[2:3], v[14:15]
                                        ; implicit-def: $vgpr14_vgpr15
	s_delay_alu instid0(VALU_DEP_4) | instskip(NEXT) | instid1(VALU_DEP_4)
	v_fmac_f64_e32 v[6:7], v[2:3], v[0:1]
	v_fmac_f64_e32 v[8:9], v[4:5], v[0:1]
	s_delay_alu instid0(VALU_DEP_4) | instskip(NEXT) | instid1(VALU_DEP_4)
	v_fmac_f64_e32 v[16:17], v[2:3], v[12:13]
	v_fmac_f64_e32 v[18:19], v[4:5], v[12:13]
	v_lshlrev_b32_e32 v0, 1, v10
                                        ; implicit-def: $vgpr10
                                        ; implicit-def: $vgpr12_vgpr13
                                        ; implicit-def: $vgpr4_vgpr5
	s_wait_kmcnt 0x0
	s_clause 0x1
	global_store_b128 v0, v[6:9], s[0:1] scale_offset
	global_store_b128 v0, v[16:19], s[0:1] offset:16 scale_offset
                                        ; implicit-def: $vgpr0_vgpr1
                                        ; implicit-def: $vgpr16_vgpr17
                                        ; implicit-def: $vgpr8_vgpr9
.LBB255_19:
	s_wait_xcnt 0x0
	s_and_not1_saveexec_b32 s2, s2
	s_cbranch_execz .LBB255_21
; %bb.20:
	s_delay_alu instid0(VALU_DEP_3) | instskip(SKIP_1) | instid1(VALU_DEP_3)
	v_dual_mul_f64 v[26:27], v[16:17], -v[4:5] :: v_dual_lshlrev_b32 v30, 1, v10
	v_mul_f64_e32 v[16:17], v[2:3], v[16:17]
	v_mul_f64_e64 v[28:29], v[14:15], -v[4:5]
	v_mul_f64_e32 v[10:11], v[2:3], v[14:15]
	s_wait_kmcnt 0x0
	s_clause 0x1
	global_load_b128 v[18:21], v30, s[0:1] scale_offset
	global_load_b128 v[22:25], v30, s[0:1] offset:16 scale_offset
	v_fmac_f64_e32 v[26:27], v[2:3], v[0:1]
	v_fmac_f64_e32 v[16:17], v[4:5], v[0:1]
	;; [unrolled: 1-line block ×4, first 2 shown]
	s_wait_loadcnt 0x1
	s_delay_alu instid0(VALU_DEP_4) | instskip(NEXT) | instid1(VALU_DEP_4)
	v_fmac_f64_e32 v[26:27], v[6:7], v[18:19]
	v_fmac_f64_e32 v[16:17], v[8:9], v[18:19]
	s_wait_loadcnt 0x0
	s_delay_alu instid0(VALU_DEP_4) | instskip(NEXT) | instid1(VALU_DEP_4)
	v_fmac_f64_e32 v[28:29], v[6:7], v[22:23]
	v_fmac_f64_e32 v[10:11], v[8:9], v[22:23]
	s_delay_alu instid0(VALU_DEP_4) | instskip(NEXT) | instid1(VALU_DEP_4)
	v_fma_f64 v[14:15], -v[8:9], v[20:21], v[26:27]
	v_fmac_f64_e32 v[16:17], v[6:7], v[20:21]
	s_delay_alu instid0(VALU_DEP_4) | instskip(NEXT) | instid1(VALU_DEP_4)
	v_fma_f64 v[8:9], -v[8:9], v[24:25], v[28:29]
	v_fmac_f64_e32 v[10:11], v[6:7], v[24:25]
	s_clause 0x1
	global_store_b128 v30, v[14:17], s[0:1] scale_offset
	global_store_b128 v30, v[8:11], s[0:1] offset:16 scale_offset
.LBB255_21:
	s_sendmsg sendmsg(MSG_DEALLOC_VGPRS)
	s_endpgm
	.section	.rodata,"a",@progbits
	.p2align	6, 0x0
	.amdhsa_kernel _ZN9rocsparseL19gebsrmvn_2xn_kernelILj128ELj7ELj16E21rocsparse_complex_numIdEEEvi20rocsparse_direction_NS_24const_host_device_scalarIT2_EEPKiS8_PKS5_SA_S6_PS5_21rocsparse_index_base_b
		.amdhsa_group_segment_fixed_size 0
		.amdhsa_private_segment_fixed_size 0
		.amdhsa_kernarg_size 88
		.amdhsa_user_sgpr_count 2
		.amdhsa_user_sgpr_dispatch_ptr 0
		.amdhsa_user_sgpr_queue_ptr 0
		.amdhsa_user_sgpr_kernarg_segment_ptr 1
		.amdhsa_user_sgpr_dispatch_id 0
		.amdhsa_user_sgpr_kernarg_preload_length 0
		.amdhsa_user_sgpr_kernarg_preload_offset 0
		.amdhsa_user_sgpr_private_segment_size 0
		.amdhsa_wavefront_size32 1
		.amdhsa_uses_dynamic_stack 0
		.amdhsa_enable_private_segment 0
		.amdhsa_system_sgpr_workgroup_id_x 1
		.amdhsa_system_sgpr_workgroup_id_y 0
		.amdhsa_system_sgpr_workgroup_id_z 0
		.amdhsa_system_sgpr_workgroup_info 0
		.amdhsa_system_vgpr_workitem_id 0
		.amdhsa_next_free_vgpr 95
		.amdhsa_next_free_sgpr 14
		.amdhsa_named_barrier_count 0
		.amdhsa_reserve_vcc 1
		.amdhsa_float_round_mode_32 0
		.amdhsa_float_round_mode_16_64 0
		.amdhsa_float_denorm_mode_32 3
		.amdhsa_float_denorm_mode_16_64 3
		.amdhsa_fp16_overflow 0
		.amdhsa_memory_ordered 1
		.amdhsa_forward_progress 1
		.amdhsa_inst_pref_size 24
		.amdhsa_round_robin_scheduling 0
		.amdhsa_exception_fp_ieee_invalid_op 0
		.amdhsa_exception_fp_denorm_src 0
		.amdhsa_exception_fp_ieee_div_zero 0
		.amdhsa_exception_fp_ieee_overflow 0
		.amdhsa_exception_fp_ieee_underflow 0
		.amdhsa_exception_fp_ieee_inexact 0
		.amdhsa_exception_int_div_zero 0
	.end_amdhsa_kernel
	.section	.text._ZN9rocsparseL19gebsrmvn_2xn_kernelILj128ELj7ELj16E21rocsparse_complex_numIdEEEvi20rocsparse_direction_NS_24const_host_device_scalarIT2_EEPKiS8_PKS5_SA_S6_PS5_21rocsparse_index_base_b,"axG",@progbits,_ZN9rocsparseL19gebsrmvn_2xn_kernelILj128ELj7ELj16E21rocsparse_complex_numIdEEEvi20rocsparse_direction_NS_24const_host_device_scalarIT2_EEPKiS8_PKS5_SA_S6_PS5_21rocsparse_index_base_b,comdat
.Lfunc_end255:
	.size	_ZN9rocsparseL19gebsrmvn_2xn_kernelILj128ELj7ELj16E21rocsparse_complex_numIdEEEvi20rocsparse_direction_NS_24const_host_device_scalarIT2_EEPKiS8_PKS5_SA_S6_PS5_21rocsparse_index_base_b, .Lfunc_end255-_ZN9rocsparseL19gebsrmvn_2xn_kernelILj128ELj7ELj16E21rocsparse_complex_numIdEEEvi20rocsparse_direction_NS_24const_host_device_scalarIT2_EEPKiS8_PKS5_SA_S6_PS5_21rocsparse_index_base_b
                                        ; -- End function
	.set _ZN9rocsparseL19gebsrmvn_2xn_kernelILj128ELj7ELj16E21rocsparse_complex_numIdEEEvi20rocsparse_direction_NS_24const_host_device_scalarIT2_EEPKiS8_PKS5_SA_S6_PS5_21rocsparse_index_base_b.num_vgpr, 95
	.set _ZN9rocsparseL19gebsrmvn_2xn_kernelILj128ELj7ELj16E21rocsparse_complex_numIdEEEvi20rocsparse_direction_NS_24const_host_device_scalarIT2_EEPKiS8_PKS5_SA_S6_PS5_21rocsparse_index_base_b.num_agpr, 0
	.set _ZN9rocsparseL19gebsrmvn_2xn_kernelILj128ELj7ELj16E21rocsparse_complex_numIdEEEvi20rocsparse_direction_NS_24const_host_device_scalarIT2_EEPKiS8_PKS5_SA_S6_PS5_21rocsparse_index_base_b.numbered_sgpr, 14
	.set _ZN9rocsparseL19gebsrmvn_2xn_kernelILj128ELj7ELj16E21rocsparse_complex_numIdEEEvi20rocsparse_direction_NS_24const_host_device_scalarIT2_EEPKiS8_PKS5_SA_S6_PS5_21rocsparse_index_base_b.num_named_barrier, 0
	.set _ZN9rocsparseL19gebsrmvn_2xn_kernelILj128ELj7ELj16E21rocsparse_complex_numIdEEEvi20rocsparse_direction_NS_24const_host_device_scalarIT2_EEPKiS8_PKS5_SA_S6_PS5_21rocsparse_index_base_b.private_seg_size, 0
	.set _ZN9rocsparseL19gebsrmvn_2xn_kernelILj128ELj7ELj16E21rocsparse_complex_numIdEEEvi20rocsparse_direction_NS_24const_host_device_scalarIT2_EEPKiS8_PKS5_SA_S6_PS5_21rocsparse_index_base_b.uses_vcc, 1
	.set _ZN9rocsparseL19gebsrmvn_2xn_kernelILj128ELj7ELj16E21rocsparse_complex_numIdEEEvi20rocsparse_direction_NS_24const_host_device_scalarIT2_EEPKiS8_PKS5_SA_S6_PS5_21rocsparse_index_base_b.uses_flat_scratch, 0
	.set _ZN9rocsparseL19gebsrmvn_2xn_kernelILj128ELj7ELj16E21rocsparse_complex_numIdEEEvi20rocsparse_direction_NS_24const_host_device_scalarIT2_EEPKiS8_PKS5_SA_S6_PS5_21rocsparse_index_base_b.has_dyn_sized_stack, 0
	.set _ZN9rocsparseL19gebsrmvn_2xn_kernelILj128ELj7ELj16E21rocsparse_complex_numIdEEEvi20rocsparse_direction_NS_24const_host_device_scalarIT2_EEPKiS8_PKS5_SA_S6_PS5_21rocsparse_index_base_b.has_recursion, 0
	.set _ZN9rocsparseL19gebsrmvn_2xn_kernelILj128ELj7ELj16E21rocsparse_complex_numIdEEEvi20rocsparse_direction_NS_24const_host_device_scalarIT2_EEPKiS8_PKS5_SA_S6_PS5_21rocsparse_index_base_b.has_indirect_call, 0
	.section	.AMDGPU.csdata,"",@progbits
; Kernel info:
; codeLenInByte = 2948
; TotalNumSgprs: 16
; NumVgprs: 95
; ScratchSize: 0
; MemoryBound: 0
; FloatMode: 240
; IeeeMode: 1
; LDSByteSize: 0 bytes/workgroup (compile time only)
; SGPRBlocks: 0
; VGPRBlocks: 5
; NumSGPRsForWavesPerEU: 16
; NumVGPRsForWavesPerEU: 95
; NamedBarCnt: 0
; Occupancy: 10
; WaveLimiterHint : 1
; COMPUTE_PGM_RSRC2:SCRATCH_EN: 0
; COMPUTE_PGM_RSRC2:USER_SGPR: 2
; COMPUTE_PGM_RSRC2:TRAP_HANDLER: 0
; COMPUTE_PGM_RSRC2:TGID_X_EN: 1
; COMPUTE_PGM_RSRC2:TGID_Y_EN: 0
; COMPUTE_PGM_RSRC2:TGID_Z_EN: 0
; COMPUTE_PGM_RSRC2:TIDIG_COMP_CNT: 0
	.section	.text._ZN9rocsparseL19gebsrmvn_2xn_kernelILj128ELj7ELj32E21rocsparse_complex_numIdEEEvi20rocsparse_direction_NS_24const_host_device_scalarIT2_EEPKiS8_PKS5_SA_S6_PS5_21rocsparse_index_base_b,"axG",@progbits,_ZN9rocsparseL19gebsrmvn_2xn_kernelILj128ELj7ELj32E21rocsparse_complex_numIdEEEvi20rocsparse_direction_NS_24const_host_device_scalarIT2_EEPKiS8_PKS5_SA_S6_PS5_21rocsparse_index_base_b,comdat
	.globl	_ZN9rocsparseL19gebsrmvn_2xn_kernelILj128ELj7ELj32E21rocsparse_complex_numIdEEEvi20rocsparse_direction_NS_24const_host_device_scalarIT2_EEPKiS8_PKS5_SA_S6_PS5_21rocsparse_index_base_b ; -- Begin function _ZN9rocsparseL19gebsrmvn_2xn_kernelILj128ELj7ELj32E21rocsparse_complex_numIdEEEvi20rocsparse_direction_NS_24const_host_device_scalarIT2_EEPKiS8_PKS5_SA_S6_PS5_21rocsparse_index_base_b
	.p2align	8
	.type	_ZN9rocsparseL19gebsrmvn_2xn_kernelILj128ELj7ELj32E21rocsparse_complex_numIdEEEvi20rocsparse_direction_NS_24const_host_device_scalarIT2_EEPKiS8_PKS5_SA_S6_PS5_21rocsparse_index_base_b,@function
_ZN9rocsparseL19gebsrmvn_2xn_kernelILj128ELj7ELj32E21rocsparse_complex_numIdEEEvi20rocsparse_direction_NS_24const_host_device_scalarIT2_EEPKiS8_PKS5_SA_S6_PS5_21rocsparse_index_base_b: ; @_ZN9rocsparseL19gebsrmvn_2xn_kernelILj128ELj7ELj32E21rocsparse_complex_numIdEEEvi20rocsparse_direction_NS_24const_host_device_scalarIT2_EEPKiS8_PKS5_SA_S6_PS5_21rocsparse_index_base_b
; %bb.0:
	s_clause 0x1
	s_load_b64 s[12:13], s[0:1], 0x50
	s_load_b64 s[2:3], s[0:1], 0x8
	v_mov_b32_e32 v1, 0
	s_add_nc_u64 s[4:5], s[0:1], 8
	s_load_b64 s[6:7], s[0:1], 0x38
	s_wait_kmcnt 0x0
	s_bitcmp1_b32 s13, 0
	s_cselect_b32 s3, s5, s3
	s_cselect_b32 s2, s4, s2
	flat_load_b128 v[2:5], v1, s[2:3]
	s_wait_xcnt 0x0
	s_add_nc_u64 s[2:3], s[0:1], 56
	s_delay_alu instid0(SALU_CYCLE_1)
	s_cselect_b32 s3, s3, s7
	s_cselect_b32 s2, s2, s6
	flat_load_b128 v[6:9], v1, s[2:3]
	s_wait_loadcnt_dscnt 0x101
	v_cmp_eq_f64_e32 vcc_lo, 0, v[2:3]
	s_wait_xcnt 0x0
	v_cmp_eq_f64_e64 s2, 0, v[4:5]
	s_and_b32 s4, vcc_lo, s2
	s_mov_b32 s2, -1
	s_and_saveexec_b32 s3, s4
	s_cbranch_execz .LBB256_2
; %bb.1:
	s_wait_loadcnt_dscnt 0x0
	v_cmp_neq_f64_e32 vcc_lo, 1.0, v[6:7]
	v_cmp_neq_f64_e64 s2, 0, v[8:9]
	s_or_b32 s2, vcc_lo, s2
	s_delay_alu instid0(SALU_CYCLE_1)
	s_or_not1_b32 s2, s2, exec_lo
.LBB256_2:
	s_or_b32 exec_lo, exec_lo, s3
	s_and_saveexec_b32 s3, s2
	s_cbranch_execz .LBB256_21
; %bb.3:
	s_load_b64 s[2:3], s[0:1], 0x0
	s_bfe_u32 s4, ttmp6, 0x4000c
	s_and_b32 s5, ttmp6, 15
	s_add_co_i32 s4, s4, 1
	s_getreg_b32 s6, hwreg(HW_REG_IB_STS2, 6, 4)
	s_mul_i32 s4, ttmp9, s4
	v_lshrrev_b32_e32 v1, 5, v0
	s_add_co_i32 s5, s5, s4
	s_cmp_eq_u32 s6, 0
	s_cselect_b32 s4, ttmp9, s5
	s_delay_alu instid0(VALU_DEP_1) | instid1(SALU_CYCLE_1)
	v_lshl_or_b32 v10, s4, 2, v1
	s_wait_kmcnt 0x0
	s_delay_alu instid0(VALU_DEP_1)
	v_cmp_gt_i32_e32 vcc_lo, s2, v10
	s_and_b32 exec_lo, exec_lo, vcc_lo
	s_cbranch_execz .LBB256_21
; %bb.4:
	s_load_b256 s[4:11], s[0:1], 0x18
	v_ashrrev_i32_e32 v11, 31, v10
	s_cmp_lg_u32 s3, 0
	s_wait_kmcnt 0x0
	s_delay_alu instid0(VALU_DEP_1)
	v_lshl_add_u64 v[12:13], v[10:11], 2, s[4:5]
	v_and_b32_e32 v11, 31, v0
	global_load_b64 v[12:13], v[12:13], off
	s_wait_loadcnt 0x0
	v_subrev_nc_u32_e32 v0, s12, v12
	v_subrev_nc_u32_e32 v18, s12, v13
	s_delay_alu instid0(VALU_DEP_2) | instskip(NEXT) | instid1(VALU_DEP_1)
	v_add_nc_u32_e32 v19, v0, v11
	v_cmp_lt_i32_e64 s2, v19, v18
	s_cbranch_scc0 .LBB256_10
; %bb.5:
	v_mov_b64_e32 v[0:1], 0
	v_mov_b64_e32 v[14:15], 0
	;; [unrolled: 1-line block ×4, first 2 shown]
	s_and_saveexec_b32 s3, s2
	s_cbranch_execz .LBB256_9
; %bb.6:
	v_mad_u32 v20, v19, 14, 12
	v_mov_b64_e32 v[0:1], 0
	v_mov_b64_e32 v[14:15], 0
	;; [unrolled: 1-line block ×4, first 2 shown]
	v_mov_b32_e32 v21, v19
	s_mov_b32 s4, 0
.LBB256_7:                              ; =>This Inner Loop Header: Depth=1
	global_load_b32 v22, v21, s[6:7] scale_offset
	v_dual_add_nc_u32 v34, -12, v20 :: v_dual_add_nc_u32 v46, -10, v20
	s_wait_xcnt 0x0
	v_dual_add_nc_u32 v21, 32, v21 :: v_dual_add_nc_u32 v58, -8, v20
	v_dual_add_nc_u32 v70, -6, v20 :: v_dual_add_nc_u32 v82, -4, v20
	v_add_nc_u32_e32 v90, -2, v20
	s_delay_alu instid0(VALU_DEP_3) | instskip(SKIP_3) | instid1(VALU_DEP_1)
	v_cmp_ge_i32_e32 vcc_lo, v21, v18
	s_or_b32 s4, vcc_lo, s4
	s_wait_loadcnt 0x0
	v_subrev_nc_u32_e32 v22, s12, v22
	v_mul_lo_u32 v94, v22, 7
	s_clause 0x1
	global_load_b128 v[22:25], v34, s[8:9] offset:16 scale_offset
	global_load_b128 v[26:29], v34, s[8:9] scale_offset
	global_load_b128 v[30:33], v94, s[10:11] scale_offset
	global_load_b128 v[34:37], v46, s[8:9] offset:16 scale_offset
	v_dual_add_nc_u32 v47, 1, v94 :: v_dual_add_nc_u32 v59, 2, v94
	v_dual_add_nc_u32 v71, 3, v94 :: v_dual_add_nc_u32 v83, 4, v94
	global_load_b128 v[38:41], v46, s[8:9] scale_offset
	global_load_b128 v[42:45], v47, s[10:11] scale_offset
	s_clause 0x1
	global_load_b128 v[46:49], v58, s[8:9] offset:16 scale_offset
	global_load_b128 v[50:53], v58, s[8:9] scale_offset
	global_load_b128 v[54:57], v59, s[10:11] scale_offset
	s_clause 0x1
	global_load_b128 v[58:61], v70, s[8:9] offset:16 scale_offset
	;; [unrolled: 4-line block ×4, first 2 shown]
	global_load_b128 v[86:89], v90, s[8:9] scale_offset
	s_wait_loadcnt 0xe
	v_fmac_f64_e32 v[14:15], v[26:27], v[30:31]
	s_wait_xcnt 0x0
	v_add_nc_u32_e32 v90, 5, v94
	v_fmac_f64_e32 v[0:1], v[28:29], v[30:31]
	v_fmac_f64_e32 v[16:17], v[22:23], v[30:31]
	;; [unrolled: 1-line block ×3, first 2 shown]
	v_dual_fma_f64 v[14:15], -v[28:29], v[32:33], v[14:15] :: v_dual_add_nc_u32 v30, 6, v94
	global_load_b128 v[90:93], v90, s[10:11] scale_offset
	v_fmac_f64_e32 v[0:1], v[26:27], v[32:33]
	v_fma_f64 v[16:17], -v[24:25], v[32:33], v[16:17]
	v_fmac_f64_e32 v[12:13], v[22:23], v[32:33]
	s_clause 0x1
	global_load_b128 v[22:25], v20, s[8:9] offset:16 scale_offset
	global_load_b128 v[26:29], v20, s[8:9] scale_offset
	global_load_b128 v[30:33], v30, s[10:11] scale_offset
	s_wait_xcnt 0x1
	v_add_nc_u32_e32 v20, 0x1c0, v20
	s_wait_loadcnt 0xf
	v_fmac_f64_e32 v[14:15], v[38:39], v[42:43]
	v_fmac_f64_e32 v[0:1], v[40:41], v[42:43]
	;; [unrolled: 1-line block ×4, first 2 shown]
	s_delay_alu instid0(VALU_DEP_4) | instskip(NEXT) | instid1(VALU_DEP_4)
	v_fma_f64 v[14:15], -v[40:41], v[44:45], v[14:15]
	v_fmac_f64_e32 v[0:1], v[38:39], v[44:45]
	s_delay_alu instid0(VALU_DEP_4) | instskip(NEXT) | instid1(VALU_DEP_4)
	v_fma_f64 v[16:17], -v[36:37], v[44:45], v[16:17]
	v_fmac_f64_e32 v[12:13], v[34:35], v[44:45]
	s_wait_loadcnt 0xc
	s_delay_alu instid0(VALU_DEP_4) | instskip(NEXT) | instid1(VALU_DEP_4)
	v_fmac_f64_e32 v[14:15], v[50:51], v[54:55]
	v_fmac_f64_e32 v[0:1], v[52:53], v[54:55]
	s_delay_alu instid0(VALU_DEP_4) | instskip(NEXT) | instid1(VALU_DEP_4)
	v_fmac_f64_e32 v[16:17], v[46:47], v[54:55]
	v_fmac_f64_e32 v[12:13], v[48:49], v[54:55]
	s_delay_alu instid0(VALU_DEP_4) | instskip(NEXT) | instid1(VALU_DEP_4)
	v_fma_f64 v[14:15], -v[52:53], v[56:57], v[14:15]
	v_fmac_f64_e32 v[0:1], v[50:51], v[56:57]
	s_delay_alu instid0(VALU_DEP_4) | instskip(NEXT) | instid1(VALU_DEP_4)
	v_fma_f64 v[16:17], -v[48:49], v[56:57], v[16:17]
	v_fmac_f64_e32 v[12:13], v[46:47], v[56:57]
	s_wait_loadcnt 0x9
	s_delay_alu instid0(VALU_DEP_4) | instskip(NEXT) | instid1(VALU_DEP_4)
	v_fmac_f64_e32 v[14:15], v[62:63], v[66:67]
	v_fmac_f64_e32 v[0:1], v[64:65], v[66:67]
	s_delay_alu instid0(VALU_DEP_4) | instskip(NEXT) | instid1(VALU_DEP_4)
	v_fmac_f64_e32 v[16:17], v[58:59], v[66:67]
	v_fmac_f64_e32 v[12:13], v[60:61], v[66:67]
	;; [unrolled: 13-line block ×5, first 2 shown]
	s_delay_alu instid0(VALU_DEP_4) | instskip(NEXT) | instid1(VALU_DEP_4)
	v_fma_f64 v[14:15], -v[28:29], v[32:33], v[14:15]
	v_fmac_f64_e32 v[0:1], v[26:27], v[32:33]
	s_delay_alu instid0(VALU_DEP_4) | instskip(NEXT) | instid1(VALU_DEP_4)
	v_fma_f64 v[16:17], -v[24:25], v[32:33], v[16:17]
	v_fmac_f64_e32 v[12:13], v[22:23], v[32:33]
	s_and_not1_b32 exec_lo, exec_lo, s4
	s_cbranch_execnz .LBB256_7
; %bb.8:
	s_or_b32 exec_lo, exec_lo, s4
.LBB256_9:
	s_delay_alu instid0(SALU_CYCLE_1)
	s_or_b32 exec_lo, exec_lo, s3
	s_cbranch_execz .LBB256_11
	s_branch .LBB256_16
.LBB256_10:
                                        ; implicit-def: $vgpr0_vgpr1
                                        ; implicit-def: $vgpr14_vgpr15
                                        ; implicit-def: $vgpr16_vgpr17
                                        ; implicit-def: $vgpr12_vgpr13
.LBB256_11:
	v_mov_b64_e32 v[0:1], 0
	v_mov_b64_e32 v[14:15], 0
	v_mov_b64_e32 v[16:17], 0
	v_mov_b64_e32 v[12:13], 0
	s_and_saveexec_b32 s3, s2
	s_cbranch_execz .LBB256_15
; %bb.12:
	v_mad_u32 v20, v19, 14, 13
	v_mov_b64_e32 v[0:1], 0
	v_mov_b64_e32 v[14:15], 0
	;; [unrolled: 1-line block ×4, first 2 shown]
	s_mov_b32 s2, 0
.LBB256_13:                             ; =>This Inner Loop Header: Depth=1
	global_load_b32 v21, v19, s[6:7] scale_offset
	v_dual_add_nc_u32 v38, -13, v20 :: v_dual_add_nc_u32 v39, -6, v20
	v_dual_add_nc_u32 v90, -8, v20 :: v_dual_add_nc_u32 v58, -4, v20
	s_wait_xcnt 0x0
	v_dual_add_nc_u32 v82, -2, v20 :: v_dual_add_nc_u32 v19, 32, v19
	s_delay_alu instid0(VALU_DEP_1) | instskip(SKIP_3) | instid1(VALU_DEP_1)
	v_cmp_ge_i32_e32 vcc_lo, v19, v18
	s_or_b32 s2, vcc_lo, s2
	s_wait_loadcnt 0x0
	v_subrev_nc_u32_e32 v21, s12, v21
	v_mul_lo_u32 v21, v21, 7
	s_clause 0x2
	global_load_b128 v[22:25], v38, s[8:9] offset:16 scale_offset
	global_load_b128 v[26:29], v38, s[8:9] scale_offset
	global_load_b128 v[30:33], v39, s[8:9] scale_offset
	;; [unrolled: 1-line block ×3, first 2 shown]
	v_dual_add_nc_u32 v46, -5, v20 :: v_dual_add_nc_u32 v70, -3, v20
	v_dual_add_nc_u32 v71, 3, v21 :: v_dual_add_nc_u32 v47, 1, v21
	global_load_b128 v[38:41], v46, s[8:9] scale_offset
	global_load_b128 v[42:45], v47, s[10:11] scale_offset
	s_wait_xcnt 0x1
	v_dual_add_nc_u32 v46, -11, v20 :: v_dual_add_nc_u32 v59, 2, v21
	v_dual_add_nc_u32 v83, 4, v21 :: v_dual_add_nc_u32 v91, -1, v20
	s_clause 0x1
	global_load_b128 v[46:49], v46, s[8:9] scale_offset
	global_load_b128 v[50:53], v58, s[8:9] scale_offset
	;; [unrolled: 1-line block ×3, first 2 shown]
	s_wait_xcnt 0x1
	v_add_nc_u32_e32 v58, -10, v20
	s_clause 0x1
	global_load_b128 v[58:61], v58, s[8:9] scale_offset
	global_load_b128 v[62:65], v70, s[8:9] scale_offset
	;; [unrolled: 1-line block ×3, first 2 shown]
	s_wait_xcnt 0x1
	v_add_nc_u32_e32 v70, -9, v20
	s_clause 0x1
	global_load_b128 v[70:73], v70, s[8:9] scale_offset
	global_load_b128 v[74:77], v82, s[8:9] scale_offset
	;; [unrolled: 1-line block ×3, first 2 shown]
	s_clause 0x1
	global_load_b128 v[82:85], v90, s[8:9] scale_offset
	global_load_b128 v[86:89], v91, s[8:9] scale_offset
	s_wait_xcnt 0x1
	v_dual_add_nc_u32 v90, 5, v21 :: v_dual_add_nc_u32 v21, 6, v21
	global_load_b128 v[90:93], v90, s[10:11] scale_offset
	s_wait_loadcnt 0xe
	v_fmac_f64_e32 v[14:15], v[26:27], v[34:35]
	v_fmac_f64_e32 v[0:1], v[28:29], v[34:35]
	;; [unrolled: 1-line block ×4, first 2 shown]
	v_add_nc_u32_e32 v34, -7, v20
	v_fma_f64 v[14:15], -v[28:29], v[36:37], v[14:15]
	v_fmac_f64_e32 v[0:1], v[26:27], v[36:37]
	v_fma_f64 v[16:17], -v[32:33], v[36:37], v[16:17]
	v_fmac_f64_e32 v[12:13], v[30:31], v[36:37]
	s_clause 0x1
	global_load_b128 v[26:29], v20, s[8:9] scale_offset
	global_load_b128 v[30:33], v34, s[8:9] scale_offset
	global_load_b128 v[34:37], v21, s[10:11] scale_offset
	v_add_nc_u32_e32 v20, 0x1c0, v20
	s_wait_loadcnt 0xf
	v_fmac_f64_e32 v[14:15], v[22:23], v[42:43]
	v_fmac_f64_e32 v[0:1], v[24:25], v[42:43]
	;; [unrolled: 1-line block ×4, first 2 shown]
	s_delay_alu instid0(VALU_DEP_4) | instskip(NEXT) | instid1(VALU_DEP_4)
	v_fma_f64 v[14:15], -v[24:25], v[44:45], v[14:15]
	v_fmac_f64_e32 v[0:1], v[22:23], v[44:45]
	s_delay_alu instid0(VALU_DEP_4) | instskip(NEXT) | instid1(VALU_DEP_4)
	v_fma_f64 v[16:17], -v[40:41], v[44:45], v[16:17]
	v_fmac_f64_e32 v[12:13], v[38:39], v[44:45]
	s_wait_loadcnt 0xc
	s_delay_alu instid0(VALU_DEP_4) | instskip(NEXT) | instid1(VALU_DEP_4)
	v_fmac_f64_e32 v[14:15], v[46:47], v[54:55]
	v_fmac_f64_e32 v[0:1], v[48:49], v[54:55]
	s_delay_alu instid0(VALU_DEP_4) | instskip(NEXT) | instid1(VALU_DEP_4)
	v_fmac_f64_e32 v[16:17], v[50:51], v[54:55]
	v_fmac_f64_e32 v[12:13], v[52:53], v[54:55]
	s_delay_alu instid0(VALU_DEP_4) | instskip(NEXT) | instid1(VALU_DEP_4)
	v_fma_f64 v[14:15], -v[48:49], v[56:57], v[14:15]
	v_fmac_f64_e32 v[0:1], v[46:47], v[56:57]
	s_delay_alu instid0(VALU_DEP_4) | instskip(NEXT) | instid1(VALU_DEP_4)
	v_fma_f64 v[16:17], -v[52:53], v[56:57], v[16:17]
	v_fmac_f64_e32 v[12:13], v[50:51], v[56:57]
	s_wait_loadcnt 0x9
	s_delay_alu instid0(VALU_DEP_4) | instskip(NEXT) | instid1(VALU_DEP_4)
	v_fmac_f64_e32 v[14:15], v[58:59], v[66:67]
	v_fmac_f64_e32 v[0:1], v[60:61], v[66:67]
	s_delay_alu instid0(VALU_DEP_4) | instskip(NEXT) | instid1(VALU_DEP_4)
	v_fmac_f64_e32 v[16:17], v[62:63], v[66:67]
	v_fmac_f64_e32 v[12:13], v[64:65], v[66:67]
	;; [unrolled: 13-line block ×5, first 2 shown]
	s_delay_alu instid0(VALU_DEP_4) | instskip(NEXT) | instid1(VALU_DEP_4)
	v_fma_f64 v[14:15], -v[32:33], v[36:37], v[14:15]
	v_fmac_f64_e32 v[0:1], v[30:31], v[36:37]
	s_delay_alu instid0(VALU_DEP_4) | instskip(NEXT) | instid1(VALU_DEP_4)
	v_fma_f64 v[16:17], -v[28:29], v[36:37], v[16:17]
	v_fmac_f64_e32 v[12:13], v[26:27], v[36:37]
	s_and_not1_b32 exec_lo, exec_lo, s2
	s_cbranch_execnz .LBB256_13
; %bb.14:
	s_or_b32 exec_lo, exec_lo, s2
.LBB256_15:
	s_delay_alu instid0(SALU_CYCLE_1)
	s_or_b32 exec_lo, exec_lo, s3
.LBB256_16:
	v_mbcnt_lo_u32_b32 v28, -1, 0
	s_delay_alu instid0(VALU_DEP_1) | instskip(NEXT) | instid1(VALU_DEP_1)
	v_xor_b32_e32 v18, 16, v28
	v_cmp_gt_i32_e32 vcc_lo, 32, v18
	v_cndmask_b32_e32 v18, v28, v18, vcc_lo
	s_delay_alu instid0(VALU_DEP_1)
	v_lshlrev_b32_e32 v25, 2, v18
	ds_bpermute_b32 v20, v25, v0
	ds_bpermute_b32 v21, v25, v1
	s_wait_dscnt 0x0
	v_add_f64_e32 v[0:1], v[0:1], v[20:21]
	ds_bpermute_b32 v18, v25, v14
	ds_bpermute_b32 v19, v25, v15
	;; [unrolled: 1-line block ×6, first 2 shown]
	s_wait_dscnt 0x4
	v_dual_add_f64 v[14:15], v[14:15], v[18:19] :: v_dual_bitop2_b32 v18, 8, v28 bitop3:0x14
	s_wait_dscnt 0x2
	v_add_f64_e32 v[16:17], v[16:17], v[22:23]
	s_delay_alu instid0(VALU_DEP_2) | instskip(SKIP_2) | instid1(VALU_DEP_1)
	v_cmp_gt_i32_e32 vcc_lo, 32, v18
	v_cndmask_b32_e32 v18, v28, v18, vcc_lo
	s_wait_dscnt 0x0
	v_dual_add_f64 v[12:13], v[12:13], v[24:25] :: v_dual_lshlrev_b32 v25, 2, v18
	ds_bpermute_b32 v20, v25, v0
	ds_bpermute_b32 v21, v25, v1
	;; [unrolled: 1-line block ×8, first 2 shown]
	s_wait_dscnt 0x4
	v_dual_add_f64 v[14:15], v[14:15], v[18:19] :: v_dual_bitop2_b32 v18, 4, v28 bitop3:0x14
	s_wait_dscnt 0x2
	v_add_f64_e32 v[16:17], v[16:17], v[22:23]
	s_delay_alu instid0(VALU_DEP_2) | instskip(SKIP_3) | instid1(VALU_DEP_2)
	v_cmp_gt_i32_e32 vcc_lo, 32, v18
	v_cndmask_b32_e32 v18, v28, v18, vcc_lo
	v_add_f64_e32 v[0:1], v[0:1], v[20:21]
	s_wait_dscnt 0x0
	v_dual_add_f64 v[12:13], v[12:13], v[24:25] :: v_dual_lshlrev_b32 v25, 2, v18
	ds_bpermute_b32 v18, v25, v14
	ds_bpermute_b32 v19, v25, v15
	;; [unrolled: 1-line block ×8, first 2 shown]
	s_wait_dscnt 0x6
	v_add_f64_e32 v[14:15], v[14:15], v[18:19]
	s_wait_dscnt 0x2
	v_add_f64_e32 v[18:19], v[0:1], v[20:21]
	v_add_f64_e32 v[20:21], v[16:17], v[22:23]
	s_wait_dscnt 0x0
	v_add_f64_e32 v[22:23], v[12:13], v[24:25]
	v_xor_b32_e32 v0, 2, v28
	s_delay_alu instid0(VALU_DEP_1) | instskip(SKIP_1) | instid1(VALU_DEP_1)
	v_cmp_gt_i32_e32 vcc_lo, 32, v0
	v_cndmask_b32_e32 v0, v28, v0, vcc_lo
	v_lshlrev_b32_e32 v16, 2, v0
	ds_bpermute_b32 v0, v16, v14
	ds_bpermute_b32 v1, v16, v15
	;; [unrolled: 1-line block ×8, first 2 shown]
	s_wait_dscnt 0x4
	v_add_f64_e32 v[16:17], v[18:19], v[12:13]
	v_xor_b32_e32 v18, 1, v28
	s_wait_dscnt 0x2
	v_add_f64_e32 v[12:13], v[20:21], v[24:25]
	s_delay_alu instid0(VALU_DEP_2)
	v_cmp_gt_i32_e32 vcc_lo, 32, v18
	v_add_f64_e32 v[0:1], v[14:15], v[0:1]
	s_wait_dscnt 0x0
	v_add_f64_e32 v[14:15], v[22:23], v[26:27]
	v_cndmask_b32_e32 v18, v28, v18, vcc_lo
	v_cmp_eq_u32_e32 vcc_lo, 31, v11
	s_delay_alu instid0(VALU_DEP_2)
	v_lshlrev_b32_e32 v21, 2, v18
	ds_bpermute_b32 v22, v21, v16
	ds_bpermute_b32 v23, v21, v17
	;; [unrolled: 1-line block ×8, first 2 shown]
	s_and_b32 exec_lo, exec_lo, vcc_lo
	s_cbranch_execz .LBB256_21
; %bb.17:
	v_cmp_eq_f64_e32 vcc_lo, 0, v[6:7]
	v_cmp_eq_f64_e64 s2, 0, v[8:9]
	s_wait_dscnt 0x2
	v_add_f64_e32 v[0:1], v[0:1], v[24:25]
	v_add_f64_e32 v[16:17], v[16:17], v[22:23]
	;; [unrolled: 1-line block ×3, first 2 shown]
	s_wait_dscnt 0x0
	v_add_f64_e32 v[14:15], v[14:15], v[20:21]
	s_load_b64 s[0:1], s[0:1], 0x48
	s_and_b32 s2, vcc_lo, s2
	s_delay_alu instid0(SALU_CYCLE_1) | instskip(NEXT) | instid1(SALU_CYCLE_1)
	s_and_saveexec_b32 s3, s2
	s_xor_b32 s2, exec_lo, s3
	s_cbranch_execz .LBB256_19
; %bb.18:
	s_delay_alu instid0(VALU_DEP_3) | instskip(SKIP_1) | instid1(VALU_DEP_3)
	v_mul_f64_e64 v[6:7], v[16:17], -v[4:5]
	v_mul_f64_e32 v[8:9], v[2:3], v[16:17]
	v_mul_f64_e64 v[16:17], v[14:15], -v[4:5]
	v_mul_f64_e32 v[18:19], v[2:3], v[14:15]
                                        ; implicit-def: $vgpr14_vgpr15
	s_delay_alu instid0(VALU_DEP_4) | instskip(NEXT) | instid1(VALU_DEP_4)
	v_fmac_f64_e32 v[6:7], v[2:3], v[0:1]
	v_fmac_f64_e32 v[8:9], v[4:5], v[0:1]
	s_delay_alu instid0(VALU_DEP_4) | instskip(NEXT) | instid1(VALU_DEP_4)
	v_fmac_f64_e32 v[16:17], v[2:3], v[12:13]
	v_fmac_f64_e32 v[18:19], v[4:5], v[12:13]
	v_lshlrev_b32_e32 v0, 1, v10
                                        ; implicit-def: $vgpr10
                                        ; implicit-def: $vgpr12_vgpr13
                                        ; implicit-def: $vgpr4_vgpr5
	s_wait_kmcnt 0x0
	s_clause 0x1
	global_store_b128 v0, v[6:9], s[0:1] scale_offset
	global_store_b128 v0, v[16:19], s[0:1] offset:16 scale_offset
                                        ; implicit-def: $vgpr0_vgpr1
                                        ; implicit-def: $vgpr16_vgpr17
                                        ; implicit-def: $vgpr8_vgpr9
.LBB256_19:
	s_wait_xcnt 0x0
	s_and_not1_saveexec_b32 s2, s2
	s_cbranch_execz .LBB256_21
; %bb.20:
	s_delay_alu instid0(VALU_DEP_3) | instskip(SKIP_1) | instid1(VALU_DEP_3)
	v_dual_mul_f64 v[26:27], v[16:17], -v[4:5] :: v_dual_lshlrev_b32 v30, 1, v10
	v_mul_f64_e32 v[16:17], v[2:3], v[16:17]
	v_mul_f64_e64 v[28:29], v[14:15], -v[4:5]
	v_mul_f64_e32 v[10:11], v[2:3], v[14:15]
	s_wait_kmcnt 0x0
	s_clause 0x1
	global_load_b128 v[18:21], v30, s[0:1] scale_offset
	global_load_b128 v[22:25], v30, s[0:1] offset:16 scale_offset
	v_fmac_f64_e32 v[26:27], v[2:3], v[0:1]
	v_fmac_f64_e32 v[16:17], v[4:5], v[0:1]
	;; [unrolled: 1-line block ×4, first 2 shown]
	s_wait_loadcnt 0x1
	s_delay_alu instid0(VALU_DEP_4) | instskip(NEXT) | instid1(VALU_DEP_4)
	v_fmac_f64_e32 v[26:27], v[6:7], v[18:19]
	v_fmac_f64_e32 v[16:17], v[8:9], v[18:19]
	s_wait_loadcnt 0x0
	s_delay_alu instid0(VALU_DEP_4) | instskip(NEXT) | instid1(VALU_DEP_4)
	v_fmac_f64_e32 v[28:29], v[6:7], v[22:23]
	v_fmac_f64_e32 v[10:11], v[8:9], v[22:23]
	s_delay_alu instid0(VALU_DEP_4) | instskip(NEXT) | instid1(VALU_DEP_4)
	v_fma_f64 v[14:15], -v[8:9], v[20:21], v[26:27]
	v_fmac_f64_e32 v[16:17], v[6:7], v[20:21]
	s_delay_alu instid0(VALU_DEP_4) | instskip(NEXT) | instid1(VALU_DEP_4)
	v_fma_f64 v[8:9], -v[8:9], v[24:25], v[28:29]
	v_fmac_f64_e32 v[10:11], v[6:7], v[24:25]
	s_clause 0x1
	global_store_b128 v30, v[14:17], s[0:1] scale_offset
	global_store_b128 v30, v[8:11], s[0:1] offset:16 scale_offset
.LBB256_21:
	s_sendmsg sendmsg(MSG_DEALLOC_VGPRS)
	s_endpgm
	.section	.rodata,"a",@progbits
	.p2align	6, 0x0
	.amdhsa_kernel _ZN9rocsparseL19gebsrmvn_2xn_kernelILj128ELj7ELj32E21rocsparse_complex_numIdEEEvi20rocsparse_direction_NS_24const_host_device_scalarIT2_EEPKiS8_PKS5_SA_S6_PS5_21rocsparse_index_base_b
		.amdhsa_group_segment_fixed_size 0
		.amdhsa_private_segment_fixed_size 0
		.amdhsa_kernarg_size 88
		.amdhsa_user_sgpr_count 2
		.amdhsa_user_sgpr_dispatch_ptr 0
		.amdhsa_user_sgpr_queue_ptr 0
		.amdhsa_user_sgpr_kernarg_segment_ptr 1
		.amdhsa_user_sgpr_dispatch_id 0
		.amdhsa_user_sgpr_kernarg_preload_length 0
		.amdhsa_user_sgpr_kernarg_preload_offset 0
		.amdhsa_user_sgpr_private_segment_size 0
		.amdhsa_wavefront_size32 1
		.amdhsa_uses_dynamic_stack 0
		.amdhsa_enable_private_segment 0
		.amdhsa_system_sgpr_workgroup_id_x 1
		.amdhsa_system_sgpr_workgroup_id_y 0
		.amdhsa_system_sgpr_workgroup_id_z 0
		.amdhsa_system_sgpr_workgroup_info 0
		.amdhsa_system_vgpr_workitem_id 0
		.amdhsa_next_free_vgpr 95
		.amdhsa_next_free_sgpr 14
		.amdhsa_named_barrier_count 0
		.amdhsa_reserve_vcc 1
		.amdhsa_float_round_mode_32 0
		.amdhsa_float_round_mode_16_64 0
		.amdhsa_float_denorm_mode_32 3
		.amdhsa_float_denorm_mode_16_64 3
		.amdhsa_fp16_overflow 0
		.amdhsa_memory_ordered 1
		.amdhsa_forward_progress 1
		.amdhsa_inst_pref_size 24
		.amdhsa_round_robin_scheduling 0
		.amdhsa_exception_fp_ieee_invalid_op 0
		.amdhsa_exception_fp_denorm_src 0
		.amdhsa_exception_fp_ieee_div_zero 0
		.amdhsa_exception_fp_ieee_overflow 0
		.amdhsa_exception_fp_ieee_underflow 0
		.amdhsa_exception_fp_ieee_inexact 0
		.amdhsa_exception_int_div_zero 0
	.end_amdhsa_kernel
	.section	.text._ZN9rocsparseL19gebsrmvn_2xn_kernelILj128ELj7ELj32E21rocsparse_complex_numIdEEEvi20rocsparse_direction_NS_24const_host_device_scalarIT2_EEPKiS8_PKS5_SA_S6_PS5_21rocsparse_index_base_b,"axG",@progbits,_ZN9rocsparseL19gebsrmvn_2xn_kernelILj128ELj7ELj32E21rocsparse_complex_numIdEEEvi20rocsparse_direction_NS_24const_host_device_scalarIT2_EEPKiS8_PKS5_SA_S6_PS5_21rocsparse_index_base_b,comdat
.Lfunc_end256:
	.size	_ZN9rocsparseL19gebsrmvn_2xn_kernelILj128ELj7ELj32E21rocsparse_complex_numIdEEEvi20rocsparse_direction_NS_24const_host_device_scalarIT2_EEPKiS8_PKS5_SA_S6_PS5_21rocsparse_index_base_b, .Lfunc_end256-_ZN9rocsparseL19gebsrmvn_2xn_kernelILj128ELj7ELj32E21rocsparse_complex_numIdEEEvi20rocsparse_direction_NS_24const_host_device_scalarIT2_EEPKiS8_PKS5_SA_S6_PS5_21rocsparse_index_base_b
                                        ; -- End function
	.set _ZN9rocsparseL19gebsrmvn_2xn_kernelILj128ELj7ELj32E21rocsparse_complex_numIdEEEvi20rocsparse_direction_NS_24const_host_device_scalarIT2_EEPKiS8_PKS5_SA_S6_PS5_21rocsparse_index_base_b.num_vgpr, 95
	.set _ZN9rocsparseL19gebsrmvn_2xn_kernelILj128ELj7ELj32E21rocsparse_complex_numIdEEEvi20rocsparse_direction_NS_24const_host_device_scalarIT2_EEPKiS8_PKS5_SA_S6_PS5_21rocsparse_index_base_b.num_agpr, 0
	.set _ZN9rocsparseL19gebsrmvn_2xn_kernelILj128ELj7ELj32E21rocsparse_complex_numIdEEEvi20rocsparse_direction_NS_24const_host_device_scalarIT2_EEPKiS8_PKS5_SA_S6_PS5_21rocsparse_index_base_b.numbered_sgpr, 14
	.set _ZN9rocsparseL19gebsrmvn_2xn_kernelILj128ELj7ELj32E21rocsparse_complex_numIdEEEvi20rocsparse_direction_NS_24const_host_device_scalarIT2_EEPKiS8_PKS5_SA_S6_PS5_21rocsparse_index_base_b.num_named_barrier, 0
	.set _ZN9rocsparseL19gebsrmvn_2xn_kernelILj128ELj7ELj32E21rocsparse_complex_numIdEEEvi20rocsparse_direction_NS_24const_host_device_scalarIT2_EEPKiS8_PKS5_SA_S6_PS5_21rocsparse_index_base_b.private_seg_size, 0
	.set _ZN9rocsparseL19gebsrmvn_2xn_kernelILj128ELj7ELj32E21rocsparse_complex_numIdEEEvi20rocsparse_direction_NS_24const_host_device_scalarIT2_EEPKiS8_PKS5_SA_S6_PS5_21rocsparse_index_base_b.uses_vcc, 1
	.set _ZN9rocsparseL19gebsrmvn_2xn_kernelILj128ELj7ELj32E21rocsparse_complex_numIdEEEvi20rocsparse_direction_NS_24const_host_device_scalarIT2_EEPKiS8_PKS5_SA_S6_PS5_21rocsparse_index_base_b.uses_flat_scratch, 0
	.set _ZN9rocsparseL19gebsrmvn_2xn_kernelILj128ELj7ELj32E21rocsparse_complex_numIdEEEvi20rocsparse_direction_NS_24const_host_device_scalarIT2_EEPKiS8_PKS5_SA_S6_PS5_21rocsparse_index_base_b.has_dyn_sized_stack, 0
	.set _ZN9rocsparseL19gebsrmvn_2xn_kernelILj128ELj7ELj32E21rocsparse_complex_numIdEEEvi20rocsparse_direction_NS_24const_host_device_scalarIT2_EEPKiS8_PKS5_SA_S6_PS5_21rocsparse_index_base_b.has_recursion, 0
	.set _ZN9rocsparseL19gebsrmvn_2xn_kernelILj128ELj7ELj32E21rocsparse_complex_numIdEEEvi20rocsparse_direction_NS_24const_host_device_scalarIT2_EEPKiS8_PKS5_SA_S6_PS5_21rocsparse_index_base_b.has_indirect_call, 0
	.section	.AMDGPU.csdata,"",@progbits
; Kernel info:
; codeLenInByte = 3064
; TotalNumSgprs: 16
; NumVgprs: 95
; ScratchSize: 0
; MemoryBound: 0
; FloatMode: 240
; IeeeMode: 1
; LDSByteSize: 0 bytes/workgroup (compile time only)
; SGPRBlocks: 0
; VGPRBlocks: 5
; NumSGPRsForWavesPerEU: 16
; NumVGPRsForWavesPerEU: 95
; NamedBarCnt: 0
; Occupancy: 10
; WaveLimiterHint : 1
; COMPUTE_PGM_RSRC2:SCRATCH_EN: 0
; COMPUTE_PGM_RSRC2:USER_SGPR: 2
; COMPUTE_PGM_RSRC2:TRAP_HANDLER: 0
; COMPUTE_PGM_RSRC2:TGID_X_EN: 1
; COMPUTE_PGM_RSRC2:TGID_Y_EN: 0
; COMPUTE_PGM_RSRC2:TGID_Z_EN: 0
; COMPUTE_PGM_RSRC2:TIDIG_COMP_CNT: 0
	.section	.text._ZN9rocsparseL19gebsrmvn_2xn_kernelILj128ELj7ELj64E21rocsparse_complex_numIdEEEvi20rocsparse_direction_NS_24const_host_device_scalarIT2_EEPKiS8_PKS5_SA_S6_PS5_21rocsparse_index_base_b,"axG",@progbits,_ZN9rocsparseL19gebsrmvn_2xn_kernelILj128ELj7ELj64E21rocsparse_complex_numIdEEEvi20rocsparse_direction_NS_24const_host_device_scalarIT2_EEPKiS8_PKS5_SA_S6_PS5_21rocsparse_index_base_b,comdat
	.globl	_ZN9rocsparseL19gebsrmvn_2xn_kernelILj128ELj7ELj64E21rocsparse_complex_numIdEEEvi20rocsparse_direction_NS_24const_host_device_scalarIT2_EEPKiS8_PKS5_SA_S6_PS5_21rocsparse_index_base_b ; -- Begin function _ZN9rocsparseL19gebsrmvn_2xn_kernelILj128ELj7ELj64E21rocsparse_complex_numIdEEEvi20rocsparse_direction_NS_24const_host_device_scalarIT2_EEPKiS8_PKS5_SA_S6_PS5_21rocsparse_index_base_b
	.p2align	8
	.type	_ZN9rocsparseL19gebsrmvn_2xn_kernelILj128ELj7ELj64E21rocsparse_complex_numIdEEEvi20rocsparse_direction_NS_24const_host_device_scalarIT2_EEPKiS8_PKS5_SA_S6_PS5_21rocsparse_index_base_b,@function
_ZN9rocsparseL19gebsrmvn_2xn_kernelILj128ELj7ELj64E21rocsparse_complex_numIdEEEvi20rocsparse_direction_NS_24const_host_device_scalarIT2_EEPKiS8_PKS5_SA_S6_PS5_21rocsparse_index_base_b: ; @_ZN9rocsparseL19gebsrmvn_2xn_kernelILj128ELj7ELj64E21rocsparse_complex_numIdEEEvi20rocsparse_direction_NS_24const_host_device_scalarIT2_EEPKiS8_PKS5_SA_S6_PS5_21rocsparse_index_base_b
; %bb.0:
	s_clause 0x1
	s_load_b64 s[12:13], s[0:1], 0x50
	s_load_b64 s[2:3], s[0:1], 0x8
	v_mov_b32_e32 v1, 0
	s_add_nc_u64 s[4:5], s[0:1], 8
	s_load_b64 s[6:7], s[0:1], 0x38
	s_wait_kmcnt 0x0
	s_bitcmp1_b32 s13, 0
	s_cselect_b32 s3, s5, s3
	s_cselect_b32 s2, s4, s2
	flat_load_b128 v[2:5], v1, s[2:3]
	s_wait_xcnt 0x0
	s_add_nc_u64 s[2:3], s[0:1], 56
	s_delay_alu instid0(SALU_CYCLE_1)
	s_cselect_b32 s3, s3, s7
	s_cselect_b32 s2, s2, s6
	flat_load_b128 v[6:9], v1, s[2:3]
	s_wait_loadcnt_dscnt 0x101
	v_cmp_eq_f64_e32 vcc_lo, 0, v[2:3]
	s_wait_xcnt 0x0
	v_cmp_eq_f64_e64 s2, 0, v[4:5]
	s_and_b32 s4, vcc_lo, s2
	s_mov_b32 s2, -1
	s_and_saveexec_b32 s3, s4
	s_cbranch_execz .LBB257_2
; %bb.1:
	s_wait_loadcnt_dscnt 0x0
	v_cmp_neq_f64_e32 vcc_lo, 1.0, v[6:7]
	v_cmp_neq_f64_e64 s2, 0, v[8:9]
	s_or_b32 s2, vcc_lo, s2
	s_delay_alu instid0(SALU_CYCLE_1)
	s_or_not1_b32 s2, s2, exec_lo
.LBB257_2:
	s_or_b32 exec_lo, exec_lo, s3
	s_and_saveexec_b32 s3, s2
	s_cbranch_execz .LBB257_21
; %bb.3:
	s_load_b64 s[2:3], s[0:1], 0x0
	s_bfe_u32 s4, ttmp6, 0x4000c
	s_and_b32 s5, ttmp6, 15
	s_add_co_i32 s4, s4, 1
	s_getreg_b32 s6, hwreg(HW_REG_IB_STS2, 6, 4)
	s_mul_i32 s4, ttmp9, s4
	v_lshrrev_b32_e32 v1, 6, v0
	s_add_co_i32 s5, s5, s4
	s_cmp_eq_u32 s6, 0
	s_cselect_b32 s4, ttmp9, s5
	s_delay_alu instid0(VALU_DEP_1) | instid1(SALU_CYCLE_1)
	v_lshl_or_b32 v10, s4, 1, v1
	s_wait_kmcnt 0x0
	s_delay_alu instid0(VALU_DEP_1)
	v_cmp_gt_i32_e32 vcc_lo, s2, v10
	s_and_b32 exec_lo, exec_lo, vcc_lo
	s_cbranch_execz .LBB257_21
; %bb.4:
	s_load_b256 s[4:11], s[0:1], 0x18
	v_ashrrev_i32_e32 v11, 31, v10
	s_cmp_lg_u32 s3, 0
	s_wait_kmcnt 0x0
	s_delay_alu instid0(VALU_DEP_1)
	v_lshl_add_u64 v[12:13], v[10:11], 2, s[4:5]
	v_and_b32_e32 v11, 63, v0
	global_load_b64 v[12:13], v[12:13], off
	s_wait_loadcnt 0x0
	v_subrev_nc_u32_e32 v0, s12, v12
	v_subrev_nc_u32_e32 v18, s12, v13
	s_delay_alu instid0(VALU_DEP_2) | instskip(NEXT) | instid1(VALU_DEP_1)
	v_add_nc_u32_e32 v19, v0, v11
	v_cmp_lt_i32_e64 s2, v19, v18
	s_cbranch_scc0 .LBB257_10
; %bb.5:
	v_mov_b64_e32 v[0:1], 0
	v_mov_b64_e32 v[14:15], 0
	v_mov_b64_e32 v[16:17], 0
	v_mov_b64_e32 v[12:13], 0
	s_and_saveexec_b32 s3, s2
	s_cbranch_execz .LBB257_9
; %bb.6:
	v_mad_u32 v20, v19, 14, 12
	v_mov_b64_e32 v[0:1], 0
	v_mov_b64_e32 v[14:15], 0
	;; [unrolled: 1-line block ×4, first 2 shown]
	v_mov_b32_e32 v21, v19
	s_mov_b32 s4, 0
.LBB257_7:                              ; =>This Inner Loop Header: Depth=1
	global_load_b32 v22, v21, s[6:7] scale_offset
	v_dual_add_nc_u32 v34, -12, v20 :: v_dual_add_nc_u32 v46, -10, v20
	s_wait_xcnt 0x0
	v_dual_add_nc_u32 v21, 64, v21 :: v_dual_add_nc_u32 v58, -8, v20
	v_dual_add_nc_u32 v70, -6, v20 :: v_dual_add_nc_u32 v82, -4, v20
	v_add_nc_u32_e32 v90, -2, v20
	s_delay_alu instid0(VALU_DEP_3) | instskip(SKIP_3) | instid1(VALU_DEP_1)
	v_cmp_ge_i32_e32 vcc_lo, v21, v18
	s_or_b32 s4, vcc_lo, s4
	s_wait_loadcnt 0x0
	v_subrev_nc_u32_e32 v22, s12, v22
	v_mul_lo_u32 v94, v22, 7
	s_clause 0x1
	global_load_b128 v[22:25], v34, s[8:9] offset:16 scale_offset
	global_load_b128 v[26:29], v34, s[8:9] scale_offset
	global_load_b128 v[30:33], v94, s[10:11] scale_offset
	global_load_b128 v[34:37], v46, s[8:9] offset:16 scale_offset
	v_dual_add_nc_u32 v47, 1, v94 :: v_dual_add_nc_u32 v59, 2, v94
	v_dual_add_nc_u32 v71, 3, v94 :: v_dual_add_nc_u32 v83, 4, v94
	global_load_b128 v[38:41], v46, s[8:9] scale_offset
	global_load_b128 v[42:45], v47, s[10:11] scale_offset
	s_clause 0x1
	global_load_b128 v[46:49], v58, s[8:9] offset:16 scale_offset
	global_load_b128 v[50:53], v58, s[8:9] scale_offset
	global_load_b128 v[54:57], v59, s[10:11] scale_offset
	s_clause 0x1
	global_load_b128 v[58:61], v70, s[8:9] offset:16 scale_offset
	global_load_b128 v[62:65], v70, s[8:9] scale_offset
	global_load_b128 v[66:69], v71, s[10:11] scale_offset
	s_clause 0x1
	global_load_b128 v[70:73], v82, s[8:9] offset:16 scale_offset
	global_load_b128 v[74:77], v82, s[8:9] scale_offset
	global_load_b128 v[78:81], v83, s[10:11] scale_offset
	s_clause 0x1
	global_load_b128 v[82:85], v90, s[8:9] offset:16 scale_offset
	global_load_b128 v[86:89], v90, s[8:9] scale_offset
	s_wait_loadcnt 0xe
	v_fmac_f64_e32 v[14:15], v[26:27], v[30:31]
	s_wait_xcnt 0x0
	v_add_nc_u32_e32 v90, 5, v94
	v_fmac_f64_e32 v[0:1], v[28:29], v[30:31]
	v_fmac_f64_e32 v[16:17], v[22:23], v[30:31]
	;; [unrolled: 1-line block ×3, first 2 shown]
	v_dual_fma_f64 v[14:15], -v[28:29], v[32:33], v[14:15] :: v_dual_add_nc_u32 v30, 6, v94
	global_load_b128 v[90:93], v90, s[10:11] scale_offset
	v_fmac_f64_e32 v[0:1], v[26:27], v[32:33]
	v_fma_f64 v[16:17], -v[24:25], v[32:33], v[16:17]
	v_fmac_f64_e32 v[12:13], v[22:23], v[32:33]
	s_clause 0x1
	global_load_b128 v[22:25], v20, s[8:9] offset:16 scale_offset
	global_load_b128 v[26:29], v20, s[8:9] scale_offset
	global_load_b128 v[30:33], v30, s[10:11] scale_offset
	s_wait_xcnt 0x1
	v_add_nc_u32_e32 v20, 0x380, v20
	s_wait_loadcnt 0xf
	v_fmac_f64_e32 v[14:15], v[38:39], v[42:43]
	v_fmac_f64_e32 v[0:1], v[40:41], v[42:43]
	;; [unrolled: 1-line block ×4, first 2 shown]
	s_delay_alu instid0(VALU_DEP_4) | instskip(NEXT) | instid1(VALU_DEP_4)
	v_fma_f64 v[14:15], -v[40:41], v[44:45], v[14:15]
	v_fmac_f64_e32 v[0:1], v[38:39], v[44:45]
	s_delay_alu instid0(VALU_DEP_4) | instskip(NEXT) | instid1(VALU_DEP_4)
	v_fma_f64 v[16:17], -v[36:37], v[44:45], v[16:17]
	v_fmac_f64_e32 v[12:13], v[34:35], v[44:45]
	s_wait_loadcnt 0xc
	s_delay_alu instid0(VALU_DEP_4) | instskip(NEXT) | instid1(VALU_DEP_4)
	v_fmac_f64_e32 v[14:15], v[50:51], v[54:55]
	v_fmac_f64_e32 v[0:1], v[52:53], v[54:55]
	s_delay_alu instid0(VALU_DEP_4) | instskip(NEXT) | instid1(VALU_DEP_4)
	v_fmac_f64_e32 v[16:17], v[46:47], v[54:55]
	v_fmac_f64_e32 v[12:13], v[48:49], v[54:55]
	s_delay_alu instid0(VALU_DEP_4) | instskip(NEXT) | instid1(VALU_DEP_4)
	v_fma_f64 v[14:15], -v[52:53], v[56:57], v[14:15]
	v_fmac_f64_e32 v[0:1], v[50:51], v[56:57]
	s_delay_alu instid0(VALU_DEP_4) | instskip(NEXT) | instid1(VALU_DEP_4)
	v_fma_f64 v[16:17], -v[48:49], v[56:57], v[16:17]
	v_fmac_f64_e32 v[12:13], v[46:47], v[56:57]
	s_wait_loadcnt 0x9
	s_delay_alu instid0(VALU_DEP_4) | instskip(NEXT) | instid1(VALU_DEP_4)
	v_fmac_f64_e32 v[14:15], v[62:63], v[66:67]
	v_fmac_f64_e32 v[0:1], v[64:65], v[66:67]
	s_delay_alu instid0(VALU_DEP_4) | instskip(NEXT) | instid1(VALU_DEP_4)
	v_fmac_f64_e32 v[16:17], v[58:59], v[66:67]
	v_fmac_f64_e32 v[12:13], v[60:61], v[66:67]
	;; [unrolled: 13-line block ×5, first 2 shown]
	s_delay_alu instid0(VALU_DEP_4) | instskip(NEXT) | instid1(VALU_DEP_4)
	v_fma_f64 v[14:15], -v[28:29], v[32:33], v[14:15]
	v_fmac_f64_e32 v[0:1], v[26:27], v[32:33]
	s_delay_alu instid0(VALU_DEP_4) | instskip(NEXT) | instid1(VALU_DEP_4)
	v_fma_f64 v[16:17], -v[24:25], v[32:33], v[16:17]
	v_fmac_f64_e32 v[12:13], v[22:23], v[32:33]
	s_and_not1_b32 exec_lo, exec_lo, s4
	s_cbranch_execnz .LBB257_7
; %bb.8:
	s_or_b32 exec_lo, exec_lo, s4
.LBB257_9:
	s_delay_alu instid0(SALU_CYCLE_1)
	s_or_b32 exec_lo, exec_lo, s3
	s_cbranch_execz .LBB257_11
	s_branch .LBB257_16
.LBB257_10:
                                        ; implicit-def: $vgpr0_vgpr1
                                        ; implicit-def: $vgpr14_vgpr15
                                        ; implicit-def: $vgpr16_vgpr17
                                        ; implicit-def: $vgpr12_vgpr13
.LBB257_11:
	v_mov_b64_e32 v[0:1], 0
	v_mov_b64_e32 v[14:15], 0
	v_mov_b64_e32 v[16:17], 0
	v_mov_b64_e32 v[12:13], 0
	s_and_saveexec_b32 s3, s2
	s_cbranch_execz .LBB257_15
; %bb.12:
	v_mad_u32 v20, v19, 14, 13
	v_mov_b64_e32 v[0:1], 0
	v_mov_b64_e32 v[14:15], 0
	;; [unrolled: 1-line block ×4, first 2 shown]
	s_mov_b32 s2, 0
.LBB257_13:                             ; =>This Inner Loop Header: Depth=1
	global_load_b32 v21, v19, s[6:7] scale_offset
	v_dual_add_nc_u32 v38, -13, v20 :: v_dual_add_nc_u32 v39, -6, v20
	v_dual_add_nc_u32 v90, -8, v20 :: v_dual_add_nc_u32 v58, -4, v20
	s_wait_xcnt 0x0
	v_dual_add_nc_u32 v82, -2, v20 :: v_dual_add_nc_u32 v19, 64, v19
	s_delay_alu instid0(VALU_DEP_1) | instskip(SKIP_3) | instid1(VALU_DEP_1)
	v_cmp_ge_i32_e32 vcc_lo, v19, v18
	s_or_b32 s2, vcc_lo, s2
	s_wait_loadcnt 0x0
	v_subrev_nc_u32_e32 v21, s12, v21
	v_mul_lo_u32 v21, v21, 7
	s_clause 0x2
	global_load_b128 v[22:25], v38, s[8:9] offset:16 scale_offset
	global_load_b128 v[26:29], v38, s[8:9] scale_offset
	global_load_b128 v[30:33], v39, s[8:9] scale_offset
	;; [unrolled: 1-line block ×3, first 2 shown]
	v_dual_add_nc_u32 v46, -5, v20 :: v_dual_add_nc_u32 v70, -3, v20
	v_dual_add_nc_u32 v71, 3, v21 :: v_dual_add_nc_u32 v47, 1, v21
	global_load_b128 v[38:41], v46, s[8:9] scale_offset
	global_load_b128 v[42:45], v47, s[10:11] scale_offset
	s_wait_xcnt 0x1
	v_dual_add_nc_u32 v46, -11, v20 :: v_dual_add_nc_u32 v59, 2, v21
	v_dual_add_nc_u32 v83, 4, v21 :: v_dual_add_nc_u32 v91, -1, v20
	s_clause 0x1
	global_load_b128 v[46:49], v46, s[8:9] scale_offset
	global_load_b128 v[50:53], v58, s[8:9] scale_offset
	;; [unrolled: 1-line block ×3, first 2 shown]
	s_wait_xcnt 0x1
	v_add_nc_u32_e32 v58, -10, v20
	s_clause 0x1
	global_load_b128 v[58:61], v58, s[8:9] scale_offset
	global_load_b128 v[62:65], v70, s[8:9] scale_offset
	;; [unrolled: 1-line block ×3, first 2 shown]
	s_wait_xcnt 0x1
	v_add_nc_u32_e32 v70, -9, v20
	s_clause 0x1
	global_load_b128 v[70:73], v70, s[8:9] scale_offset
	global_load_b128 v[74:77], v82, s[8:9] scale_offset
	;; [unrolled: 1-line block ×3, first 2 shown]
	s_clause 0x1
	global_load_b128 v[82:85], v90, s[8:9] scale_offset
	global_load_b128 v[86:89], v91, s[8:9] scale_offset
	s_wait_xcnt 0x1
	v_dual_add_nc_u32 v90, 5, v21 :: v_dual_add_nc_u32 v21, 6, v21
	global_load_b128 v[90:93], v90, s[10:11] scale_offset
	s_wait_loadcnt 0xe
	v_fmac_f64_e32 v[14:15], v[26:27], v[34:35]
	v_fmac_f64_e32 v[0:1], v[28:29], v[34:35]
	;; [unrolled: 1-line block ×4, first 2 shown]
	v_add_nc_u32_e32 v34, -7, v20
	v_fma_f64 v[14:15], -v[28:29], v[36:37], v[14:15]
	v_fmac_f64_e32 v[0:1], v[26:27], v[36:37]
	v_fma_f64 v[16:17], -v[32:33], v[36:37], v[16:17]
	v_fmac_f64_e32 v[12:13], v[30:31], v[36:37]
	s_clause 0x1
	global_load_b128 v[26:29], v20, s[8:9] scale_offset
	global_load_b128 v[30:33], v34, s[8:9] scale_offset
	;; [unrolled: 1-line block ×3, first 2 shown]
	v_add_nc_u32_e32 v20, 0x380, v20
	s_wait_loadcnt 0xf
	v_fmac_f64_e32 v[14:15], v[22:23], v[42:43]
	v_fmac_f64_e32 v[0:1], v[24:25], v[42:43]
	;; [unrolled: 1-line block ×4, first 2 shown]
	s_delay_alu instid0(VALU_DEP_4) | instskip(NEXT) | instid1(VALU_DEP_4)
	v_fma_f64 v[14:15], -v[24:25], v[44:45], v[14:15]
	v_fmac_f64_e32 v[0:1], v[22:23], v[44:45]
	s_delay_alu instid0(VALU_DEP_4) | instskip(NEXT) | instid1(VALU_DEP_4)
	v_fma_f64 v[16:17], -v[40:41], v[44:45], v[16:17]
	v_fmac_f64_e32 v[12:13], v[38:39], v[44:45]
	s_wait_loadcnt 0xc
	s_delay_alu instid0(VALU_DEP_4) | instskip(NEXT) | instid1(VALU_DEP_4)
	v_fmac_f64_e32 v[14:15], v[46:47], v[54:55]
	v_fmac_f64_e32 v[0:1], v[48:49], v[54:55]
	s_delay_alu instid0(VALU_DEP_4) | instskip(NEXT) | instid1(VALU_DEP_4)
	v_fmac_f64_e32 v[16:17], v[50:51], v[54:55]
	v_fmac_f64_e32 v[12:13], v[52:53], v[54:55]
	s_delay_alu instid0(VALU_DEP_4) | instskip(NEXT) | instid1(VALU_DEP_4)
	v_fma_f64 v[14:15], -v[48:49], v[56:57], v[14:15]
	v_fmac_f64_e32 v[0:1], v[46:47], v[56:57]
	s_delay_alu instid0(VALU_DEP_4) | instskip(NEXT) | instid1(VALU_DEP_4)
	v_fma_f64 v[16:17], -v[52:53], v[56:57], v[16:17]
	v_fmac_f64_e32 v[12:13], v[50:51], v[56:57]
	s_wait_loadcnt 0x9
	s_delay_alu instid0(VALU_DEP_4) | instskip(NEXT) | instid1(VALU_DEP_4)
	v_fmac_f64_e32 v[14:15], v[58:59], v[66:67]
	v_fmac_f64_e32 v[0:1], v[60:61], v[66:67]
	s_delay_alu instid0(VALU_DEP_4) | instskip(NEXT) | instid1(VALU_DEP_4)
	v_fmac_f64_e32 v[16:17], v[62:63], v[66:67]
	v_fmac_f64_e32 v[12:13], v[64:65], v[66:67]
	s_delay_alu instid0(VALU_DEP_4) | instskip(NEXT) | instid1(VALU_DEP_4)
	v_fma_f64 v[14:15], -v[60:61], v[68:69], v[14:15]
	v_fmac_f64_e32 v[0:1], v[58:59], v[68:69]
	s_delay_alu instid0(VALU_DEP_4) | instskip(NEXT) | instid1(VALU_DEP_4)
	v_fma_f64 v[16:17], -v[64:65], v[68:69], v[16:17]
	v_fmac_f64_e32 v[12:13], v[62:63], v[68:69]
	s_wait_loadcnt 0x6
	s_delay_alu instid0(VALU_DEP_4) | instskip(NEXT) | instid1(VALU_DEP_4)
	v_fmac_f64_e32 v[14:15], v[70:71], v[78:79]
	v_fmac_f64_e32 v[0:1], v[72:73], v[78:79]
	s_delay_alu instid0(VALU_DEP_4) | instskip(NEXT) | instid1(VALU_DEP_4)
	v_fmac_f64_e32 v[16:17], v[74:75], v[78:79]
	v_fmac_f64_e32 v[12:13], v[76:77], v[78:79]
	s_delay_alu instid0(VALU_DEP_4) | instskip(NEXT) | instid1(VALU_DEP_4)
	v_fma_f64 v[14:15], -v[72:73], v[80:81], v[14:15]
	v_fmac_f64_e32 v[0:1], v[70:71], v[80:81]
	s_delay_alu instid0(VALU_DEP_4) | instskip(NEXT) | instid1(VALU_DEP_4)
	v_fma_f64 v[16:17], -v[76:77], v[80:81], v[16:17]
	v_fmac_f64_e32 v[12:13], v[74:75], v[80:81]
	s_wait_loadcnt 0x3
	s_delay_alu instid0(VALU_DEP_4) | instskip(NEXT) | instid1(VALU_DEP_4)
	v_fmac_f64_e32 v[14:15], v[82:83], v[90:91]
	v_fmac_f64_e32 v[0:1], v[84:85], v[90:91]
	s_delay_alu instid0(VALU_DEP_4) | instskip(NEXT) | instid1(VALU_DEP_4)
	v_fmac_f64_e32 v[16:17], v[86:87], v[90:91]
	v_fmac_f64_e32 v[12:13], v[88:89], v[90:91]
	s_delay_alu instid0(VALU_DEP_4) | instskip(NEXT) | instid1(VALU_DEP_4)
	v_fma_f64 v[14:15], -v[84:85], v[92:93], v[14:15]
	v_fmac_f64_e32 v[0:1], v[82:83], v[92:93]
	s_delay_alu instid0(VALU_DEP_4) | instskip(NEXT) | instid1(VALU_DEP_4)
	v_fma_f64 v[16:17], -v[88:89], v[92:93], v[16:17]
	v_fmac_f64_e32 v[12:13], v[86:87], v[92:93]
	s_wait_loadcnt 0x0
	s_delay_alu instid0(VALU_DEP_4) | instskip(NEXT) | instid1(VALU_DEP_4)
	v_fmac_f64_e32 v[14:15], v[30:31], v[34:35]
	v_fmac_f64_e32 v[0:1], v[32:33], v[34:35]
	s_delay_alu instid0(VALU_DEP_4) | instskip(NEXT) | instid1(VALU_DEP_4)
	v_fmac_f64_e32 v[16:17], v[26:27], v[34:35]
	v_fmac_f64_e32 v[12:13], v[28:29], v[34:35]
	s_delay_alu instid0(VALU_DEP_4) | instskip(NEXT) | instid1(VALU_DEP_4)
	v_fma_f64 v[14:15], -v[32:33], v[36:37], v[14:15]
	v_fmac_f64_e32 v[0:1], v[30:31], v[36:37]
	s_delay_alu instid0(VALU_DEP_4) | instskip(NEXT) | instid1(VALU_DEP_4)
	v_fma_f64 v[16:17], -v[28:29], v[36:37], v[16:17]
	v_fmac_f64_e32 v[12:13], v[26:27], v[36:37]
	s_and_not1_b32 exec_lo, exec_lo, s2
	s_cbranch_execnz .LBB257_13
; %bb.14:
	s_or_b32 exec_lo, exec_lo, s2
.LBB257_15:
	s_delay_alu instid0(SALU_CYCLE_1)
	s_or_b32 exec_lo, exec_lo, s3
.LBB257_16:
	v_mbcnt_lo_u32_b32 v28, -1, 0
	s_delay_alu instid0(VALU_DEP_1) | instskip(NEXT) | instid1(VALU_DEP_1)
	v_or_b32_e32 v18, 32, v28
	v_cmp_gt_i32_e32 vcc_lo, 32, v18
	v_cndmask_b32_e32 v18, v28, v18, vcc_lo
	s_delay_alu instid0(VALU_DEP_1)
	v_lshlrev_b32_e32 v25, 2, v18
	ds_bpermute_b32 v20, v25, v0
	ds_bpermute_b32 v21, v25, v1
	s_wait_dscnt 0x0
	v_add_f64_e32 v[0:1], v[0:1], v[20:21]
	ds_bpermute_b32 v18, v25, v14
	ds_bpermute_b32 v19, v25, v15
	;; [unrolled: 1-line block ×6, first 2 shown]
	s_wait_dscnt 0x4
	v_dual_add_f64 v[14:15], v[14:15], v[18:19] :: v_dual_bitop2_b32 v18, 16, v28 bitop3:0x14
	s_wait_dscnt 0x2
	v_add_f64_e32 v[16:17], v[16:17], v[22:23]
	s_delay_alu instid0(VALU_DEP_2) | instskip(SKIP_2) | instid1(VALU_DEP_1)
	v_cmp_gt_i32_e32 vcc_lo, 32, v18
	v_cndmask_b32_e32 v18, v28, v18, vcc_lo
	s_wait_dscnt 0x0
	v_dual_add_f64 v[12:13], v[12:13], v[24:25] :: v_dual_lshlrev_b32 v25, 2, v18
	ds_bpermute_b32 v20, v25, v0
	ds_bpermute_b32 v21, v25, v1
	;; [unrolled: 1-line block ×8, first 2 shown]
	s_wait_dscnt 0x4
	v_dual_add_f64 v[14:15], v[14:15], v[18:19] :: v_dual_bitop2_b32 v18, 8, v28 bitop3:0x14
	s_wait_dscnt 0x2
	v_add_f64_e32 v[16:17], v[16:17], v[22:23]
	s_delay_alu instid0(VALU_DEP_2) | instskip(SKIP_3) | instid1(VALU_DEP_2)
	v_cmp_gt_i32_e32 vcc_lo, 32, v18
	v_cndmask_b32_e32 v18, v28, v18, vcc_lo
	v_add_f64_e32 v[0:1], v[0:1], v[20:21]
	s_wait_dscnt 0x0
	v_dual_add_f64 v[12:13], v[12:13], v[24:25] :: v_dual_lshlrev_b32 v25, 2, v18
	ds_bpermute_b32 v18, v25, v14
	ds_bpermute_b32 v19, v25, v15
	;; [unrolled: 1-line block ×5, first 2 shown]
	s_wait_dscnt 0x3
	v_dual_add_f64 v[14:15], v[14:15], v[18:19] :: v_dual_bitop2_b32 v18, 4, v28 bitop3:0x14
	ds_bpermute_b32 v22, v25, v16
	ds_bpermute_b32 v23, v25, v17
	;; [unrolled: 1-line block ×3, first 2 shown]
	v_cmp_gt_i32_e32 vcc_lo, 32, v18
	v_cndmask_b32_e32 v18, v28, v18, vcc_lo
	s_wait_dscnt 0x4
	v_add_f64_e32 v[0:1], v[0:1], v[20:21]
	s_wait_dscnt 0x1
	v_add_f64_e32 v[16:17], v[16:17], v[22:23]
	s_wait_dscnt 0x0
	v_dual_add_f64 v[12:13], v[12:13], v[24:25] :: v_dual_lshlrev_b32 v25, 2, v18
	ds_bpermute_b32 v18, v25, v14
	ds_bpermute_b32 v19, v25, v15
	;; [unrolled: 1-line block ×4, first 2 shown]
	s_wait_dscnt 0x2
	v_add_f64_e32 v[14:15], v[14:15], v[18:19]
	ds_bpermute_b32 v22, v25, v16
	ds_bpermute_b32 v23, v25, v17
	;; [unrolled: 1-line block ×4, first 2 shown]
	s_wait_dscnt 0x4
	v_add_f64_e32 v[18:19], v[0:1], v[20:21]
	v_xor_b32_e32 v0, 2, v28
	s_delay_alu instid0(VALU_DEP_1)
	v_cmp_gt_i32_e32 vcc_lo, 32, v0
	s_wait_dscnt 0x2
	v_add_f64_e32 v[20:21], v[16:17], v[22:23]
	v_cndmask_b32_e32 v0, v28, v0, vcc_lo
	s_wait_dscnt 0x0
	v_add_f64_e32 v[22:23], v[12:13], v[24:25]
	s_delay_alu instid0(VALU_DEP_2)
	v_lshlrev_b32_e32 v16, 2, v0
	ds_bpermute_b32 v0, v16, v14
	ds_bpermute_b32 v1, v16, v15
	;; [unrolled: 1-line block ×8, first 2 shown]
	s_wait_dscnt 0x6
	v_add_f64_e32 v[0:1], v[14:15], v[0:1]
	s_wait_dscnt 0x4
	v_add_f64_e32 v[16:17], v[18:19], v[12:13]
	v_xor_b32_e32 v18, 1, v28
	s_delay_alu instid0(VALU_DEP_1)
	v_cmp_gt_i32_e32 vcc_lo, 32, v18
	s_wait_dscnt 0x2
	v_add_f64_e32 v[12:13], v[20:21], v[24:25]
	v_cndmask_b32_e32 v18, v28, v18, vcc_lo
	s_wait_dscnt 0x0
	v_add_f64_e32 v[14:15], v[22:23], v[26:27]
	v_cmp_eq_u32_e32 vcc_lo, 63, v11
	s_delay_alu instid0(VALU_DEP_3)
	v_lshlrev_b32_e32 v21, 2, v18
	ds_bpermute_b32 v24, v21, v0
	ds_bpermute_b32 v25, v21, v1
	;; [unrolled: 1-line block ×8, first 2 shown]
	s_and_b32 exec_lo, exec_lo, vcc_lo
	s_cbranch_execz .LBB257_21
; %bb.17:
	v_cmp_eq_f64_e32 vcc_lo, 0, v[6:7]
	v_cmp_eq_f64_e64 s2, 0, v[8:9]
	s_wait_dscnt 0x6
	v_add_f64_e32 v[0:1], v[0:1], v[24:25]
	s_wait_dscnt 0x4
	v_add_f64_e32 v[16:17], v[16:17], v[22:23]
	;; [unrolled: 2-line block ×4, first 2 shown]
	s_load_b64 s[0:1], s[0:1], 0x48
	s_and_b32 s2, vcc_lo, s2
	s_delay_alu instid0(SALU_CYCLE_1) | instskip(NEXT) | instid1(SALU_CYCLE_1)
	s_and_saveexec_b32 s3, s2
	s_xor_b32 s2, exec_lo, s3
	s_cbranch_execz .LBB257_19
; %bb.18:
	s_delay_alu instid0(VALU_DEP_3) | instskip(SKIP_1) | instid1(VALU_DEP_3)
	v_mul_f64_e64 v[6:7], v[16:17], -v[4:5]
	v_mul_f64_e32 v[8:9], v[2:3], v[16:17]
	v_mul_f64_e64 v[16:17], v[14:15], -v[4:5]
	v_mul_f64_e32 v[18:19], v[2:3], v[14:15]
                                        ; implicit-def: $vgpr14_vgpr15
	s_delay_alu instid0(VALU_DEP_4) | instskip(NEXT) | instid1(VALU_DEP_4)
	v_fmac_f64_e32 v[6:7], v[2:3], v[0:1]
	v_fmac_f64_e32 v[8:9], v[4:5], v[0:1]
	s_delay_alu instid0(VALU_DEP_4) | instskip(NEXT) | instid1(VALU_DEP_4)
	v_fmac_f64_e32 v[16:17], v[2:3], v[12:13]
	v_fmac_f64_e32 v[18:19], v[4:5], v[12:13]
	v_lshlrev_b32_e32 v0, 1, v10
                                        ; implicit-def: $vgpr10
                                        ; implicit-def: $vgpr12_vgpr13
                                        ; implicit-def: $vgpr4_vgpr5
	s_wait_kmcnt 0x0
	s_clause 0x1
	global_store_b128 v0, v[6:9], s[0:1] scale_offset
	global_store_b128 v0, v[16:19], s[0:1] offset:16 scale_offset
                                        ; implicit-def: $vgpr0_vgpr1
                                        ; implicit-def: $vgpr16_vgpr17
                                        ; implicit-def: $vgpr8_vgpr9
.LBB257_19:
	s_wait_xcnt 0x0
	s_and_not1_saveexec_b32 s2, s2
	s_cbranch_execz .LBB257_21
; %bb.20:
	s_delay_alu instid0(VALU_DEP_3) | instskip(SKIP_1) | instid1(VALU_DEP_3)
	v_dual_mul_f64 v[26:27], v[16:17], -v[4:5] :: v_dual_lshlrev_b32 v30, 1, v10
	v_mul_f64_e32 v[16:17], v[2:3], v[16:17]
	v_mul_f64_e64 v[28:29], v[14:15], -v[4:5]
	v_mul_f64_e32 v[10:11], v[2:3], v[14:15]
	s_wait_kmcnt 0x0
	s_clause 0x1
	global_load_b128 v[18:21], v30, s[0:1] scale_offset
	global_load_b128 v[22:25], v30, s[0:1] offset:16 scale_offset
	v_fmac_f64_e32 v[26:27], v[2:3], v[0:1]
	v_fmac_f64_e32 v[16:17], v[4:5], v[0:1]
	;; [unrolled: 1-line block ×4, first 2 shown]
	s_wait_loadcnt 0x1
	s_delay_alu instid0(VALU_DEP_4) | instskip(NEXT) | instid1(VALU_DEP_4)
	v_fmac_f64_e32 v[26:27], v[6:7], v[18:19]
	v_fmac_f64_e32 v[16:17], v[8:9], v[18:19]
	s_wait_loadcnt 0x0
	s_delay_alu instid0(VALU_DEP_4) | instskip(NEXT) | instid1(VALU_DEP_4)
	v_fmac_f64_e32 v[28:29], v[6:7], v[22:23]
	v_fmac_f64_e32 v[10:11], v[8:9], v[22:23]
	s_delay_alu instid0(VALU_DEP_4) | instskip(NEXT) | instid1(VALU_DEP_4)
	v_fma_f64 v[14:15], -v[8:9], v[20:21], v[26:27]
	v_fmac_f64_e32 v[16:17], v[6:7], v[20:21]
	s_delay_alu instid0(VALU_DEP_4) | instskip(NEXT) | instid1(VALU_DEP_4)
	v_fma_f64 v[8:9], -v[8:9], v[24:25], v[28:29]
	v_fmac_f64_e32 v[10:11], v[6:7], v[24:25]
	s_clause 0x1
	global_store_b128 v30, v[14:17], s[0:1] scale_offset
	global_store_b128 v30, v[8:11], s[0:1] offset:16 scale_offset
.LBB257_21:
	s_sendmsg sendmsg(MSG_DEALLOC_VGPRS)
	s_endpgm
	.section	.rodata,"a",@progbits
	.p2align	6, 0x0
	.amdhsa_kernel _ZN9rocsparseL19gebsrmvn_2xn_kernelILj128ELj7ELj64E21rocsparse_complex_numIdEEEvi20rocsparse_direction_NS_24const_host_device_scalarIT2_EEPKiS8_PKS5_SA_S6_PS5_21rocsparse_index_base_b
		.amdhsa_group_segment_fixed_size 0
		.amdhsa_private_segment_fixed_size 0
		.amdhsa_kernarg_size 88
		.amdhsa_user_sgpr_count 2
		.amdhsa_user_sgpr_dispatch_ptr 0
		.amdhsa_user_sgpr_queue_ptr 0
		.amdhsa_user_sgpr_kernarg_segment_ptr 1
		.amdhsa_user_sgpr_dispatch_id 0
		.amdhsa_user_sgpr_kernarg_preload_length 0
		.amdhsa_user_sgpr_kernarg_preload_offset 0
		.amdhsa_user_sgpr_private_segment_size 0
		.amdhsa_wavefront_size32 1
		.amdhsa_uses_dynamic_stack 0
		.amdhsa_enable_private_segment 0
		.amdhsa_system_sgpr_workgroup_id_x 1
		.amdhsa_system_sgpr_workgroup_id_y 0
		.amdhsa_system_sgpr_workgroup_id_z 0
		.amdhsa_system_sgpr_workgroup_info 0
		.amdhsa_system_vgpr_workitem_id 0
		.amdhsa_next_free_vgpr 95
		.amdhsa_next_free_sgpr 14
		.amdhsa_named_barrier_count 0
		.amdhsa_reserve_vcc 1
		.amdhsa_float_round_mode_32 0
		.amdhsa_float_round_mode_16_64 0
		.amdhsa_float_denorm_mode_32 3
		.amdhsa_float_denorm_mode_16_64 3
		.amdhsa_fp16_overflow 0
		.amdhsa_memory_ordered 1
		.amdhsa_forward_progress 1
		.amdhsa_inst_pref_size 26
		.amdhsa_round_robin_scheduling 0
		.amdhsa_exception_fp_ieee_invalid_op 0
		.amdhsa_exception_fp_denorm_src 0
		.amdhsa_exception_fp_ieee_div_zero 0
		.amdhsa_exception_fp_ieee_overflow 0
		.amdhsa_exception_fp_ieee_underflow 0
		.amdhsa_exception_fp_ieee_inexact 0
		.amdhsa_exception_int_div_zero 0
	.end_amdhsa_kernel
	.section	.text._ZN9rocsparseL19gebsrmvn_2xn_kernelILj128ELj7ELj64E21rocsparse_complex_numIdEEEvi20rocsparse_direction_NS_24const_host_device_scalarIT2_EEPKiS8_PKS5_SA_S6_PS5_21rocsparse_index_base_b,"axG",@progbits,_ZN9rocsparseL19gebsrmvn_2xn_kernelILj128ELj7ELj64E21rocsparse_complex_numIdEEEvi20rocsparse_direction_NS_24const_host_device_scalarIT2_EEPKiS8_PKS5_SA_S6_PS5_21rocsparse_index_base_b,comdat
.Lfunc_end257:
	.size	_ZN9rocsparseL19gebsrmvn_2xn_kernelILj128ELj7ELj64E21rocsparse_complex_numIdEEEvi20rocsparse_direction_NS_24const_host_device_scalarIT2_EEPKiS8_PKS5_SA_S6_PS5_21rocsparse_index_base_b, .Lfunc_end257-_ZN9rocsparseL19gebsrmvn_2xn_kernelILj128ELj7ELj64E21rocsparse_complex_numIdEEEvi20rocsparse_direction_NS_24const_host_device_scalarIT2_EEPKiS8_PKS5_SA_S6_PS5_21rocsparse_index_base_b
                                        ; -- End function
	.set _ZN9rocsparseL19gebsrmvn_2xn_kernelILj128ELj7ELj64E21rocsparse_complex_numIdEEEvi20rocsparse_direction_NS_24const_host_device_scalarIT2_EEPKiS8_PKS5_SA_S6_PS5_21rocsparse_index_base_b.num_vgpr, 95
	.set _ZN9rocsparseL19gebsrmvn_2xn_kernelILj128ELj7ELj64E21rocsparse_complex_numIdEEEvi20rocsparse_direction_NS_24const_host_device_scalarIT2_EEPKiS8_PKS5_SA_S6_PS5_21rocsparse_index_base_b.num_agpr, 0
	.set _ZN9rocsparseL19gebsrmvn_2xn_kernelILj128ELj7ELj64E21rocsparse_complex_numIdEEEvi20rocsparse_direction_NS_24const_host_device_scalarIT2_EEPKiS8_PKS5_SA_S6_PS5_21rocsparse_index_base_b.numbered_sgpr, 14
	.set _ZN9rocsparseL19gebsrmvn_2xn_kernelILj128ELj7ELj64E21rocsparse_complex_numIdEEEvi20rocsparse_direction_NS_24const_host_device_scalarIT2_EEPKiS8_PKS5_SA_S6_PS5_21rocsparse_index_base_b.num_named_barrier, 0
	.set _ZN9rocsparseL19gebsrmvn_2xn_kernelILj128ELj7ELj64E21rocsparse_complex_numIdEEEvi20rocsparse_direction_NS_24const_host_device_scalarIT2_EEPKiS8_PKS5_SA_S6_PS5_21rocsparse_index_base_b.private_seg_size, 0
	.set _ZN9rocsparseL19gebsrmvn_2xn_kernelILj128ELj7ELj64E21rocsparse_complex_numIdEEEvi20rocsparse_direction_NS_24const_host_device_scalarIT2_EEPKiS8_PKS5_SA_S6_PS5_21rocsparse_index_base_b.uses_vcc, 1
	.set _ZN9rocsparseL19gebsrmvn_2xn_kernelILj128ELj7ELj64E21rocsparse_complex_numIdEEEvi20rocsparse_direction_NS_24const_host_device_scalarIT2_EEPKiS8_PKS5_SA_S6_PS5_21rocsparse_index_base_b.uses_flat_scratch, 0
	.set _ZN9rocsparseL19gebsrmvn_2xn_kernelILj128ELj7ELj64E21rocsparse_complex_numIdEEEvi20rocsparse_direction_NS_24const_host_device_scalarIT2_EEPKiS8_PKS5_SA_S6_PS5_21rocsparse_index_base_b.has_dyn_sized_stack, 0
	.set _ZN9rocsparseL19gebsrmvn_2xn_kernelILj128ELj7ELj64E21rocsparse_complex_numIdEEEvi20rocsparse_direction_NS_24const_host_device_scalarIT2_EEPKiS8_PKS5_SA_S6_PS5_21rocsparse_index_base_b.has_recursion, 0
	.set _ZN9rocsparseL19gebsrmvn_2xn_kernelILj128ELj7ELj64E21rocsparse_complex_numIdEEEvi20rocsparse_direction_NS_24const_host_device_scalarIT2_EEPKiS8_PKS5_SA_S6_PS5_21rocsparse_index_base_b.has_indirect_call, 0
	.section	.AMDGPU.csdata,"",@progbits
; Kernel info:
; codeLenInByte = 3204
; TotalNumSgprs: 16
; NumVgprs: 95
; ScratchSize: 0
; MemoryBound: 0
; FloatMode: 240
; IeeeMode: 1
; LDSByteSize: 0 bytes/workgroup (compile time only)
; SGPRBlocks: 0
; VGPRBlocks: 5
; NumSGPRsForWavesPerEU: 16
; NumVGPRsForWavesPerEU: 95
; NamedBarCnt: 0
; Occupancy: 10
; WaveLimiterHint : 1
; COMPUTE_PGM_RSRC2:SCRATCH_EN: 0
; COMPUTE_PGM_RSRC2:USER_SGPR: 2
; COMPUTE_PGM_RSRC2:TRAP_HANDLER: 0
; COMPUTE_PGM_RSRC2:TGID_X_EN: 1
; COMPUTE_PGM_RSRC2:TGID_Y_EN: 0
; COMPUTE_PGM_RSRC2:TGID_Z_EN: 0
; COMPUTE_PGM_RSRC2:TIDIG_COMP_CNT: 0
	.section	.text._ZN9rocsparseL19gebsrmvn_2xn_kernelILj128ELj8ELj4E21rocsparse_complex_numIdEEEvi20rocsparse_direction_NS_24const_host_device_scalarIT2_EEPKiS8_PKS5_SA_S6_PS5_21rocsparse_index_base_b,"axG",@progbits,_ZN9rocsparseL19gebsrmvn_2xn_kernelILj128ELj8ELj4E21rocsparse_complex_numIdEEEvi20rocsparse_direction_NS_24const_host_device_scalarIT2_EEPKiS8_PKS5_SA_S6_PS5_21rocsparse_index_base_b,comdat
	.globl	_ZN9rocsparseL19gebsrmvn_2xn_kernelILj128ELj8ELj4E21rocsparse_complex_numIdEEEvi20rocsparse_direction_NS_24const_host_device_scalarIT2_EEPKiS8_PKS5_SA_S6_PS5_21rocsparse_index_base_b ; -- Begin function _ZN9rocsparseL19gebsrmvn_2xn_kernelILj128ELj8ELj4E21rocsparse_complex_numIdEEEvi20rocsparse_direction_NS_24const_host_device_scalarIT2_EEPKiS8_PKS5_SA_S6_PS5_21rocsparse_index_base_b
	.p2align	8
	.type	_ZN9rocsparseL19gebsrmvn_2xn_kernelILj128ELj8ELj4E21rocsparse_complex_numIdEEEvi20rocsparse_direction_NS_24const_host_device_scalarIT2_EEPKiS8_PKS5_SA_S6_PS5_21rocsparse_index_base_b,@function
_ZN9rocsparseL19gebsrmvn_2xn_kernelILj128ELj8ELj4E21rocsparse_complex_numIdEEEvi20rocsparse_direction_NS_24const_host_device_scalarIT2_EEPKiS8_PKS5_SA_S6_PS5_21rocsparse_index_base_b: ; @_ZN9rocsparseL19gebsrmvn_2xn_kernelILj128ELj8ELj4E21rocsparse_complex_numIdEEEvi20rocsparse_direction_NS_24const_host_device_scalarIT2_EEPKiS8_PKS5_SA_S6_PS5_21rocsparse_index_base_b
; %bb.0:
	s_clause 0x1
	s_load_b64 s[12:13], s[0:1], 0x50
	s_load_b64 s[2:3], s[0:1], 0x8
	v_mov_b32_e32 v1, 0
	s_add_nc_u64 s[4:5], s[0:1], 8
	s_load_b64 s[6:7], s[0:1], 0x38
	s_wait_kmcnt 0x0
	s_bitcmp1_b32 s13, 0
	s_cselect_b32 s3, s5, s3
	s_cselect_b32 s2, s4, s2
	flat_load_b128 v[2:5], v1, s[2:3]
	s_wait_xcnt 0x0
	s_add_nc_u64 s[2:3], s[0:1], 56
	s_delay_alu instid0(SALU_CYCLE_1)
	s_cselect_b32 s3, s3, s7
	s_cselect_b32 s2, s2, s6
	flat_load_b128 v[6:9], v1, s[2:3]
	s_wait_loadcnt_dscnt 0x101
	v_cmp_eq_f64_e32 vcc_lo, 0, v[2:3]
	s_wait_xcnt 0x0
	v_cmp_eq_f64_e64 s2, 0, v[4:5]
	s_and_b32 s4, vcc_lo, s2
	s_mov_b32 s2, -1
	s_and_saveexec_b32 s3, s4
	s_cbranch_execz .LBB258_2
; %bb.1:
	s_wait_loadcnt_dscnt 0x0
	v_cmp_neq_f64_e32 vcc_lo, 1.0, v[6:7]
	v_cmp_neq_f64_e64 s2, 0, v[8:9]
	s_or_b32 s2, vcc_lo, s2
	s_delay_alu instid0(SALU_CYCLE_1)
	s_or_not1_b32 s2, s2, exec_lo
.LBB258_2:
	s_or_b32 exec_lo, exec_lo, s3
	s_and_saveexec_b32 s3, s2
	s_cbranch_execz .LBB258_21
; %bb.3:
	s_load_b64 s[2:3], s[0:1], 0x0
	s_bfe_u32 s4, ttmp6, 0x4000c
	s_and_b32 s5, ttmp6, 15
	s_add_co_i32 s4, s4, 1
	s_getreg_b32 s6, hwreg(HW_REG_IB_STS2, 6, 4)
	s_mul_i32 s4, ttmp9, s4
	v_lshrrev_b32_e32 v1, 2, v0
	s_add_co_i32 s5, s5, s4
	s_cmp_eq_u32 s6, 0
	s_cselect_b32 s4, ttmp9, s5
	s_delay_alu instid0(VALU_DEP_1) | instid1(SALU_CYCLE_1)
	v_lshl_or_b32 v10, s4, 5, v1
	s_wait_kmcnt 0x0
	s_delay_alu instid0(VALU_DEP_1)
	v_cmp_gt_i32_e32 vcc_lo, s2, v10
	s_and_b32 exec_lo, exec_lo, vcc_lo
	s_cbranch_execz .LBB258_21
; %bb.4:
	s_load_b256 s[4:11], s[0:1], 0x18
	v_ashrrev_i32_e32 v11, 31, v10
	s_cmp_lg_u32 s3, 0
	s_wait_kmcnt 0x0
	s_delay_alu instid0(VALU_DEP_1)
	v_lshl_add_u64 v[12:13], v[10:11], 2, s[4:5]
	v_and_b32_e32 v11, 3, v0
	global_load_b64 v[12:13], v[12:13], off
	s_wait_loadcnt 0x0
	v_subrev_nc_u32_e32 v0, s12, v12
	v_subrev_nc_u32_e32 v18, s12, v13
	s_delay_alu instid0(VALU_DEP_2) | instskip(NEXT) | instid1(VALU_DEP_1)
	v_add_nc_u32_e32 v19, v0, v11
	v_cmp_lt_i32_e64 s2, v19, v18
	s_cbranch_scc0 .LBB258_10
; %bb.5:
	v_mov_b64_e32 v[0:1], 0
	v_mov_b64_e32 v[14:15], 0
	;; [unrolled: 1-line block ×4, first 2 shown]
	s_and_saveexec_b32 s3, s2
	s_cbranch_execz .LBB258_9
; %bb.6:
	v_mov_b64_e32 v[0:1], 0
	v_mov_b64_e32 v[14:15], 0
	;; [unrolled: 1-line block ×4, first 2 shown]
	v_dual_mov_b32 v21, v19 :: v_dual_lshlrev_b32 v20, 4, v19
	s_mov_b32 s4, 0
.LBB258_7:                              ; =>This Inner Loop Header: Depth=1
	global_load_b32 v22, v21, s[6:7] scale_offset
	s_wait_xcnt 0x0
	v_add_nc_u32_e32 v21, 4, v21
	s_wait_loadcnt 0x0
	v_subrev_nc_u32_e32 v26, s12, v22
	global_load_b128 v[22:25], v20, s[8:9] offset:16 scale_offset
	v_lshlrev_b32_e32 v96, 3, v26
	global_load_b128 v[26:29], v20, s[8:9] scale_offset
	global_load_b128 v[30:33], v96, s[10:11] scale_offset
	s_clause 0x1
	global_load_b128 v[34:37], v20, s[8:9] offset:32 scale_offset
	global_load_b128 v[38:41], v20, s[8:9] offset:48 scale_offset
	global_load_b128 v[42:45], v96, s[10:11] offset:16 scale_offset
	s_clause 0x1
	global_load_b128 v[46:49], v20, s[8:9] offset:80 scale_offset
	global_load_b128 v[50:53], v20, s[8:9] offset:64 scale_offset
	global_load_b128 v[54:57], v96, s[10:11] offset:32 scale_offset
	s_clause 0x1
	global_load_b128 v[58:61], v20, s[8:9] offset:96 scale_offset
	global_load_b128 v[62:65], v20, s[8:9] offset:112 scale_offset
	global_load_b128 v[66:69], v96, s[10:11] offset:48 scale_offset
	s_clause 0x1
	global_load_b128 v[70:73], v20, s[8:9] offset:144 scale_offset
	global_load_b128 v[74:77], v20, s[8:9] offset:128 scale_offset
	global_load_b128 v[78:81], v96, s[10:11] offset:64 scale_offset
	s_clause 0x1
	global_load_b128 v[82:85], v20, s[8:9] offset:176 scale_offset
	global_load_b128 v[86:89], v20, s[8:9] offset:160 scale_offset
	global_load_b128 v[90:93], v96, s[10:11] offset:80 scale_offset
	s_wait_loadcnt 0xf
	v_fmac_f64_e32 v[14:15], v[26:27], v[30:31]
	v_fmac_f64_e32 v[0:1], v[28:29], v[30:31]
	;; [unrolled: 1-line block ×4, first 2 shown]
	s_delay_alu instid0(VALU_DEP_4) | instskip(NEXT) | instid1(VALU_DEP_4)
	v_fma_f64 v[30:31], -v[28:29], v[32:33], v[14:15]
	v_fmac_f64_e32 v[0:1], v[26:27], v[32:33]
	s_delay_alu instid0(VALU_DEP_4) | instskip(NEXT) | instid1(VALU_DEP_4)
	v_fma_f64 v[94:95], -v[24:25], v[32:33], v[16:17]
	v_fmac_f64_e32 v[12:13], v[22:23], v[32:33]
	s_clause 0x1
	global_load_b128 v[14:17], v20, s[8:9] offset:208 scale_offset
	global_load_b128 v[22:25], v20, s[8:9] offset:192 scale_offset
	;; [unrolled: 1-line block ×3, first 2 shown]
	s_wait_loadcnt 0xf
	v_fmac_f64_e32 v[30:31], v[34:35], v[42:43]
	v_fmac_f64_e32 v[0:1], v[36:37], v[42:43]
	;; [unrolled: 1-line block ×4, first 2 shown]
	s_delay_alu instid0(VALU_DEP_4) | instskip(NEXT) | instid1(VALU_DEP_4)
	v_fma_f64 v[42:43], -v[36:37], v[44:45], v[30:31]
	v_fmac_f64_e32 v[0:1], v[34:35], v[44:45]
	s_delay_alu instid0(VALU_DEP_4) | instskip(NEXT) | instid1(VALU_DEP_4)
	v_fma_f64 v[94:95], -v[40:41], v[44:45], v[94:95]
	v_fmac_f64_e32 v[12:13], v[38:39], v[44:45]
	s_clause 0x1
	global_load_b128 v[30:33], v20, s[8:9] offset:224 scale_offset
	global_load_b128 v[34:37], v20, s[8:9] offset:240 scale_offset
	global_load_b128 v[38:41], v96, s[10:11] offset:112 scale_offset
	s_wait_xcnt 0x1
	v_add_nc_u32_e32 v20, 64, v20
	v_cmp_ge_i32_e32 vcc_lo, v21, v18
	s_or_b32 s4, vcc_lo, s4
	s_wait_loadcnt 0xf
	v_fmac_f64_e32 v[42:43], v[50:51], v[54:55]
	v_fmac_f64_e32 v[0:1], v[52:53], v[54:55]
	;; [unrolled: 1-line block ×4, first 2 shown]
	s_delay_alu instid0(VALU_DEP_4) | instskip(NEXT) | instid1(VALU_DEP_4)
	v_fma_f64 v[42:43], -v[52:53], v[56:57], v[42:43]
	v_fmac_f64_e32 v[0:1], v[50:51], v[56:57]
	s_delay_alu instid0(VALU_DEP_4) | instskip(NEXT) | instid1(VALU_DEP_4)
	v_fma_f64 v[44:45], -v[48:49], v[56:57], v[94:95]
	v_fmac_f64_e32 v[12:13], v[46:47], v[56:57]
	s_wait_loadcnt 0xc
	s_delay_alu instid0(VALU_DEP_4) | instskip(NEXT) | instid1(VALU_DEP_4)
	v_fmac_f64_e32 v[42:43], v[58:59], v[66:67]
	v_fmac_f64_e32 v[0:1], v[60:61], v[66:67]
	s_delay_alu instid0(VALU_DEP_4) | instskip(NEXT) | instid1(VALU_DEP_4)
	v_fmac_f64_e32 v[44:45], v[62:63], v[66:67]
	v_fmac_f64_e32 v[12:13], v[64:65], v[66:67]
	s_delay_alu instid0(VALU_DEP_4) | instskip(NEXT) | instid1(VALU_DEP_4)
	v_fma_f64 v[42:43], -v[60:61], v[68:69], v[42:43]
	v_fmac_f64_e32 v[0:1], v[58:59], v[68:69]
	s_delay_alu instid0(VALU_DEP_4) | instskip(NEXT) | instid1(VALU_DEP_4)
	v_fma_f64 v[44:45], -v[64:65], v[68:69], v[44:45]
	v_fmac_f64_e32 v[12:13], v[62:63], v[68:69]
	s_wait_loadcnt 0x9
	s_delay_alu instid0(VALU_DEP_4) | instskip(NEXT) | instid1(VALU_DEP_4)
	v_fmac_f64_e32 v[42:43], v[74:75], v[78:79]
	v_fmac_f64_e32 v[0:1], v[76:77], v[78:79]
	s_delay_alu instid0(VALU_DEP_4) | instskip(NEXT) | instid1(VALU_DEP_4)
	v_fmac_f64_e32 v[44:45], v[70:71], v[78:79]
	v_fmac_f64_e32 v[12:13], v[72:73], v[78:79]
	;; [unrolled: 13-line block ×5, first 2 shown]
	s_delay_alu instid0(VALU_DEP_4) | instskip(NEXT) | instid1(VALU_DEP_4)
	v_fma_f64 v[14:15], -v[32:33], v[40:41], v[24:25]
	v_fmac_f64_e32 v[0:1], v[30:31], v[40:41]
	s_delay_alu instid0(VALU_DEP_4) | instskip(NEXT) | instid1(VALU_DEP_4)
	v_fma_f64 v[16:17], -v[36:37], v[40:41], v[16:17]
	v_fmac_f64_e32 v[12:13], v[34:35], v[40:41]
	s_and_not1_b32 exec_lo, exec_lo, s4
	s_cbranch_execnz .LBB258_7
; %bb.8:
	s_or_b32 exec_lo, exec_lo, s4
.LBB258_9:
	s_delay_alu instid0(SALU_CYCLE_1)
	s_or_b32 exec_lo, exec_lo, s3
	s_cbranch_execz .LBB258_11
	s_branch .LBB258_16
.LBB258_10:
                                        ; implicit-def: $vgpr0_vgpr1
                                        ; implicit-def: $vgpr14_vgpr15
                                        ; implicit-def: $vgpr16_vgpr17
                                        ; implicit-def: $vgpr12_vgpr13
.LBB258_11:
	v_mov_b64_e32 v[0:1], 0
	v_mov_b64_e32 v[14:15], 0
	;; [unrolled: 1-line block ×4, first 2 shown]
	s_and_saveexec_b32 s3, s2
	s_cbranch_execz .LBB258_15
; %bb.12:
	v_mov_b64_e32 v[0:1], 0
	v_mov_b64_e32 v[14:15], 0
	v_mov_b64_e32 v[16:17], 0
	v_mov_b64_e32 v[12:13], 0
	v_lshlrev_b32_e32 v20, 4, v19
	s_mov_b32 s2, 0
.LBB258_13:                             ; =>This Inner Loop Header: Depth=1
	global_load_b32 v21, v19, s[6:7] scale_offset
	s_clause 0x2
	global_load_b128 v[22:25], v20, s[8:9] offset:16 scale_offset
	global_load_b128 v[26:29], v20, s[8:9] scale_offset
	global_load_b128 v[30:33], v20, s[8:9] offset:144 scale_offset
	s_wait_xcnt 0x3
	v_add_nc_u32_e32 v19, 4, v19
	s_delay_alu instid0(VALU_DEP_1) | instskip(SKIP_3) | instid1(VALU_DEP_1)
	v_cmp_ge_i32_e32 vcc_lo, v19, v18
	s_or_b32 s2, vcc_lo, s2
	s_wait_loadcnt 0x3
	v_subrev_nc_u32_e32 v21, s12, v21
	v_lshlrev_b32_e32 v21, 3, v21
	global_load_b128 v[34:37], v20, s[8:9] offset:128 scale_offset
	s_clause 0x1
	global_load_b128 v[38:41], v21, s[10:11] scale_offset
	global_load_b128 v[42:45], v21, s[10:11] offset:16 scale_offset
	s_clause 0x3
	global_load_b128 v[46:49], v20, s[8:9] offset:48 scale_offset
	global_load_b128 v[50:53], v20, s[8:9] offset:32 scale_offset
	;; [unrolled: 1-line block ×4, first 2 shown]
	s_clause 0x1
	global_load_b128 v[62:65], v21, s[10:11] offset:32 scale_offset
	global_load_b128 v[66:69], v21, s[10:11] offset:48 scale_offset
	s_clause 0x3
	global_load_b128 v[70:73], v20, s[8:9] offset:80 scale_offset
	global_load_b128 v[74:77], v20, s[8:9] offset:64 scale_offset
	;; [unrolled: 1-line block ×4, first 2 shown]
	s_clause 0x1
	global_load_b128 v[86:89], v21, s[10:11] offset:64 scale_offset
	global_load_b128 v[90:93], v21, s[10:11] offset:80 scale_offset
	s_wait_loadcnt 0xd
	v_fmac_f64_e32 v[14:15], v[26:27], v[38:39]
	v_fmac_f64_e32 v[0:1], v[28:29], v[38:39]
	v_fmac_f64_e32 v[16:17], v[34:35], v[38:39]
	v_fmac_f64_e32 v[12:13], v[36:37], v[38:39]
	s_delay_alu instid0(VALU_DEP_4) | instskip(NEXT) | instid1(VALU_DEP_4)
	v_fma_f64 v[98:99], -v[28:29], v[40:41], v[14:15]
	v_fmac_f64_e32 v[0:1], v[26:27], v[40:41]
	s_delay_alu instid0(VALU_DEP_4) | instskip(NEXT) | instid1(VALU_DEP_4)
	v_fma_f64 v[100:101], -v[36:37], v[40:41], v[16:17]
	v_fmac_f64_e32 v[12:13], v[34:35], v[40:41]
	s_clause 0x3
	global_load_b128 v[26:29], v20, s[8:9] offset:112 scale_offset
	global_load_b128 v[14:17], v20, s[8:9] offset:96 scale_offset
	;; [unrolled: 1-line block ×5, first 2 shown]
	s_wait_xcnt 0x1
	v_add_nc_u32_e32 v20, 64, v20
	s_wait_loadcnt 0x11
	v_fmac_f64_e32 v[98:99], v[22:23], v[42:43]
	v_fmac_f64_e32 v[0:1], v[24:25], v[42:43]
	;; [unrolled: 1-line block ×4, first 2 shown]
	s_delay_alu instid0(VALU_DEP_4) | instskip(NEXT) | instid1(VALU_DEP_4)
	v_fma_f64 v[42:43], -v[24:25], v[44:45], v[98:99]
	v_fmac_f64_e32 v[0:1], v[22:23], v[44:45]
	s_delay_alu instid0(VALU_DEP_4) | instskip(NEXT) | instid1(VALU_DEP_4)
	v_fma_f64 v[32:33], -v[32:33], v[44:45], v[100:101]
	v_fmac_f64_e32 v[12:13], v[30:31], v[44:45]
	global_load_b128 v[22:25], v21, s[10:11] offset:112 scale_offset
	s_wait_loadcnt 0xd
	v_fmac_f64_e32 v[42:43], v[50:51], v[62:63]
	v_fmac_f64_e32 v[0:1], v[52:53], v[62:63]
	;; [unrolled: 1-line block ×4, first 2 shown]
	s_delay_alu instid0(VALU_DEP_4) | instskip(NEXT) | instid1(VALU_DEP_4)
	v_fma_f64 v[30:31], -v[52:53], v[64:65], v[42:43]
	v_fmac_f64_e32 v[0:1], v[50:51], v[64:65]
	s_delay_alu instid0(VALU_DEP_4) | instskip(NEXT) | instid1(VALU_DEP_4)
	v_fma_f64 v[32:33], -v[60:61], v[64:65], v[32:33]
	v_fmac_f64_e32 v[12:13], v[58:59], v[64:65]
	s_wait_loadcnt 0xc
	s_delay_alu instid0(VALU_DEP_4) | instskip(NEXT) | instid1(VALU_DEP_4)
	v_fmac_f64_e32 v[30:31], v[46:47], v[66:67]
	v_fmac_f64_e32 v[0:1], v[48:49], v[66:67]
	s_delay_alu instid0(VALU_DEP_4) | instskip(NEXT) | instid1(VALU_DEP_4)
	v_fmac_f64_e32 v[32:33], v[54:55], v[66:67]
	v_fmac_f64_e32 v[12:13], v[56:57], v[66:67]
	s_delay_alu instid0(VALU_DEP_4) | instskip(NEXT) | instid1(VALU_DEP_4)
	v_fma_f64 v[30:31], -v[48:49], v[68:69], v[30:31]
	v_fmac_f64_e32 v[0:1], v[46:47], v[68:69]
	s_delay_alu instid0(VALU_DEP_4) | instskip(NEXT) | instid1(VALU_DEP_4)
	v_fma_f64 v[32:33], -v[56:57], v[68:69], v[32:33]
	v_fmac_f64_e32 v[12:13], v[54:55], v[68:69]
	s_wait_loadcnt 0x7
	s_delay_alu instid0(VALU_DEP_4) | instskip(NEXT) | instid1(VALU_DEP_4)
	v_fmac_f64_e32 v[30:31], v[74:75], v[86:87]
	v_fmac_f64_e32 v[0:1], v[76:77], v[86:87]
	s_delay_alu instid0(VALU_DEP_4) | instskip(NEXT) | instid1(VALU_DEP_4)
	v_fmac_f64_e32 v[32:33], v[82:83], v[86:87]
	v_fmac_f64_e32 v[12:13], v[84:85], v[86:87]
	;; [unrolled: 13-line block ×5, first 2 shown]
	s_delay_alu instid0(VALU_DEP_4) | instskip(NEXT) | instid1(VALU_DEP_4)
	v_fma_f64 v[14:15], -v[28:29], v[24:25], v[16:17]
	v_fmac_f64_e32 v[0:1], v[26:27], v[24:25]
	s_delay_alu instid0(VALU_DEP_4) | instskip(NEXT) | instid1(VALU_DEP_4)
	v_fma_f64 v[16:17], -v[36:37], v[24:25], v[30:31]
	v_fmac_f64_e32 v[12:13], v[34:35], v[24:25]
	s_and_not1_b32 exec_lo, exec_lo, s2
	s_cbranch_execnz .LBB258_13
; %bb.14:
	s_or_b32 exec_lo, exec_lo, s2
.LBB258_15:
	s_delay_alu instid0(SALU_CYCLE_1)
	s_or_b32 exec_lo, exec_lo, s3
.LBB258_16:
	v_mbcnt_lo_u32_b32 v28, -1, 0
	s_delay_alu instid0(VALU_DEP_1) | instskip(NEXT) | instid1(VALU_DEP_1)
	v_xor_b32_e32 v18, 2, v28
	v_cmp_gt_i32_e32 vcc_lo, 32, v18
	v_cndmask_b32_e32 v18, v28, v18, vcc_lo
	s_delay_alu instid0(VALU_DEP_1)
	v_lshlrev_b32_e32 v22, 2, v18
	ds_bpermute_b32 v20, v22, v0
	ds_bpermute_b32 v21, v22, v1
	s_wait_dscnt 0x0
	v_add_f64_e32 v[20:21], v[0:1], v[20:21]
	ds_bpermute_b32 v18, v22, v14
	ds_bpermute_b32 v19, v22, v15
	;; [unrolled: 1-line block ×6, first 2 shown]
	v_xor_b32_e32 v0, 1, v28
	s_delay_alu instid0(VALU_DEP_1)
	v_cmp_gt_i32_e32 vcc_lo, 32, v0
	v_cndmask_b32_e32 v0, v28, v0, vcc_lo
	v_cmp_eq_u32_e32 vcc_lo, 3, v11
	s_wait_dscnt 0x4
	v_add_f64_e32 v[22:23], v[14:15], v[18:19]
	s_wait_dscnt 0x2
	v_add_f64_e32 v[14:15], v[16:17], v[24:25]
	s_wait_dscnt 0x0
	v_dual_add_f64 v[18:19], v[12:13], v[26:27] :: v_dual_lshlrev_b32 v25, 2, v0
	ds_bpermute_b32 v16, v25, v20
	ds_bpermute_b32 v17, v25, v21
	;; [unrolled: 1-line block ×8, first 2 shown]
	s_and_b32 exec_lo, exec_lo, vcc_lo
	s_cbranch_execz .LBB258_21
; %bb.17:
	v_cmp_eq_f64_e32 vcc_lo, 0, v[6:7]
	v_cmp_eq_f64_e64 s2, 0, v[8:9]
	s_wait_dscnt 0x4
	v_add_f64_e32 v[0:1], v[22:23], v[0:1]
	v_add_f64_e32 v[16:17], v[20:21], v[16:17]
	s_wait_dscnt 0x2
	v_add_f64_e32 v[12:13], v[14:15], v[12:13]
	s_wait_dscnt 0x0
	v_add_f64_e32 v[14:15], v[18:19], v[24:25]
	s_load_b64 s[0:1], s[0:1], 0x48
	s_and_b32 s2, vcc_lo, s2
	s_delay_alu instid0(SALU_CYCLE_1) | instskip(NEXT) | instid1(SALU_CYCLE_1)
	s_and_saveexec_b32 s3, s2
	s_xor_b32 s2, exec_lo, s3
	s_cbranch_execz .LBB258_19
; %bb.18:
	s_delay_alu instid0(VALU_DEP_3) | instskip(SKIP_1) | instid1(VALU_DEP_3)
	v_mul_f64_e64 v[6:7], v[16:17], -v[4:5]
	v_mul_f64_e32 v[8:9], v[2:3], v[16:17]
	v_mul_f64_e64 v[16:17], v[14:15], -v[4:5]
	v_mul_f64_e32 v[18:19], v[2:3], v[14:15]
                                        ; implicit-def: $vgpr14_vgpr15
	s_delay_alu instid0(VALU_DEP_4) | instskip(NEXT) | instid1(VALU_DEP_4)
	v_fmac_f64_e32 v[6:7], v[2:3], v[0:1]
	v_fmac_f64_e32 v[8:9], v[4:5], v[0:1]
	s_delay_alu instid0(VALU_DEP_4) | instskip(NEXT) | instid1(VALU_DEP_4)
	v_fmac_f64_e32 v[16:17], v[2:3], v[12:13]
	v_fmac_f64_e32 v[18:19], v[4:5], v[12:13]
	v_lshlrev_b32_e32 v0, 1, v10
                                        ; implicit-def: $vgpr10
                                        ; implicit-def: $vgpr12_vgpr13
                                        ; implicit-def: $vgpr4_vgpr5
	s_wait_kmcnt 0x0
	s_clause 0x1
	global_store_b128 v0, v[6:9], s[0:1] scale_offset
	global_store_b128 v0, v[16:19], s[0:1] offset:16 scale_offset
                                        ; implicit-def: $vgpr0_vgpr1
                                        ; implicit-def: $vgpr16_vgpr17
                                        ; implicit-def: $vgpr8_vgpr9
.LBB258_19:
	s_wait_xcnt 0x0
	s_and_not1_saveexec_b32 s2, s2
	s_cbranch_execz .LBB258_21
; %bb.20:
	s_delay_alu instid0(VALU_DEP_3) | instskip(SKIP_1) | instid1(VALU_DEP_3)
	v_dual_mul_f64 v[26:27], v[16:17], -v[4:5] :: v_dual_lshlrev_b32 v30, 1, v10
	v_mul_f64_e32 v[16:17], v[2:3], v[16:17]
	v_mul_f64_e64 v[28:29], v[14:15], -v[4:5]
	v_mul_f64_e32 v[10:11], v[2:3], v[14:15]
	s_wait_kmcnt 0x0
	s_clause 0x1
	global_load_b128 v[18:21], v30, s[0:1] scale_offset
	global_load_b128 v[22:25], v30, s[0:1] offset:16 scale_offset
	v_fmac_f64_e32 v[26:27], v[2:3], v[0:1]
	v_fmac_f64_e32 v[16:17], v[4:5], v[0:1]
	;; [unrolled: 1-line block ×4, first 2 shown]
	s_wait_loadcnt 0x1
	s_delay_alu instid0(VALU_DEP_4) | instskip(NEXT) | instid1(VALU_DEP_4)
	v_fmac_f64_e32 v[26:27], v[6:7], v[18:19]
	v_fmac_f64_e32 v[16:17], v[8:9], v[18:19]
	s_wait_loadcnt 0x0
	s_delay_alu instid0(VALU_DEP_4) | instskip(NEXT) | instid1(VALU_DEP_4)
	v_fmac_f64_e32 v[28:29], v[6:7], v[22:23]
	v_fmac_f64_e32 v[10:11], v[8:9], v[22:23]
	s_delay_alu instid0(VALU_DEP_4) | instskip(NEXT) | instid1(VALU_DEP_4)
	v_fma_f64 v[14:15], -v[8:9], v[20:21], v[26:27]
	v_fmac_f64_e32 v[16:17], v[6:7], v[20:21]
	s_delay_alu instid0(VALU_DEP_4) | instskip(NEXT) | instid1(VALU_DEP_4)
	v_fma_f64 v[8:9], -v[8:9], v[24:25], v[28:29]
	v_fmac_f64_e32 v[10:11], v[6:7], v[24:25]
	s_clause 0x1
	global_store_b128 v30, v[14:17], s[0:1] scale_offset
	global_store_b128 v30, v[8:11], s[0:1] offset:16 scale_offset
.LBB258_21:
	s_sendmsg sendmsg(MSG_DEALLOC_VGPRS)
	s_endpgm
	.section	.rodata,"a",@progbits
	.p2align	6, 0x0
	.amdhsa_kernel _ZN9rocsparseL19gebsrmvn_2xn_kernelILj128ELj8ELj4E21rocsparse_complex_numIdEEEvi20rocsparse_direction_NS_24const_host_device_scalarIT2_EEPKiS8_PKS5_SA_S6_PS5_21rocsparse_index_base_b
		.amdhsa_group_segment_fixed_size 0
		.amdhsa_private_segment_fixed_size 0
		.amdhsa_kernarg_size 88
		.amdhsa_user_sgpr_count 2
		.amdhsa_user_sgpr_dispatch_ptr 0
		.amdhsa_user_sgpr_queue_ptr 0
		.amdhsa_user_sgpr_kernarg_segment_ptr 1
		.amdhsa_user_sgpr_dispatch_id 0
		.amdhsa_user_sgpr_kernarg_preload_length 0
		.amdhsa_user_sgpr_kernarg_preload_offset 0
		.amdhsa_user_sgpr_private_segment_size 0
		.amdhsa_wavefront_size32 1
		.amdhsa_uses_dynamic_stack 0
		.amdhsa_enable_private_segment 0
		.amdhsa_system_sgpr_workgroup_id_x 1
		.amdhsa_system_sgpr_workgroup_id_y 0
		.amdhsa_system_sgpr_workgroup_id_z 0
		.amdhsa_system_sgpr_workgroup_info 0
		.amdhsa_system_vgpr_workitem_id 0
		.amdhsa_next_free_vgpr 102
		.amdhsa_next_free_sgpr 14
		.amdhsa_named_barrier_count 0
		.amdhsa_reserve_vcc 1
		.amdhsa_float_round_mode_32 0
		.amdhsa_float_round_mode_16_64 0
		.amdhsa_float_denorm_mode_32 3
		.amdhsa_float_denorm_mode_16_64 3
		.amdhsa_fp16_overflow 0
		.amdhsa_memory_ordered 1
		.amdhsa_forward_progress 1
		.amdhsa_inst_pref_size 22
		.amdhsa_round_robin_scheduling 0
		.amdhsa_exception_fp_ieee_invalid_op 0
		.amdhsa_exception_fp_denorm_src 0
		.amdhsa_exception_fp_ieee_div_zero 0
		.amdhsa_exception_fp_ieee_overflow 0
		.amdhsa_exception_fp_ieee_underflow 0
		.amdhsa_exception_fp_ieee_inexact 0
		.amdhsa_exception_int_div_zero 0
	.end_amdhsa_kernel
	.section	.text._ZN9rocsparseL19gebsrmvn_2xn_kernelILj128ELj8ELj4E21rocsparse_complex_numIdEEEvi20rocsparse_direction_NS_24const_host_device_scalarIT2_EEPKiS8_PKS5_SA_S6_PS5_21rocsparse_index_base_b,"axG",@progbits,_ZN9rocsparseL19gebsrmvn_2xn_kernelILj128ELj8ELj4E21rocsparse_complex_numIdEEEvi20rocsparse_direction_NS_24const_host_device_scalarIT2_EEPKiS8_PKS5_SA_S6_PS5_21rocsparse_index_base_b,comdat
.Lfunc_end258:
	.size	_ZN9rocsparseL19gebsrmvn_2xn_kernelILj128ELj8ELj4E21rocsparse_complex_numIdEEEvi20rocsparse_direction_NS_24const_host_device_scalarIT2_EEPKiS8_PKS5_SA_S6_PS5_21rocsparse_index_base_b, .Lfunc_end258-_ZN9rocsparseL19gebsrmvn_2xn_kernelILj128ELj8ELj4E21rocsparse_complex_numIdEEEvi20rocsparse_direction_NS_24const_host_device_scalarIT2_EEPKiS8_PKS5_SA_S6_PS5_21rocsparse_index_base_b
                                        ; -- End function
	.set _ZN9rocsparseL19gebsrmvn_2xn_kernelILj128ELj8ELj4E21rocsparse_complex_numIdEEEvi20rocsparse_direction_NS_24const_host_device_scalarIT2_EEPKiS8_PKS5_SA_S6_PS5_21rocsparse_index_base_b.num_vgpr, 102
	.set _ZN9rocsparseL19gebsrmvn_2xn_kernelILj128ELj8ELj4E21rocsparse_complex_numIdEEEvi20rocsparse_direction_NS_24const_host_device_scalarIT2_EEPKiS8_PKS5_SA_S6_PS5_21rocsparse_index_base_b.num_agpr, 0
	.set _ZN9rocsparseL19gebsrmvn_2xn_kernelILj128ELj8ELj4E21rocsparse_complex_numIdEEEvi20rocsparse_direction_NS_24const_host_device_scalarIT2_EEPKiS8_PKS5_SA_S6_PS5_21rocsparse_index_base_b.numbered_sgpr, 14
	.set _ZN9rocsparseL19gebsrmvn_2xn_kernelILj128ELj8ELj4E21rocsparse_complex_numIdEEEvi20rocsparse_direction_NS_24const_host_device_scalarIT2_EEPKiS8_PKS5_SA_S6_PS5_21rocsparse_index_base_b.num_named_barrier, 0
	.set _ZN9rocsparseL19gebsrmvn_2xn_kernelILj128ELj8ELj4E21rocsparse_complex_numIdEEEvi20rocsparse_direction_NS_24const_host_device_scalarIT2_EEPKiS8_PKS5_SA_S6_PS5_21rocsparse_index_base_b.private_seg_size, 0
	.set _ZN9rocsparseL19gebsrmvn_2xn_kernelILj128ELj8ELj4E21rocsparse_complex_numIdEEEvi20rocsparse_direction_NS_24const_host_device_scalarIT2_EEPKiS8_PKS5_SA_S6_PS5_21rocsparse_index_base_b.uses_vcc, 1
	.set _ZN9rocsparseL19gebsrmvn_2xn_kernelILj128ELj8ELj4E21rocsparse_complex_numIdEEEvi20rocsparse_direction_NS_24const_host_device_scalarIT2_EEPKiS8_PKS5_SA_S6_PS5_21rocsparse_index_base_b.uses_flat_scratch, 0
	.set _ZN9rocsparseL19gebsrmvn_2xn_kernelILj128ELj8ELj4E21rocsparse_complex_numIdEEEvi20rocsparse_direction_NS_24const_host_device_scalarIT2_EEPKiS8_PKS5_SA_S6_PS5_21rocsparse_index_base_b.has_dyn_sized_stack, 0
	.set _ZN9rocsparseL19gebsrmvn_2xn_kernelILj128ELj8ELj4E21rocsparse_complex_numIdEEEvi20rocsparse_direction_NS_24const_host_device_scalarIT2_EEPKiS8_PKS5_SA_S6_PS5_21rocsparse_index_base_b.has_recursion, 0
	.set _ZN9rocsparseL19gebsrmvn_2xn_kernelILj128ELj8ELj4E21rocsparse_complex_numIdEEEvi20rocsparse_direction_NS_24const_host_device_scalarIT2_EEPKiS8_PKS5_SA_S6_PS5_21rocsparse_index_base_b.has_indirect_call, 0
	.section	.AMDGPU.csdata,"",@progbits
; Kernel info:
; codeLenInByte = 2700
; TotalNumSgprs: 16
; NumVgprs: 102
; ScratchSize: 0
; MemoryBound: 1
; FloatMode: 240
; IeeeMode: 1
; LDSByteSize: 0 bytes/workgroup (compile time only)
; SGPRBlocks: 0
; VGPRBlocks: 6
; NumSGPRsForWavesPerEU: 16
; NumVGPRsForWavesPerEU: 102
; NamedBarCnt: 0
; Occupancy: 9
; WaveLimiterHint : 1
; COMPUTE_PGM_RSRC2:SCRATCH_EN: 0
; COMPUTE_PGM_RSRC2:USER_SGPR: 2
; COMPUTE_PGM_RSRC2:TRAP_HANDLER: 0
; COMPUTE_PGM_RSRC2:TGID_X_EN: 1
; COMPUTE_PGM_RSRC2:TGID_Y_EN: 0
; COMPUTE_PGM_RSRC2:TGID_Z_EN: 0
; COMPUTE_PGM_RSRC2:TIDIG_COMP_CNT: 0
	.section	.text._ZN9rocsparseL19gebsrmvn_2xn_kernelILj128ELj8ELj8E21rocsparse_complex_numIdEEEvi20rocsparse_direction_NS_24const_host_device_scalarIT2_EEPKiS8_PKS5_SA_S6_PS5_21rocsparse_index_base_b,"axG",@progbits,_ZN9rocsparseL19gebsrmvn_2xn_kernelILj128ELj8ELj8E21rocsparse_complex_numIdEEEvi20rocsparse_direction_NS_24const_host_device_scalarIT2_EEPKiS8_PKS5_SA_S6_PS5_21rocsparse_index_base_b,comdat
	.globl	_ZN9rocsparseL19gebsrmvn_2xn_kernelILj128ELj8ELj8E21rocsparse_complex_numIdEEEvi20rocsparse_direction_NS_24const_host_device_scalarIT2_EEPKiS8_PKS5_SA_S6_PS5_21rocsparse_index_base_b ; -- Begin function _ZN9rocsparseL19gebsrmvn_2xn_kernelILj128ELj8ELj8E21rocsparse_complex_numIdEEEvi20rocsparse_direction_NS_24const_host_device_scalarIT2_EEPKiS8_PKS5_SA_S6_PS5_21rocsparse_index_base_b
	.p2align	8
	.type	_ZN9rocsparseL19gebsrmvn_2xn_kernelILj128ELj8ELj8E21rocsparse_complex_numIdEEEvi20rocsparse_direction_NS_24const_host_device_scalarIT2_EEPKiS8_PKS5_SA_S6_PS5_21rocsparse_index_base_b,@function
_ZN9rocsparseL19gebsrmvn_2xn_kernelILj128ELj8ELj8E21rocsparse_complex_numIdEEEvi20rocsparse_direction_NS_24const_host_device_scalarIT2_EEPKiS8_PKS5_SA_S6_PS5_21rocsparse_index_base_b: ; @_ZN9rocsparseL19gebsrmvn_2xn_kernelILj128ELj8ELj8E21rocsparse_complex_numIdEEEvi20rocsparse_direction_NS_24const_host_device_scalarIT2_EEPKiS8_PKS5_SA_S6_PS5_21rocsparse_index_base_b
; %bb.0:
	s_clause 0x1
	s_load_b64 s[12:13], s[0:1], 0x50
	s_load_b64 s[2:3], s[0:1], 0x8
	v_mov_b32_e32 v1, 0
	s_add_nc_u64 s[4:5], s[0:1], 8
	s_load_b64 s[6:7], s[0:1], 0x38
	s_wait_kmcnt 0x0
	s_bitcmp1_b32 s13, 0
	s_cselect_b32 s3, s5, s3
	s_cselect_b32 s2, s4, s2
	flat_load_b128 v[2:5], v1, s[2:3]
	s_wait_xcnt 0x0
	s_add_nc_u64 s[2:3], s[0:1], 56
	s_delay_alu instid0(SALU_CYCLE_1)
	s_cselect_b32 s3, s3, s7
	s_cselect_b32 s2, s2, s6
	flat_load_b128 v[6:9], v1, s[2:3]
	s_wait_loadcnt_dscnt 0x101
	v_cmp_eq_f64_e32 vcc_lo, 0, v[2:3]
	s_wait_xcnt 0x0
	v_cmp_eq_f64_e64 s2, 0, v[4:5]
	s_and_b32 s4, vcc_lo, s2
	s_mov_b32 s2, -1
	s_and_saveexec_b32 s3, s4
	s_cbranch_execz .LBB259_2
; %bb.1:
	s_wait_loadcnt_dscnt 0x0
	v_cmp_neq_f64_e32 vcc_lo, 1.0, v[6:7]
	v_cmp_neq_f64_e64 s2, 0, v[8:9]
	s_or_b32 s2, vcc_lo, s2
	s_delay_alu instid0(SALU_CYCLE_1)
	s_or_not1_b32 s2, s2, exec_lo
.LBB259_2:
	s_or_b32 exec_lo, exec_lo, s3
	s_and_saveexec_b32 s3, s2
	s_cbranch_execz .LBB259_21
; %bb.3:
	s_load_b64 s[2:3], s[0:1], 0x0
	s_bfe_u32 s4, ttmp6, 0x4000c
	s_and_b32 s5, ttmp6, 15
	s_add_co_i32 s4, s4, 1
	s_getreg_b32 s6, hwreg(HW_REG_IB_STS2, 6, 4)
	s_mul_i32 s4, ttmp9, s4
	v_lshrrev_b32_e32 v1, 3, v0
	s_add_co_i32 s5, s5, s4
	s_cmp_eq_u32 s6, 0
	s_cselect_b32 s4, ttmp9, s5
	s_delay_alu instid0(VALU_DEP_1) | instid1(SALU_CYCLE_1)
	v_lshl_or_b32 v10, s4, 4, v1
	s_wait_kmcnt 0x0
	s_delay_alu instid0(VALU_DEP_1)
	v_cmp_gt_i32_e32 vcc_lo, s2, v10
	s_and_b32 exec_lo, exec_lo, vcc_lo
	s_cbranch_execz .LBB259_21
; %bb.4:
	s_load_b256 s[4:11], s[0:1], 0x18
	v_ashrrev_i32_e32 v11, 31, v10
	s_cmp_lg_u32 s3, 0
	s_wait_kmcnt 0x0
	s_delay_alu instid0(VALU_DEP_1)
	v_lshl_add_u64 v[12:13], v[10:11], 2, s[4:5]
	v_and_b32_e32 v11, 7, v0
	global_load_b64 v[12:13], v[12:13], off
	s_wait_loadcnt 0x0
	v_subrev_nc_u32_e32 v0, s12, v12
	v_subrev_nc_u32_e32 v18, s12, v13
	s_delay_alu instid0(VALU_DEP_2) | instskip(NEXT) | instid1(VALU_DEP_1)
	v_add_nc_u32_e32 v19, v0, v11
	v_cmp_lt_i32_e64 s2, v19, v18
	s_cbranch_scc0 .LBB259_10
; %bb.5:
	v_mov_b64_e32 v[0:1], 0
	v_mov_b64_e32 v[14:15], 0
	;; [unrolled: 1-line block ×4, first 2 shown]
	s_and_saveexec_b32 s3, s2
	s_cbranch_execz .LBB259_9
; %bb.6:
	v_mov_b64_e32 v[0:1], 0
	v_mov_b64_e32 v[14:15], 0
	;; [unrolled: 1-line block ×4, first 2 shown]
	v_dual_mov_b32 v21, v19 :: v_dual_lshlrev_b32 v20, 4, v19
	s_mov_b32 s4, 0
.LBB259_7:                              ; =>This Inner Loop Header: Depth=1
	global_load_b32 v22, v21, s[6:7] scale_offset
	s_wait_xcnt 0x0
	v_add_nc_u32_e32 v21, 8, v21
	s_delay_alu instid0(VALU_DEP_1)
	v_cmp_ge_i32_e32 vcc_lo, v21, v18
	s_or_b32 s4, vcc_lo, s4
	s_wait_loadcnt 0x0
	v_subrev_nc_u32_e32 v26, s12, v22
	global_load_b128 v[22:25], v20, s[8:9] offset:16 scale_offset
	v_lshlrev_b32_e32 v96, 3, v26
	global_load_b128 v[26:29], v20, s[8:9] scale_offset
	global_load_b128 v[30:33], v96, s[10:11] scale_offset
	s_clause 0x1
	global_load_b128 v[34:37], v20, s[8:9] offset:32 scale_offset
	global_load_b128 v[38:41], v20, s[8:9] offset:48 scale_offset
	global_load_b128 v[42:45], v96, s[10:11] offset:16 scale_offset
	s_clause 0x1
	global_load_b128 v[46:49], v20, s[8:9] offset:80 scale_offset
	global_load_b128 v[50:53], v20, s[8:9] offset:64 scale_offset
	global_load_b128 v[54:57], v96, s[10:11] offset:32 scale_offset
	s_clause 0x1
	global_load_b128 v[58:61], v20, s[8:9] offset:96 scale_offset
	global_load_b128 v[62:65], v20, s[8:9] offset:112 scale_offset
	global_load_b128 v[66:69], v96, s[10:11] offset:48 scale_offset
	s_clause 0x1
	global_load_b128 v[70:73], v20, s[8:9] offset:144 scale_offset
	global_load_b128 v[74:77], v20, s[8:9] offset:128 scale_offset
	global_load_b128 v[78:81], v96, s[10:11] offset:64 scale_offset
	s_clause 0x1
	global_load_b128 v[82:85], v20, s[8:9] offset:176 scale_offset
	global_load_b128 v[86:89], v20, s[8:9] offset:160 scale_offset
	global_load_b128 v[90:93], v96, s[10:11] offset:80 scale_offset
	s_wait_loadcnt 0xf
	v_fmac_f64_e32 v[14:15], v[26:27], v[30:31]
	v_fmac_f64_e32 v[0:1], v[28:29], v[30:31]
	;; [unrolled: 1-line block ×4, first 2 shown]
	s_delay_alu instid0(VALU_DEP_4) | instskip(NEXT) | instid1(VALU_DEP_4)
	v_fma_f64 v[30:31], -v[28:29], v[32:33], v[14:15]
	v_fmac_f64_e32 v[0:1], v[26:27], v[32:33]
	s_delay_alu instid0(VALU_DEP_4) | instskip(NEXT) | instid1(VALU_DEP_4)
	v_fma_f64 v[94:95], -v[24:25], v[32:33], v[16:17]
	v_fmac_f64_e32 v[12:13], v[22:23], v[32:33]
	s_clause 0x1
	global_load_b128 v[14:17], v20, s[8:9] offset:208 scale_offset
	global_load_b128 v[22:25], v20, s[8:9] offset:192 scale_offset
	;; [unrolled: 1-line block ×3, first 2 shown]
	s_wait_loadcnt 0xf
	v_fmac_f64_e32 v[30:31], v[34:35], v[42:43]
	v_fmac_f64_e32 v[0:1], v[36:37], v[42:43]
	v_fmac_f64_e32 v[94:95], v[38:39], v[42:43]
	v_fmac_f64_e32 v[12:13], v[40:41], v[42:43]
	s_delay_alu instid0(VALU_DEP_4) | instskip(NEXT) | instid1(VALU_DEP_4)
	v_fma_f64 v[42:43], -v[36:37], v[44:45], v[30:31]
	v_fmac_f64_e32 v[0:1], v[34:35], v[44:45]
	s_delay_alu instid0(VALU_DEP_4) | instskip(NEXT) | instid1(VALU_DEP_4)
	v_fma_f64 v[94:95], -v[40:41], v[44:45], v[94:95]
	v_fmac_f64_e32 v[12:13], v[38:39], v[44:45]
	s_clause 0x1
	global_load_b128 v[30:33], v20, s[8:9] offset:224 scale_offset
	global_load_b128 v[34:37], v20, s[8:9] offset:240 scale_offset
	;; [unrolled: 1-line block ×3, first 2 shown]
	s_wait_xcnt 0x1
	v_add_nc_u32_e32 v20, 0x80, v20
	s_wait_loadcnt 0xf
	v_fmac_f64_e32 v[42:43], v[50:51], v[54:55]
	v_fmac_f64_e32 v[0:1], v[52:53], v[54:55]
	;; [unrolled: 1-line block ×4, first 2 shown]
	s_delay_alu instid0(VALU_DEP_4) | instskip(NEXT) | instid1(VALU_DEP_4)
	v_fma_f64 v[42:43], -v[52:53], v[56:57], v[42:43]
	v_fmac_f64_e32 v[0:1], v[50:51], v[56:57]
	s_delay_alu instid0(VALU_DEP_4) | instskip(NEXT) | instid1(VALU_DEP_4)
	v_fma_f64 v[44:45], -v[48:49], v[56:57], v[94:95]
	v_fmac_f64_e32 v[12:13], v[46:47], v[56:57]
	s_wait_loadcnt 0xc
	s_delay_alu instid0(VALU_DEP_4) | instskip(NEXT) | instid1(VALU_DEP_4)
	v_fmac_f64_e32 v[42:43], v[58:59], v[66:67]
	v_fmac_f64_e32 v[0:1], v[60:61], v[66:67]
	s_delay_alu instid0(VALU_DEP_4) | instskip(NEXT) | instid1(VALU_DEP_4)
	v_fmac_f64_e32 v[44:45], v[62:63], v[66:67]
	v_fmac_f64_e32 v[12:13], v[64:65], v[66:67]
	s_delay_alu instid0(VALU_DEP_4) | instskip(NEXT) | instid1(VALU_DEP_4)
	v_fma_f64 v[42:43], -v[60:61], v[68:69], v[42:43]
	v_fmac_f64_e32 v[0:1], v[58:59], v[68:69]
	s_delay_alu instid0(VALU_DEP_4) | instskip(NEXT) | instid1(VALU_DEP_4)
	v_fma_f64 v[44:45], -v[64:65], v[68:69], v[44:45]
	v_fmac_f64_e32 v[12:13], v[62:63], v[68:69]
	s_wait_loadcnt 0x9
	s_delay_alu instid0(VALU_DEP_4) | instskip(NEXT) | instid1(VALU_DEP_4)
	v_fmac_f64_e32 v[42:43], v[74:75], v[78:79]
	v_fmac_f64_e32 v[0:1], v[76:77], v[78:79]
	s_delay_alu instid0(VALU_DEP_4) | instskip(NEXT) | instid1(VALU_DEP_4)
	v_fmac_f64_e32 v[44:45], v[70:71], v[78:79]
	v_fmac_f64_e32 v[12:13], v[72:73], v[78:79]
	;; [unrolled: 13-line block ×5, first 2 shown]
	s_delay_alu instid0(VALU_DEP_4) | instskip(NEXT) | instid1(VALU_DEP_4)
	v_fma_f64 v[14:15], -v[32:33], v[40:41], v[24:25]
	v_fmac_f64_e32 v[0:1], v[30:31], v[40:41]
	s_delay_alu instid0(VALU_DEP_4) | instskip(NEXT) | instid1(VALU_DEP_4)
	v_fma_f64 v[16:17], -v[36:37], v[40:41], v[16:17]
	v_fmac_f64_e32 v[12:13], v[34:35], v[40:41]
	s_and_not1_b32 exec_lo, exec_lo, s4
	s_cbranch_execnz .LBB259_7
; %bb.8:
	s_or_b32 exec_lo, exec_lo, s4
.LBB259_9:
	s_delay_alu instid0(SALU_CYCLE_1)
	s_or_b32 exec_lo, exec_lo, s3
	s_cbranch_execz .LBB259_11
	s_branch .LBB259_16
.LBB259_10:
                                        ; implicit-def: $vgpr0_vgpr1
                                        ; implicit-def: $vgpr14_vgpr15
                                        ; implicit-def: $vgpr16_vgpr17
                                        ; implicit-def: $vgpr12_vgpr13
.LBB259_11:
	v_mov_b64_e32 v[0:1], 0
	v_mov_b64_e32 v[14:15], 0
	;; [unrolled: 1-line block ×4, first 2 shown]
	s_and_saveexec_b32 s3, s2
	s_cbranch_execz .LBB259_15
; %bb.12:
	v_mov_b64_e32 v[0:1], 0
	v_mov_b64_e32 v[14:15], 0
	;; [unrolled: 1-line block ×4, first 2 shown]
	v_lshlrev_b32_e32 v20, 4, v19
	s_mov_b32 s2, 0
.LBB259_13:                             ; =>This Inner Loop Header: Depth=1
	global_load_b32 v21, v19, s[6:7] scale_offset
	s_clause 0x2
	global_load_b128 v[22:25], v20, s[8:9] offset:16 scale_offset
	global_load_b128 v[26:29], v20, s[8:9] scale_offset
	global_load_b128 v[30:33], v20, s[8:9] offset:144 scale_offset
	s_wait_xcnt 0x3
	v_add_nc_u32_e32 v19, 8, v19
	s_delay_alu instid0(VALU_DEP_1) | instskip(SKIP_3) | instid1(VALU_DEP_1)
	v_cmp_ge_i32_e32 vcc_lo, v19, v18
	s_or_b32 s2, vcc_lo, s2
	s_wait_loadcnt 0x3
	v_subrev_nc_u32_e32 v21, s12, v21
	v_lshlrev_b32_e32 v21, 3, v21
	global_load_b128 v[34:37], v20, s[8:9] offset:128 scale_offset
	s_clause 0x1
	global_load_b128 v[38:41], v21, s[10:11] scale_offset
	global_load_b128 v[42:45], v21, s[10:11] offset:16 scale_offset
	s_clause 0x3
	global_load_b128 v[46:49], v20, s[8:9] offset:48 scale_offset
	global_load_b128 v[50:53], v20, s[8:9] offset:32 scale_offset
	;; [unrolled: 1-line block ×4, first 2 shown]
	s_clause 0x1
	global_load_b128 v[62:65], v21, s[10:11] offset:32 scale_offset
	global_load_b128 v[66:69], v21, s[10:11] offset:48 scale_offset
	s_clause 0x3
	global_load_b128 v[70:73], v20, s[8:9] offset:80 scale_offset
	global_load_b128 v[74:77], v20, s[8:9] offset:64 scale_offset
	;; [unrolled: 1-line block ×4, first 2 shown]
	s_clause 0x1
	global_load_b128 v[86:89], v21, s[10:11] offset:64 scale_offset
	global_load_b128 v[90:93], v21, s[10:11] offset:80 scale_offset
	s_wait_loadcnt 0xd
	v_fmac_f64_e32 v[14:15], v[26:27], v[38:39]
	v_fmac_f64_e32 v[0:1], v[28:29], v[38:39]
	;; [unrolled: 1-line block ×4, first 2 shown]
	s_delay_alu instid0(VALU_DEP_4) | instskip(NEXT) | instid1(VALU_DEP_4)
	v_fma_f64 v[98:99], -v[28:29], v[40:41], v[14:15]
	v_fmac_f64_e32 v[0:1], v[26:27], v[40:41]
	s_delay_alu instid0(VALU_DEP_4) | instskip(NEXT) | instid1(VALU_DEP_4)
	v_fma_f64 v[100:101], -v[36:37], v[40:41], v[16:17]
	v_fmac_f64_e32 v[12:13], v[34:35], v[40:41]
	s_clause 0x3
	global_load_b128 v[26:29], v20, s[8:9] offset:112 scale_offset
	global_load_b128 v[14:17], v20, s[8:9] offset:96 scale_offset
	global_load_b128 v[34:37], v20, s[8:9] offset:240 scale_offset
	global_load_b128 v[38:41], v20, s[8:9] offset:224 scale_offset
	global_load_b128 v[94:97], v21, s[10:11] offset:96 scale_offset
	s_wait_xcnt 0x1
	v_add_nc_u32_e32 v20, 0x80, v20
	s_wait_loadcnt 0x11
	v_fmac_f64_e32 v[98:99], v[22:23], v[42:43]
	v_fmac_f64_e32 v[0:1], v[24:25], v[42:43]
	;; [unrolled: 1-line block ×4, first 2 shown]
	s_delay_alu instid0(VALU_DEP_4) | instskip(NEXT) | instid1(VALU_DEP_4)
	v_fma_f64 v[42:43], -v[24:25], v[44:45], v[98:99]
	v_fmac_f64_e32 v[0:1], v[22:23], v[44:45]
	s_delay_alu instid0(VALU_DEP_4) | instskip(NEXT) | instid1(VALU_DEP_4)
	v_fma_f64 v[32:33], -v[32:33], v[44:45], v[100:101]
	v_fmac_f64_e32 v[12:13], v[30:31], v[44:45]
	global_load_b128 v[22:25], v21, s[10:11] offset:112 scale_offset
	s_wait_loadcnt 0xd
	v_fmac_f64_e32 v[42:43], v[50:51], v[62:63]
	v_fmac_f64_e32 v[0:1], v[52:53], v[62:63]
	;; [unrolled: 1-line block ×4, first 2 shown]
	s_delay_alu instid0(VALU_DEP_4) | instskip(NEXT) | instid1(VALU_DEP_4)
	v_fma_f64 v[30:31], -v[52:53], v[64:65], v[42:43]
	v_fmac_f64_e32 v[0:1], v[50:51], v[64:65]
	s_delay_alu instid0(VALU_DEP_4) | instskip(NEXT) | instid1(VALU_DEP_4)
	v_fma_f64 v[32:33], -v[60:61], v[64:65], v[32:33]
	v_fmac_f64_e32 v[12:13], v[58:59], v[64:65]
	s_wait_loadcnt 0xc
	s_delay_alu instid0(VALU_DEP_4) | instskip(NEXT) | instid1(VALU_DEP_4)
	v_fmac_f64_e32 v[30:31], v[46:47], v[66:67]
	v_fmac_f64_e32 v[0:1], v[48:49], v[66:67]
	s_delay_alu instid0(VALU_DEP_4) | instskip(NEXT) | instid1(VALU_DEP_4)
	v_fmac_f64_e32 v[32:33], v[54:55], v[66:67]
	v_fmac_f64_e32 v[12:13], v[56:57], v[66:67]
	s_delay_alu instid0(VALU_DEP_4) | instskip(NEXT) | instid1(VALU_DEP_4)
	v_fma_f64 v[30:31], -v[48:49], v[68:69], v[30:31]
	v_fmac_f64_e32 v[0:1], v[46:47], v[68:69]
	s_delay_alu instid0(VALU_DEP_4) | instskip(NEXT) | instid1(VALU_DEP_4)
	v_fma_f64 v[32:33], -v[56:57], v[68:69], v[32:33]
	v_fmac_f64_e32 v[12:13], v[54:55], v[68:69]
	s_wait_loadcnt 0x7
	s_delay_alu instid0(VALU_DEP_4) | instskip(NEXT) | instid1(VALU_DEP_4)
	v_fmac_f64_e32 v[30:31], v[74:75], v[86:87]
	v_fmac_f64_e32 v[0:1], v[76:77], v[86:87]
	s_delay_alu instid0(VALU_DEP_4) | instskip(NEXT) | instid1(VALU_DEP_4)
	v_fmac_f64_e32 v[32:33], v[82:83], v[86:87]
	v_fmac_f64_e32 v[12:13], v[84:85], v[86:87]
	;; [unrolled: 13-line block ×5, first 2 shown]
	s_delay_alu instid0(VALU_DEP_4) | instskip(NEXT) | instid1(VALU_DEP_4)
	v_fma_f64 v[14:15], -v[28:29], v[24:25], v[16:17]
	v_fmac_f64_e32 v[0:1], v[26:27], v[24:25]
	s_delay_alu instid0(VALU_DEP_4) | instskip(NEXT) | instid1(VALU_DEP_4)
	v_fma_f64 v[16:17], -v[36:37], v[24:25], v[30:31]
	v_fmac_f64_e32 v[12:13], v[34:35], v[24:25]
	s_and_not1_b32 exec_lo, exec_lo, s2
	s_cbranch_execnz .LBB259_13
; %bb.14:
	s_or_b32 exec_lo, exec_lo, s2
.LBB259_15:
	s_delay_alu instid0(SALU_CYCLE_1)
	s_or_b32 exec_lo, exec_lo, s3
.LBB259_16:
	v_mbcnt_lo_u32_b32 v28, -1, 0
	s_delay_alu instid0(VALU_DEP_1) | instskip(NEXT) | instid1(VALU_DEP_1)
	v_xor_b32_e32 v18, 4, v28
	v_cmp_gt_i32_e32 vcc_lo, 32, v18
	v_cndmask_b32_e32 v18, v28, v18, vcc_lo
	s_delay_alu instid0(VALU_DEP_1)
	v_lshlrev_b32_e32 v25, 2, v18
	ds_bpermute_b32 v18, v25, v14
	ds_bpermute_b32 v19, v25, v15
	ds_bpermute_b32 v20, v25, v0
	ds_bpermute_b32 v21, v25, v1
	s_wait_dscnt 0x2
	v_add_f64_e32 v[14:15], v[14:15], v[18:19]
	s_wait_dscnt 0x0
	v_add_f64_e32 v[18:19], v[0:1], v[20:21]
	ds_bpermute_b32 v22, v25, v16
	ds_bpermute_b32 v23, v25, v17
	;; [unrolled: 1-line block ×4, first 2 shown]
	v_xor_b32_e32 v0, 2, v28
	s_delay_alu instid0(VALU_DEP_1)
	v_cmp_gt_i32_e32 vcc_lo, 32, v0
	v_cndmask_b32_e32 v0, v28, v0, vcc_lo
	s_wait_dscnt 0x2
	v_add_f64_e32 v[20:21], v[16:17], v[22:23]
	s_wait_dscnt 0x0
	v_add_f64_e32 v[22:23], v[12:13], v[24:25]
	v_lshlrev_b32_e32 v16, 2, v0
	ds_bpermute_b32 v0, v16, v14
	ds_bpermute_b32 v1, v16, v15
	;; [unrolled: 1-line block ×8, first 2 shown]
	s_wait_dscnt 0x4
	v_add_f64_e32 v[16:17], v[18:19], v[12:13]
	v_xor_b32_e32 v18, 1, v28
	s_delay_alu instid0(VALU_DEP_1) | instskip(SKIP_3) | instid1(VALU_DEP_2)
	v_cmp_gt_i32_e32 vcc_lo, 32, v18
	v_dual_add_f64 v[0:1], v[14:15], v[0:1] :: v_dual_cndmask_b32 v18, v28, v18, vcc_lo
	v_cmp_eq_u32_e32 vcc_lo, 7, v11
	s_wait_dscnt 0x2
	v_dual_add_f64 v[12:13], v[20:21], v[24:25] :: v_dual_lshlrev_b32 v21, 2, v18
	s_wait_dscnt 0x0
	v_add_f64_e32 v[14:15], v[22:23], v[26:27]
	ds_bpermute_b32 v22, v21, v16
	ds_bpermute_b32 v23, v21, v17
	;; [unrolled: 1-line block ×8, first 2 shown]
	s_and_b32 exec_lo, exec_lo, vcc_lo
	s_cbranch_execz .LBB259_21
; %bb.17:
	v_cmp_eq_f64_e32 vcc_lo, 0, v[6:7]
	v_cmp_eq_f64_e64 s2, 0, v[8:9]
	s_wait_dscnt 0x4
	v_add_f64_e32 v[0:1], v[0:1], v[24:25]
	v_add_f64_e32 v[16:17], v[16:17], v[22:23]
	s_wait_dscnt 0x2
	v_add_f64_e32 v[12:13], v[12:13], v[18:19]
	s_wait_dscnt 0x0
	v_add_f64_e32 v[14:15], v[14:15], v[20:21]
	s_load_b64 s[0:1], s[0:1], 0x48
	s_and_b32 s2, vcc_lo, s2
	s_delay_alu instid0(SALU_CYCLE_1) | instskip(NEXT) | instid1(SALU_CYCLE_1)
	s_and_saveexec_b32 s3, s2
	s_xor_b32 s2, exec_lo, s3
	s_cbranch_execz .LBB259_19
; %bb.18:
	s_delay_alu instid0(VALU_DEP_3) | instskip(SKIP_1) | instid1(VALU_DEP_3)
	v_mul_f64_e64 v[6:7], v[16:17], -v[4:5]
	v_mul_f64_e32 v[8:9], v[2:3], v[16:17]
	v_mul_f64_e64 v[16:17], v[14:15], -v[4:5]
	v_mul_f64_e32 v[18:19], v[2:3], v[14:15]
                                        ; implicit-def: $vgpr14_vgpr15
	s_delay_alu instid0(VALU_DEP_4) | instskip(NEXT) | instid1(VALU_DEP_4)
	v_fmac_f64_e32 v[6:7], v[2:3], v[0:1]
	v_fmac_f64_e32 v[8:9], v[4:5], v[0:1]
	s_delay_alu instid0(VALU_DEP_4) | instskip(NEXT) | instid1(VALU_DEP_4)
	v_fmac_f64_e32 v[16:17], v[2:3], v[12:13]
	v_fmac_f64_e32 v[18:19], v[4:5], v[12:13]
	v_lshlrev_b32_e32 v0, 1, v10
                                        ; implicit-def: $vgpr10
                                        ; implicit-def: $vgpr12_vgpr13
                                        ; implicit-def: $vgpr4_vgpr5
	s_wait_kmcnt 0x0
	s_clause 0x1
	global_store_b128 v0, v[6:9], s[0:1] scale_offset
	global_store_b128 v0, v[16:19], s[0:1] offset:16 scale_offset
                                        ; implicit-def: $vgpr0_vgpr1
                                        ; implicit-def: $vgpr16_vgpr17
                                        ; implicit-def: $vgpr8_vgpr9
.LBB259_19:
	s_wait_xcnt 0x0
	s_and_not1_saveexec_b32 s2, s2
	s_cbranch_execz .LBB259_21
; %bb.20:
	s_delay_alu instid0(VALU_DEP_3) | instskip(SKIP_1) | instid1(VALU_DEP_3)
	v_dual_mul_f64 v[26:27], v[16:17], -v[4:5] :: v_dual_lshlrev_b32 v30, 1, v10
	v_mul_f64_e32 v[16:17], v[2:3], v[16:17]
	v_mul_f64_e64 v[28:29], v[14:15], -v[4:5]
	v_mul_f64_e32 v[10:11], v[2:3], v[14:15]
	s_wait_kmcnt 0x0
	s_clause 0x1
	global_load_b128 v[18:21], v30, s[0:1] scale_offset
	global_load_b128 v[22:25], v30, s[0:1] offset:16 scale_offset
	v_fmac_f64_e32 v[26:27], v[2:3], v[0:1]
	v_fmac_f64_e32 v[16:17], v[4:5], v[0:1]
	;; [unrolled: 1-line block ×4, first 2 shown]
	s_wait_loadcnt 0x1
	s_delay_alu instid0(VALU_DEP_4) | instskip(NEXT) | instid1(VALU_DEP_4)
	v_fmac_f64_e32 v[26:27], v[6:7], v[18:19]
	v_fmac_f64_e32 v[16:17], v[8:9], v[18:19]
	s_wait_loadcnt 0x0
	s_delay_alu instid0(VALU_DEP_4) | instskip(NEXT) | instid1(VALU_DEP_4)
	v_fmac_f64_e32 v[28:29], v[6:7], v[22:23]
	v_fmac_f64_e32 v[10:11], v[8:9], v[22:23]
	s_delay_alu instid0(VALU_DEP_4) | instskip(NEXT) | instid1(VALU_DEP_4)
	v_fma_f64 v[14:15], -v[8:9], v[20:21], v[26:27]
	v_fmac_f64_e32 v[16:17], v[6:7], v[20:21]
	s_delay_alu instid0(VALU_DEP_4) | instskip(NEXT) | instid1(VALU_DEP_4)
	v_fma_f64 v[8:9], -v[8:9], v[24:25], v[28:29]
	v_fmac_f64_e32 v[10:11], v[6:7], v[24:25]
	s_clause 0x1
	global_store_b128 v30, v[14:17], s[0:1] scale_offset
	global_store_b128 v30, v[8:11], s[0:1] offset:16 scale_offset
.LBB259_21:
	s_sendmsg sendmsg(MSG_DEALLOC_VGPRS)
	s_endpgm
	.section	.rodata,"a",@progbits
	.p2align	6, 0x0
	.amdhsa_kernel _ZN9rocsparseL19gebsrmvn_2xn_kernelILj128ELj8ELj8E21rocsparse_complex_numIdEEEvi20rocsparse_direction_NS_24const_host_device_scalarIT2_EEPKiS8_PKS5_SA_S6_PS5_21rocsparse_index_base_b
		.amdhsa_group_segment_fixed_size 0
		.amdhsa_private_segment_fixed_size 0
		.amdhsa_kernarg_size 88
		.amdhsa_user_sgpr_count 2
		.amdhsa_user_sgpr_dispatch_ptr 0
		.amdhsa_user_sgpr_queue_ptr 0
		.amdhsa_user_sgpr_kernarg_segment_ptr 1
		.amdhsa_user_sgpr_dispatch_id 0
		.amdhsa_user_sgpr_kernarg_preload_length 0
		.amdhsa_user_sgpr_kernarg_preload_offset 0
		.amdhsa_user_sgpr_private_segment_size 0
		.amdhsa_wavefront_size32 1
		.amdhsa_uses_dynamic_stack 0
		.amdhsa_enable_private_segment 0
		.amdhsa_system_sgpr_workgroup_id_x 1
		.amdhsa_system_sgpr_workgroup_id_y 0
		.amdhsa_system_sgpr_workgroup_id_z 0
		.amdhsa_system_sgpr_workgroup_info 0
		.amdhsa_system_vgpr_workitem_id 0
		.amdhsa_next_free_vgpr 102
		.amdhsa_next_free_sgpr 14
		.amdhsa_named_barrier_count 0
		.amdhsa_reserve_vcc 1
		.amdhsa_float_round_mode_32 0
		.amdhsa_float_round_mode_16_64 0
		.amdhsa_float_denorm_mode_32 3
		.amdhsa_float_denorm_mode_16_64 3
		.amdhsa_fp16_overflow 0
		.amdhsa_memory_ordered 1
		.amdhsa_forward_progress 1
		.amdhsa_inst_pref_size 23
		.amdhsa_round_robin_scheduling 0
		.amdhsa_exception_fp_ieee_invalid_op 0
		.amdhsa_exception_fp_denorm_src 0
		.amdhsa_exception_fp_ieee_div_zero 0
		.amdhsa_exception_fp_ieee_overflow 0
		.amdhsa_exception_fp_ieee_underflow 0
		.amdhsa_exception_fp_ieee_inexact 0
		.amdhsa_exception_int_div_zero 0
	.end_amdhsa_kernel
	.section	.text._ZN9rocsparseL19gebsrmvn_2xn_kernelILj128ELj8ELj8E21rocsparse_complex_numIdEEEvi20rocsparse_direction_NS_24const_host_device_scalarIT2_EEPKiS8_PKS5_SA_S6_PS5_21rocsparse_index_base_b,"axG",@progbits,_ZN9rocsparseL19gebsrmvn_2xn_kernelILj128ELj8ELj8E21rocsparse_complex_numIdEEEvi20rocsparse_direction_NS_24const_host_device_scalarIT2_EEPKiS8_PKS5_SA_S6_PS5_21rocsparse_index_base_b,comdat
.Lfunc_end259:
	.size	_ZN9rocsparseL19gebsrmvn_2xn_kernelILj128ELj8ELj8E21rocsparse_complex_numIdEEEvi20rocsparse_direction_NS_24const_host_device_scalarIT2_EEPKiS8_PKS5_SA_S6_PS5_21rocsparse_index_base_b, .Lfunc_end259-_ZN9rocsparseL19gebsrmvn_2xn_kernelILj128ELj8ELj8E21rocsparse_complex_numIdEEEvi20rocsparse_direction_NS_24const_host_device_scalarIT2_EEPKiS8_PKS5_SA_S6_PS5_21rocsparse_index_base_b
                                        ; -- End function
	.set _ZN9rocsparseL19gebsrmvn_2xn_kernelILj128ELj8ELj8E21rocsparse_complex_numIdEEEvi20rocsparse_direction_NS_24const_host_device_scalarIT2_EEPKiS8_PKS5_SA_S6_PS5_21rocsparse_index_base_b.num_vgpr, 102
	.set _ZN9rocsparseL19gebsrmvn_2xn_kernelILj128ELj8ELj8E21rocsparse_complex_numIdEEEvi20rocsparse_direction_NS_24const_host_device_scalarIT2_EEPKiS8_PKS5_SA_S6_PS5_21rocsparse_index_base_b.num_agpr, 0
	.set _ZN9rocsparseL19gebsrmvn_2xn_kernelILj128ELj8ELj8E21rocsparse_complex_numIdEEEvi20rocsparse_direction_NS_24const_host_device_scalarIT2_EEPKiS8_PKS5_SA_S6_PS5_21rocsparse_index_base_b.numbered_sgpr, 14
	.set _ZN9rocsparseL19gebsrmvn_2xn_kernelILj128ELj8ELj8E21rocsparse_complex_numIdEEEvi20rocsparse_direction_NS_24const_host_device_scalarIT2_EEPKiS8_PKS5_SA_S6_PS5_21rocsparse_index_base_b.num_named_barrier, 0
	.set _ZN9rocsparseL19gebsrmvn_2xn_kernelILj128ELj8ELj8E21rocsparse_complex_numIdEEEvi20rocsparse_direction_NS_24const_host_device_scalarIT2_EEPKiS8_PKS5_SA_S6_PS5_21rocsparse_index_base_b.private_seg_size, 0
	.set _ZN9rocsparseL19gebsrmvn_2xn_kernelILj128ELj8ELj8E21rocsparse_complex_numIdEEEvi20rocsparse_direction_NS_24const_host_device_scalarIT2_EEPKiS8_PKS5_SA_S6_PS5_21rocsparse_index_base_b.uses_vcc, 1
	.set _ZN9rocsparseL19gebsrmvn_2xn_kernelILj128ELj8ELj8E21rocsparse_complex_numIdEEEvi20rocsparse_direction_NS_24const_host_device_scalarIT2_EEPKiS8_PKS5_SA_S6_PS5_21rocsparse_index_base_b.uses_flat_scratch, 0
	.set _ZN9rocsparseL19gebsrmvn_2xn_kernelILj128ELj8ELj8E21rocsparse_complex_numIdEEEvi20rocsparse_direction_NS_24const_host_device_scalarIT2_EEPKiS8_PKS5_SA_S6_PS5_21rocsparse_index_base_b.has_dyn_sized_stack, 0
	.set _ZN9rocsparseL19gebsrmvn_2xn_kernelILj128ELj8ELj8E21rocsparse_complex_numIdEEEvi20rocsparse_direction_NS_24const_host_device_scalarIT2_EEPKiS8_PKS5_SA_S6_PS5_21rocsparse_index_base_b.has_recursion, 0
	.set _ZN9rocsparseL19gebsrmvn_2xn_kernelILj128ELj8ELj8E21rocsparse_complex_numIdEEEvi20rocsparse_direction_NS_24const_host_device_scalarIT2_EEPKiS8_PKS5_SA_S6_PS5_21rocsparse_index_base_b.has_indirect_call, 0
	.section	.AMDGPU.csdata,"",@progbits
; Kernel info:
; codeLenInByte = 2828
; TotalNumSgprs: 16
; NumVgprs: 102
; ScratchSize: 0
; MemoryBound: 1
; FloatMode: 240
; IeeeMode: 1
; LDSByteSize: 0 bytes/workgroup (compile time only)
; SGPRBlocks: 0
; VGPRBlocks: 6
; NumSGPRsForWavesPerEU: 16
; NumVGPRsForWavesPerEU: 102
; NamedBarCnt: 0
; Occupancy: 9
; WaveLimiterHint : 1
; COMPUTE_PGM_RSRC2:SCRATCH_EN: 0
; COMPUTE_PGM_RSRC2:USER_SGPR: 2
; COMPUTE_PGM_RSRC2:TRAP_HANDLER: 0
; COMPUTE_PGM_RSRC2:TGID_X_EN: 1
; COMPUTE_PGM_RSRC2:TGID_Y_EN: 0
; COMPUTE_PGM_RSRC2:TGID_Z_EN: 0
; COMPUTE_PGM_RSRC2:TIDIG_COMP_CNT: 0
	.section	.text._ZN9rocsparseL19gebsrmvn_2xn_kernelILj128ELj8ELj16E21rocsparse_complex_numIdEEEvi20rocsparse_direction_NS_24const_host_device_scalarIT2_EEPKiS8_PKS5_SA_S6_PS5_21rocsparse_index_base_b,"axG",@progbits,_ZN9rocsparseL19gebsrmvn_2xn_kernelILj128ELj8ELj16E21rocsparse_complex_numIdEEEvi20rocsparse_direction_NS_24const_host_device_scalarIT2_EEPKiS8_PKS5_SA_S6_PS5_21rocsparse_index_base_b,comdat
	.globl	_ZN9rocsparseL19gebsrmvn_2xn_kernelILj128ELj8ELj16E21rocsparse_complex_numIdEEEvi20rocsparse_direction_NS_24const_host_device_scalarIT2_EEPKiS8_PKS5_SA_S6_PS5_21rocsparse_index_base_b ; -- Begin function _ZN9rocsparseL19gebsrmvn_2xn_kernelILj128ELj8ELj16E21rocsparse_complex_numIdEEEvi20rocsparse_direction_NS_24const_host_device_scalarIT2_EEPKiS8_PKS5_SA_S6_PS5_21rocsparse_index_base_b
	.p2align	8
	.type	_ZN9rocsparseL19gebsrmvn_2xn_kernelILj128ELj8ELj16E21rocsparse_complex_numIdEEEvi20rocsparse_direction_NS_24const_host_device_scalarIT2_EEPKiS8_PKS5_SA_S6_PS5_21rocsparse_index_base_b,@function
_ZN9rocsparseL19gebsrmvn_2xn_kernelILj128ELj8ELj16E21rocsparse_complex_numIdEEEvi20rocsparse_direction_NS_24const_host_device_scalarIT2_EEPKiS8_PKS5_SA_S6_PS5_21rocsparse_index_base_b: ; @_ZN9rocsparseL19gebsrmvn_2xn_kernelILj128ELj8ELj16E21rocsparse_complex_numIdEEEvi20rocsparse_direction_NS_24const_host_device_scalarIT2_EEPKiS8_PKS5_SA_S6_PS5_21rocsparse_index_base_b
; %bb.0:
	s_clause 0x1
	s_load_b64 s[12:13], s[0:1], 0x50
	s_load_b64 s[2:3], s[0:1], 0x8
	v_mov_b32_e32 v1, 0
	s_add_nc_u64 s[4:5], s[0:1], 8
	s_load_b64 s[6:7], s[0:1], 0x38
	s_wait_kmcnt 0x0
	s_bitcmp1_b32 s13, 0
	s_cselect_b32 s3, s5, s3
	s_cselect_b32 s2, s4, s2
	flat_load_b128 v[2:5], v1, s[2:3]
	s_wait_xcnt 0x0
	s_add_nc_u64 s[2:3], s[0:1], 56
	s_delay_alu instid0(SALU_CYCLE_1)
	s_cselect_b32 s3, s3, s7
	s_cselect_b32 s2, s2, s6
	flat_load_b128 v[6:9], v1, s[2:3]
	s_wait_loadcnt_dscnt 0x101
	v_cmp_eq_f64_e32 vcc_lo, 0, v[2:3]
	s_wait_xcnt 0x0
	v_cmp_eq_f64_e64 s2, 0, v[4:5]
	s_and_b32 s4, vcc_lo, s2
	s_mov_b32 s2, -1
	s_and_saveexec_b32 s3, s4
	s_cbranch_execz .LBB260_2
; %bb.1:
	s_wait_loadcnt_dscnt 0x0
	v_cmp_neq_f64_e32 vcc_lo, 1.0, v[6:7]
	v_cmp_neq_f64_e64 s2, 0, v[8:9]
	s_or_b32 s2, vcc_lo, s2
	s_delay_alu instid0(SALU_CYCLE_1)
	s_or_not1_b32 s2, s2, exec_lo
.LBB260_2:
	s_or_b32 exec_lo, exec_lo, s3
	s_and_saveexec_b32 s3, s2
	s_cbranch_execz .LBB260_21
; %bb.3:
	s_load_b64 s[2:3], s[0:1], 0x0
	s_bfe_u32 s4, ttmp6, 0x4000c
	s_and_b32 s5, ttmp6, 15
	s_add_co_i32 s4, s4, 1
	s_getreg_b32 s6, hwreg(HW_REG_IB_STS2, 6, 4)
	s_mul_i32 s4, ttmp9, s4
	v_lshrrev_b32_e32 v1, 4, v0
	s_add_co_i32 s5, s5, s4
	s_cmp_eq_u32 s6, 0
	s_cselect_b32 s4, ttmp9, s5
	s_delay_alu instid0(VALU_DEP_1) | instid1(SALU_CYCLE_1)
	v_lshl_or_b32 v10, s4, 3, v1
	s_wait_kmcnt 0x0
	s_delay_alu instid0(VALU_DEP_1)
	v_cmp_gt_i32_e32 vcc_lo, s2, v10
	s_and_b32 exec_lo, exec_lo, vcc_lo
	s_cbranch_execz .LBB260_21
; %bb.4:
	s_load_b256 s[4:11], s[0:1], 0x18
	v_ashrrev_i32_e32 v11, 31, v10
	s_cmp_lg_u32 s3, 0
	s_wait_kmcnt 0x0
	s_delay_alu instid0(VALU_DEP_1)
	v_lshl_add_u64 v[12:13], v[10:11], 2, s[4:5]
	v_and_b32_e32 v11, 15, v0
	global_load_b64 v[12:13], v[12:13], off
	s_wait_loadcnt 0x0
	v_subrev_nc_u32_e32 v0, s12, v12
	v_subrev_nc_u32_e32 v18, s12, v13
	s_delay_alu instid0(VALU_DEP_2) | instskip(NEXT) | instid1(VALU_DEP_1)
	v_add_nc_u32_e32 v19, v0, v11
	v_cmp_lt_i32_e64 s2, v19, v18
	s_cbranch_scc0 .LBB260_10
; %bb.5:
	v_mov_b64_e32 v[0:1], 0
	v_mov_b64_e32 v[14:15], 0
	;; [unrolled: 1-line block ×4, first 2 shown]
	s_and_saveexec_b32 s3, s2
	s_cbranch_execz .LBB260_9
; %bb.6:
	v_mov_b64_e32 v[0:1], 0
	v_mov_b64_e32 v[14:15], 0
	;; [unrolled: 1-line block ×4, first 2 shown]
	v_dual_mov_b32 v21, v19 :: v_dual_lshlrev_b32 v20, 4, v19
	s_mov_b32 s4, 0
.LBB260_7:                              ; =>This Inner Loop Header: Depth=1
	global_load_b32 v22, v21, s[6:7] scale_offset
	s_wait_xcnt 0x0
	v_add_nc_u32_e32 v21, 16, v21
	s_delay_alu instid0(VALU_DEP_1)
	v_cmp_ge_i32_e32 vcc_lo, v21, v18
	s_or_b32 s4, vcc_lo, s4
	s_wait_loadcnt 0x0
	v_subrev_nc_u32_e32 v26, s12, v22
	global_load_b128 v[22:25], v20, s[8:9] offset:16 scale_offset
	v_lshlrev_b32_e32 v96, 3, v26
	global_load_b128 v[26:29], v20, s[8:9] scale_offset
	global_load_b128 v[30:33], v96, s[10:11] scale_offset
	s_clause 0x1
	global_load_b128 v[34:37], v20, s[8:9] offset:32 scale_offset
	global_load_b128 v[38:41], v20, s[8:9] offset:48 scale_offset
	global_load_b128 v[42:45], v96, s[10:11] offset:16 scale_offset
	s_clause 0x1
	global_load_b128 v[46:49], v20, s[8:9] offset:80 scale_offset
	global_load_b128 v[50:53], v20, s[8:9] offset:64 scale_offset
	global_load_b128 v[54:57], v96, s[10:11] offset:32 scale_offset
	;; [unrolled: 4-line block ×5, first 2 shown]
	s_wait_loadcnt 0xf
	v_fmac_f64_e32 v[14:15], v[26:27], v[30:31]
	v_fmac_f64_e32 v[0:1], v[28:29], v[30:31]
	;; [unrolled: 1-line block ×4, first 2 shown]
	s_delay_alu instid0(VALU_DEP_4) | instskip(NEXT) | instid1(VALU_DEP_4)
	v_fma_f64 v[30:31], -v[28:29], v[32:33], v[14:15]
	v_fmac_f64_e32 v[0:1], v[26:27], v[32:33]
	s_delay_alu instid0(VALU_DEP_4) | instskip(NEXT) | instid1(VALU_DEP_4)
	v_fma_f64 v[94:95], -v[24:25], v[32:33], v[16:17]
	v_fmac_f64_e32 v[12:13], v[22:23], v[32:33]
	s_clause 0x1
	global_load_b128 v[14:17], v20, s[8:9] offset:208 scale_offset
	global_load_b128 v[22:25], v20, s[8:9] offset:192 scale_offset
	;; [unrolled: 1-line block ×3, first 2 shown]
	s_wait_loadcnt 0xf
	v_fmac_f64_e32 v[30:31], v[34:35], v[42:43]
	v_fmac_f64_e32 v[0:1], v[36:37], v[42:43]
	;; [unrolled: 1-line block ×4, first 2 shown]
	s_delay_alu instid0(VALU_DEP_4) | instskip(NEXT) | instid1(VALU_DEP_4)
	v_fma_f64 v[42:43], -v[36:37], v[44:45], v[30:31]
	v_fmac_f64_e32 v[0:1], v[34:35], v[44:45]
	s_delay_alu instid0(VALU_DEP_4) | instskip(NEXT) | instid1(VALU_DEP_4)
	v_fma_f64 v[94:95], -v[40:41], v[44:45], v[94:95]
	v_fmac_f64_e32 v[12:13], v[38:39], v[44:45]
	s_clause 0x1
	global_load_b128 v[30:33], v20, s[8:9] offset:224 scale_offset
	global_load_b128 v[34:37], v20, s[8:9] offset:240 scale_offset
	;; [unrolled: 1-line block ×3, first 2 shown]
	s_wait_xcnt 0x1
	v_add_nc_u32_e32 v20, 0x100, v20
	s_wait_loadcnt 0xf
	v_fmac_f64_e32 v[42:43], v[50:51], v[54:55]
	v_fmac_f64_e32 v[0:1], v[52:53], v[54:55]
	;; [unrolled: 1-line block ×4, first 2 shown]
	s_delay_alu instid0(VALU_DEP_4) | instskip(NEXT) | instid1(VALU_DEP_4)
	v_fma_f64 v[42:43], -v[52:53], v[56:57], v[42:43]
	v_fmac_f64_e32 v[0:1], v[50:51], v[56:57]
	s_delay_alu instid0(VALU_DEP_4) | instskip(NEXT) | instid1(VALU_DEP_4)
	v_fma_f64 v[44:45], -v[48:49], v[56:57], v[94:95]
	v_fmac_f64_e32 v[12:13], v[46:47], v[56:57]
	s_wait_loadcnt 0xc
	s_delay_alu instid0(VALU_DEP_4) | instskip(NEXT) | instid1(VALU_DEP_4)
	v_fmac_f64_e32 v[42:43], v[58:59], v[66:67]
	v_fmac_f64_e32 v[0:1], v[60:61], v[66:67]
	s_delay_alu instid0(VALU_DEP_4) | instskip(NEXT) | instid1(VALU_DEP_4)
	v_fmac_f64_e32 v[44:45], v[62:63], v[66:67]
	v_fmac_f64_e32 v[12:13], v[64:65], v[66:67]
	s_delay_alu instid0(VALU_DEP_4) | instskip(NEXT) | instid1(VALU_DEP_4)
	v_fma_f64 v[42:43], -v[60:61], v[68:69], v[42:43]
	v_fmac_f64_e32 v[0:1], v[58:59], v[68:69]
	s_delay_alu instid0(VALU_DEP_4) | instskip(NEXT) | instid1(VALU_DEP_4)
	v_fma_f64 v[44:45], -v[64:65], v[68:69], v[44:45]
	v_fmac_f64_e32 v[12:13], v[62:63], v[68:69]
	s_wait_loadcnt 0x9
	s_delay_alu instid0(VALU_DEP_4) | instskip(NEXT) | instid1(VALU_DEP_4)
	v_fmac_f64_e32 v[42:43], v[74:75], v[78:79]
	v_fmac_f64_e32 v[0:1], v[76:77], v[78:79]
	s_delay_alu instid0(VALU_DEP_4) | instskip(NEXT) | instid1(VALU_DEP_4)
	v_fmac_f64_e32 v[44:45], v[70:71], v[78:79]
	v_fmac_f64_e32 v[12:13], v[72:73], v[78:79]
	;; [unrolled: 13-line block ×5, first 2 shown]
	s_delay_alu instid0(VALU_DEP_4) | instskip(NEXT) | instid1(VALU_DEP_4)
	v_fma_f64 v[14:15], -v[32:33], v[40:41], v[24:25]
	v_fmac_f64_e32 v[0:1], v[30:31], v[40:41]
	s_delay_alu instid0(VALU_DEP_4) | instskip(NEXT) | instid1(VALU_DEP_4)
	v_fma_f64 v[16:17], -v[36:37], v[40:41], v[16:17]
	v_fmac_f64_e32 v[12:13], v[34:35], v[40:41]
	s_and_not1_b32 exec_lo, exec_lo, s4
	s_cbranch_execnz .LBB260_7
; %bb.8:
	s_or_b32 exec_lo, exec_lo, s4
.LBB260_9:
	s_delay_alu instid0(SALU_CYCLE_1)
	s_or_b32 exec_lo, exec_lo, s3
	s_cbranch_execz .LBB260_11
	s_branch .LBB260_16
.LBB260_10:
                                        ; implicit-def: $vgpr0_vgpr1
                                        ; implicit-def: $vgpr14_vgpr15
                                        ; implicit-def: $vgpr16_vgpr17
                                        ; implicit-def: $vgpr12_vgpr13
.LBB260_11:
	v_mov_b64_e32 v[0:1], 0
	v_mov_b64_e32 v[14:15], 0
	;; [unrolled: 1-line block ×4, first 2 shown]
	s_and_saveexec_b32 s3, s2
	s_cbranch_execz .LBB260_15
; %bb.12:
	v_mov_b64_e32 v[0:1], 0
	v_mov_b64_e32 v[14:15], 0
	;; [unrolled: 1-line block ×4, first 2 shown]
	v_lshlrev_b32_e32 v20, 4, v19
	s_mov_b32 s2, 0
.LBB260_13:                             ; =>This Inner Loop Header: Depth=1
	global_load_b32 v21, v19, s[6:7] scale_offset
	s_clause 0x2
	global_load_b128 v[22:25], v20, s[8:9] offset:16 scale_offset
	global_load_b128 v[26:29], v20, s[8:9] scale_offset
	global_load_b128 v[30:33], v20, s[8:9] offset:144 scale_offset
	s_wait_xcnt 0x3
	v_add_nc_u32_e32 v19, 16, v19
	s_delay_alu instid0(VALU_DEP_1) | instskip(SKIP_3) | instid1(VALU_DEP_1)
	v_cmp_ge_i32_e32 vcc_lo, v19, v18
	s_or_b32 s2, vcc_lo, s2
	s_wait_loadcnt 0x3
	v_subrev_nc_u32_e32 v21, s12, v21
	v_lshlrev_b32_e32 v21, 3, v21
	global_load_b128 v[34:37], v20, s[8:9] offset:128 scale_offset
	s_clause 0x1
	global_load_b128 v[38:41], v21, s[10:11] scale_offset
	global_load_b128 v[42:45], v21, s[10:11] offset:16 scale_offset
	s_clause 0x3
	global_load_b128 v[46:49], v20, s[8:9] offset:48 scale_offset
	global_load_b128 v[50:53], v20, s[8:9] offset:32 scale_offset
	global_load_b128 v[54:57], v20, s[8:9] offset:176 scale_offset
	global_load_b128 v[58:61], v20, s[8:9] offset:160 scale_offset
	s_clause 0x1
	global_load_b128 v[62:65], v21, s[10:11] offset:32 scale_offset
	global_load_b128 v[66:69], v21, s[10:11] offset:48 scale_offset
	s_clause 0x3
	global_load_b128 v[70:73], v20, s[8:9] offset:80 scale_offset
	global_load_b128 v[74:77], v20, s[8:9] offset:64 scale_offset
	;; [unrolled: 1-line block ×4, first 2 shown]
	s_clause 0x1
	global_load_b128 v[86:89], v21, s[10:11] offset:64 scale_offset
	global_load_b128 v[90:93], v21, s[10:11] offset:80 scale_offset
	s_wait_loadcnt 0xd
	v_fmac_f64_e32 v[14:15], v[26:27], v[38:39]
	v_fmac_f64_e32 v[0:1], v[28:29], v[38:39]
	v_fmac_f64_e32 v[16:17], v[34:35], v[38:39]
	v_fmac_f64_e32 v[12:13], v[36:37], v[38:39]
	s_delay_alu instid0(VALU_DEP_4) | instskip(NEXT) | instid1(VALU_DEP_4)
	v_fma_f64 v[98:99], -v[28:29], v[40:41], v[14:15]
	v_fmac_f64_e32 v[0:1], v[26:27], v[40:41]
	s_delay_alu instid0(VALU_DEP_4) | instskip(NEXT) | instid1(VALU_DEP_4)
	v_fma_f64 v[100:101], -v[36:37], v[40:41], v[16:17]
	v_fmac_f64_e32 v[12:13], v[34:35], v[40:41]
	s_clause 0x3
	global_load_b128 v[26:29], v20, s[8:9] offset:112 scale_offset
	global_load_b128 v[14:17], v20, s[8:9] offset:96 scale_offset
	;; [unrolled: 1-line block ×5, first 2 shown]
	s_wait_xcnt 0x1
	v_add_nc_u32_e32 v20, 0x100, v20
	s_wait_loadcnt 0x11
	v_fmac_f64_e32 v[98:99], v[22:23], v[42:43]
	v_fmac_f64_e32 v[0:1], v[24:25], v[42:43]
	;; [unrolled: 1-line block ×4, first 2 shown]
	s_delay_alu instid0(VALU_DEP_4) | instskip(NEXT) | instid1(VALU_DEP_4)
	v_fma_f64 v[42:43], -v[24:25], v[44:45], v[98:99]
	v_fmac_f64_e32 v[0:1], v[22:23], v[44:45]
	s_delay_alu instid0(VALU_DEP_4) | instskip(NEXT) | instid1(VALU_DEP_4)
	v_fma_f64 v[32:33], -v[32:33], v[44:45], v[100:101]
	v_fmac_f64_e32 v[12:13], v[30:31], v[44:45]
	global_load_b128 v[22:25], v21, s[10:11] offset:112 scale_offset
	s_wait_loadcnt 0xd
	v_fmac_f64_e32 v[42:43], v[50:51], v[62:63]
	v_fmac_f64_e32 v[0:1], v[52:53], v[62:63]
	;; [unrolled: 1-line block ×4, first 2 shown]
	s_delay_alu instid0(VALU_DEP_4) | instskip(NEXT) | instid1(VALU_DEP_4)
	v_fma_f64 v[30:31], -v[52:53], v[64:65], v[42:43]
	v_fmac_f64_e32 v[0:1], v[50:51], v[64:65]
	s_delay_alu instid0(VALU_DEP_4) | instskip(NEXT) | instid1(VALU_DEP_4)
	v_fma_f64 v[32:33], -v[60:61], v[64:65], v[32:33]
	v_fmac_f64_e32 v[12:13], v[58:59], v[64:65]
	s_wait_loadcnt 0xc
	s_delay_alu instid0(VALU_DEP_4) | instskip(NEXT) | instid1(VALU_DEP_4)
	v_fmac_f64_e32 v[30:31], v[46:47], v[66:67]
	v_fmac_f64_e32 v[0:1], v[48:49], v[66:67]
	s_delay_alu instid0(VALU_DEP_4) | instskip(NEXT) | instid1(VALU_DEP_4)
	v_fmac_f64_e32 v[32:33], v[54:55], v[66:67]
	v_fmac_f64_e32 v[12:13], v[56:57], v[66:67]
	s_delay_alu instid0(VALU_DEP_4) | instskip(NEXT) | instid1(VALU_DEP_4)
	v_fma_f64 v[30:31], -v[48:49], v[68:69], v[30:31]
	v_fmac_f64_e32 v[0:1], v[46:47], v[68:69]
	s_delay_alu instid0(VALU_DEP_4) | instskip(NEXT) | instid1(VALU_DEP_4)
	v_fma_f64 v[32:33], -v[56:57], v[68:69], v[32:33]
	v_fmac_f64_e32 v[12:13], v[54:55], v[68:69]
	s_wait_loadcnt 0x7
	s_delay_alu instid0(VALU_DEP_4) | instskip(NEXT) | instid1(VALU_DEP_4)
	v_fmac_f64_e32 v[30:31], v[74:75], v[86:87]
	v_fmac_f64_e32 v[0:1], v[76:77], v[86:87]
	s_delay_alu instid0(VALU_DEP_4) | instskip(NEXT) | instid1(VALU_DEP_4)
	v_fmac_f64_e32 v[32:33], v[82:83], v[86:87]
	v_fmac_f64_e32 v[12:13], v[84:85], v[86:87]
	;; [unrolled: 13-line block ×5, first 2 shown]
	s_delay_alu instid0(VALU_DEP_4) | instskip(NEXT) | instid1(VALU_DEP_4)
	v_fma_f64 v[14:15], -v[28:29], v[24:25], v[16:17]
	v_fmac_f64_e32 v[0:1], v[26:27], v[24:25]
	s_delay_alu instid0(VALU_DEP_4) | instskip(NEXT) | instid1(VALU_DEP_4)
	v_fma_f64 v[16:17], -v[36:37], v[24:25], v[30:31]
	v_fmac_f64_e32 v[12:13], v[34:35], v[24:25]
	s_and_not1_b32 exec_lo, exec_lo, s2
	s_cbranch_execnz .LBB260_13
; %bb.14:
	s_or_b32 exec_lo, exec_lo, s2
.LBB260_15:
	s_delay_alu instid0(SALU_CYCLE_1)
	s_or_b32 exec_lo, exec_lo, s3
.LBB260_16:
	v_mbcnt_lo_u32_b32 v28, -1, 0
	s_delay_alu instid0(VALU_DEP_1) | instskip(NEXT) | instid1(VALU_DEP_1)
	v_xor_b32_e32 v18, 8, v28
	v_cmp_gt_i32_e32 vcc_lo, 32, v18
	v_cndmask_b32_e32 v18, v28, v18, vcc_lo
	s_delay_alu instid0(VALU_DEP_1)
	v_lshlrev_b32_e32 v25, 2, v18
	ds_bpermute_b32 v20, v25, v0
	ds_bpermute_b32 v21, v25, v1
	s_wait_dscnt 0x0
	v_add_f64_e32 v[0:1], v[0:1], v[20:21]
	ds_bpermute_b32 v18, v25, v14
	ds_bpermute_b32 v19, v25, v15
	;; [unrolled: 1-line block ×6, first 2 shown]
	s_wait_dscnt 0x4
	v_dual_add_f64 v[14:15], v[14:15], v[18:19] :: v_dual_bitop2_b32 v18, 4, v28 bitop3:0x14
	s_wait_dscnt 0x2
	v_add_f64_e32 v[16:17], v[16:17], v[22:23]
	s_delay_alu instid0(VALU_DEP_2) | instskip(SKIP_2) | instid1(VALU_DEP_1)
	v_cmp_gt_i32_e32 vcc_lo, 32, v18
	v_cndmask_b32_e32 v18, v28, v18, vcc_lo
	s_wait_dscnt 0x0
	v_dual_add_f64 v[12:13], v[12:13], v[24:25] :: v_dual_lshlrev_b32 v25, 2, v18
	ds_bpermute_b32 v20, v25, v0
	ds_bpermute_b32 v21, v25, v1
	;; [unrolled: 1-line block ×8, first 2 shown]
	s_wait_dscnt 0x4
	v_add_f64_e32 v[14:15], v[14:15], v[18:19]
	v_add_f64_e32 v[18:19], v[0:1], v[20:21]
	s_wait_dscnt 0x2
	v_dual_add_f64 v[20:21], v[16:17], v[22:23] :: v_dual_bitop2_b32 v0, 2, v28 bitop3:0x14
	s_delay_alu instid0(VALU_DEP_1) | instskip(SKIP_3) | instid1(VALU_DEP_1)
	v_cmp_gt_i32_e32 vcc_lo, 32, v0
	s_wait_dscnt 0x0
	v_add_f64_e32 v[22:23], v[12:13], v[24:25]
	v_cndmask_b32_e32 v0, v28, v0, vcc_lo
	v_lshlrev_b32_e32 v16, 2, v0
	ds_bpermute_b32 v0, v16, v14
	ds_bpermute_b32 v12, v16, v18
	;; [unrolled: 1-line block ×8, first 2 shown]
	s_wait_dscnt 0x5
	v_add_f64_e32 v[16:17], v[18:19], v[12:13]
	v_xor_b32_e32 v18, 1, v28
	s_wait_dscnt 0x2
	v_add_f64_e32 v[12:13], v[20:21], v[24:25]
	s_delay_alu instid0(VALU_DEP_2) | instskip(SKIP_2) | instid1(VALU_DEP_2)
	v_cmp_gt_i32_e32 vcc_lo, 32, v18
	v_dual_add_f64 v[0:1], v[14:15], v[0:1] :: v_dual_cndmask_b32 v18, v28, v18, vcc_lo
	v_cmp_eq_u32_e32 vcc_lo, 15, v11
	v_lshlrev_b32_e32 v21, 2, v18
	s_wait_dscnt 0x0
	v_add_f64_e32 v[14:15], v[22:23], v[26:27]
	ds_bpermute_b32 v22, v21, v16
	ds_bpermute_b32 v23, v21, v17
	;; [unrolled: 1-line block ×8, first 2 shown]
	s_and_b32 exec_lo, exec_lo, vcc_lo
	s_cbranch_execz .LBB260_21
; %bb.17:
	v_cmp_eq_f64_e32 vcc_lo, 0, v[6:7]
	v_cmp_eq_f64_e64 s2, 0, v[8:9]
	s_wait_dscnt 0x2
	v_add_f64_e32 v[0:1], v[0:1], v[24:25]
	v_add_f64_e32 v[16:17], v[16:17], v[22:23]
	;; [unrolled: 1-line block ×3, first 2 shown]
	s_wait_dscnt 0x0
	v_add_f64_e32 v[14:15], v[14:15], v[20:21]
	s_load_b64 s[0:1], s[0:1], 0x48
	s_and_b32 s2, vcc_lo, s2
	s_delay_alu instid0(SALU_CYCLE_1) | instskip(NEXT) | instid1(SALU_CYCLE_1)
	s_and_saveexec_b32 s3, s2
	s_xor_b32 s2, exec_lo, s3
	s_cbranch_execz .LBB260_19
; %bb.18:
	s_delay_alu instid0(VALU_DEP_3) | instskip(SKIP_1) | instid1(VALU_DEP_3)
	v_mul_f64_e64 v[6:7], v[16:17], -v[4:5]
	v_mul_f64_e32 v[8:9], v[2:3], v[16:17]
	v_mul_f64_e64 v[16:17], v[14:15], -v[4:5]
	v_mul_f64_e32 v[18:19], v[2:3], v[14:15]
                                        ; implicit-def: $vgpr14_vgpr15
	s_delay_alu instid0(VALU_DEP_4) | instskip(NEXT) | instid1(VALU_DEP_4)
	v_fmac_f64_e32 v[6:7], v[2:3], v[0:1]
	v_fmac_f64_e32 v[8:9], v[4:5], v[0:1]
	s_delay_alu instid0(VALU_DEP_4) | instskip(NEXT) | instid1(VALU_DEP_4)
	v_fmac_f64_e32 v[16:17], v[2:3], v[12:13]
	v_fmac_f64_e32 v[18:19], v[4:5], v[12:13]
	v_lshlrev_b32_e32 v0, 1, v10
                                        ; implicit-def: $vgpr10
                                        ; implicit-def: $vgpr12_vgpr13
                                        ; implicit-def: $vgpr4_vgpr5
	s_wait_kmcnt 0x0
	s_clause 0x1
	global_store_b128 v0, v[6:9], s[0:1] scale_offset
	global_store_b128 v0, v[16:19], s[0:1] offset:16 scale_offset
                                        ; implicit-def: $vgpr0_vgpr1
                                        ; implicit-def: $vgpr16_vgpr17
                                        ; implicit-def: $vgpr8_vgpr9
.LBB260_19:
	s_wait_xcnt 0x0
	s_and_not1_saveexec_b32 s2, s2
	s_cbranch_execz .LBB260_21
; %bb.20:
	s_delay_alu instid0(VALU_DEP_3) | instskip(SKIP_1) | instid1(VALU_DEP_3)
	v_dual_mul_f64 v[26:27], v[16:17], -v[4:5] :: v_dual_lshlrev_b32 v30, 1, v10
	v_mul_f64_e32 v[16:17], v[2:3], v[16:17]
	v_mul_f64_e64 v[28:29], v[14:15], -v[4:5]
	v_mul_f64_e32 v[10:11], v[2:3], v[14:15]
	s_wait_kmcnt 0x0
	s_clause 0x1
	global_load_b128 v[18:21], v30, s[0:1] scale_offset
	global_load_b128 v[22:25], v30, s[0:1] offset:16 scale_offset
	v_fmac_f64_e32 v[26:27], v[2:3], v[0:1]
	v_fmac_f64_e32 v[16:17], v[4:5], v[0:1]
	;; [unrolled: 1-line block ×4, first 2 shown]
	s_wait_loadcnt 0x1
	s_delay_alu instid0(VALU_DEP_4) | instskip(NEXT) | instid1(VALU_DEP_4)
	v_fmac_f64_e32 v[26:27], v[6:7], v[18:19]
	v_fmac_f64_e32 v[16:17], v[8:9], v[18:19]
	s_wait_loadcnt 0x0
	s_delay_alu instid0(VALU_DEP_4) | instskip(NEXT) | instid1(VALU_DEP_4)
	v_fmac_f64_e32 v[28:29], v[6:7], v[22:23]
	v_fmac_f64_e32 v[10:11], v[8:9], v[22:23]
	s_delay_alu instid0(VALU_DEP_4) | instskip(NEXT) | instid1(VALU_DEP_4)
	v_fma_f64 v[14:15], -v[8:9], v[20:21], v[26:27]
	v_fmac_f64_e32 v[16:17], v[6:7], v[20:21]
	s_delay_alu instid0(VALU_DEP_4) | instskip(NEXT) | instid1(VALU_DEP_4)
	v_fma_f64 v[8:9], -v[8:9], v[24:25], v[28:29]
	v_fmac_f64_e32 v[10:11], v[6:7], v[24:25]
	s_clause 0x1
	global_store_b128 v30, v[14:17], s[0:1] scale_offset
	global_store_b128 v30, v[8:11], s[0:1] offset:16 scale_offset
.LBB260_21:
	s_sendmsg sendmsg(MSG_DEALLOC_VGPRS)
	s_endpgm
	.section	.rodata,"a",@progbits
	.p2align	6, 0x0
	.amdhsa_kernel _ZN9rocsparseL19gebsrmvn_2xn_kernelILj128ELj8ELj16E21rocsparse_complex_numIdEEEvi20rocsparse_direction_NS_24const_host_device_scalarIT2_EEPKiS8_PKS5_SA_S6_PS5_21rocsparse_index_base_b
		.amdhsa_group_segment_fixed_size 0
		.amdhsa_private_segment_fixed_size 0
		.amdhsa_kernarg_size 88
		.amdhsa_user_sgpr_count 2
		.amdhsa_user_sgpr_dispatch_ptr 0
		.amdhsa_user_sgpr_queue_ptr 0
		.amdhsa_user_sgpr_kernarg_segment_ptr 1
		.amdhsa_user_sgpr_dispatch_id 0
		.amdhsa_user_sgpr_kernarg_preload_length 0
		.amdhsa_user_sgpr_kernarg_preload_offset 0
		.amdhsa_user_sgpr_private_segment_size 0
		.amdhsa_wavefront_size32 1
		.amdhsa_uses_dynamic_stack 0
		.amdhsa_enable_private_segment 0
		.amdhsa_system_sgpr_workgroup_id_x 1
		.amdhsa_system_sgpr_workgroup_id_y 0
		.amdhsa_system_sgpr_workgroup_id_z 0
		.amdhsa_system_sgpr_workgroup_info 0
		.amdhsa_system_vgpr_workitem_id 0
		.amdhsa_next_free_vgpr 102
		.amdhsa_next_free_sgpr 14
		.amdhsa_named_barrier_count 0
		.amdhsa_reserve_vcc 1
		.amdhsa_float_round_mode_32 0
		.amdhsa_float_round_mode_16_64 0
		.amdhsa_float_denorm_mode_32 3
		.amdhsa_float_denorm_mode_16_64 3
		.amdhsa_fp16_overflow 0
		.amdhsa_memory_ordered 1
		.amdhsa_forward_progress 1
		.amdhsa_inst_pref_size 23
		.amdhsa_round_robin_scheduling 0
		.amdhsa_exception_fp_ieee_invalid_op 0
		.amdhsa_exception_fp_denorm_src 0
		.amdhsa_exception_fp_ieee_div_zero 0
		.amdhsa_exception_fp_ieee_overflow 0
		.amdhsa_exception_fp_ieee_underflow 0
		.amdhsa_exception_fp_ieee_inexact 0
		.amdhsa_exception_int_div_zero 0
	.end_amdhsa_kernel
	.section	.text._ZN9rocsparseL19gebsrmvn_2xn_kernelILj128ELj8ELj16E21rocsparse_complex_numIdEEEvi20rocsparse_direction_NS_24const_host_device_scalarIT2_EEPKiS8_PKS5_SA_S6_PS5_21rocsparse_index_base_b,"axG",@progbits,_ZN9rocsparseL19gebsrmvn_2xn_kernelILj128ELj8ELj16E21rocsparse_complex_numIdEEEvi20rocsparse_direction_NS_24const_host_device_scalarIT2_EEPKiS8_PKS5_SA_S6_PS5_21rocsparse_index_base_b,comdat
.Lfunc_end260:
	.size	_ZN9rocsparseL19gebsrmvn_2xn_kernelILj128ELj8ELj16E21rocsparse_complex_numIdEEEvi20rocsparse_direction_NS_24const_host_device_scalarIT2_EEPKiS8_PKS5_SA_S6_PS5_21rocsparse_index_base_b, .Lfunc_end260-_ZN9rocsparseL19gebsrmvn_2xn_kernelILj128ELj8ELj16E21rocsparse_complex_numIdEEEvi20rocsparse_direction_NS_24const_host_device_scalarIT2_EEPKiS8_PKS5_SA_S6_PS5_21rocsparse_index_base_b
                                        ; -- End function
	.set _ZN9rocsparseL19gebsrmvn_2xn_kernelILj128ELj8ELj16E21rocsparse_complex_numIdEEEvi20rocsparse_direction_NS_24const_host_device_scalarIT2_EEPKiS8_PKS5_SA_S6_PS5_21rocsparse_index_base_b.num_vgpr, 102
	.set _ZN9rocsparseL19gebsrmvn_2xn_kernelILj128ELj8ELj16E21rocsparse_complex_numIdEEEvi20rocsparse_direction_NS_24const_host_device_scalarIT2_EEPKiS8_PKS5_SA_S6_PS5_21rocsparse_index_base_b.num_agpr, 0
	.set _ZN9rocsparseL19gebsrmvn_2xn_kernelILj128ELj8ELj16E21rocsparse_complex_numIdEEEvi20rocsparse_direction_NS_24const_host_device_scalarIT2_EEPKiS8_PKS5_SA_S6_PS5_21rocsparse_index_base_b.numbered_sgpr, 14
	.set _ZN9rocsparseL19gebsrmvn_2xn_kernelILj128ELj8ELj16E21rocsparse_complex_numIdEEEvi20rocsparse_direction_NS_24const_host_device_scalarIT2_EEPKiS8_PKS5_SA_S6_PS5_21rocsparse_index_base_b.num_named_barrier, 0
	.set _ZN9rocsparseL19gebsrmvn_2xn_kernelILj128ELj8ELj16E21rocsparse_complex_numIdEEEvi20rocsparse_direction_NS_24const_host_device_scalarIT2_EEPKiS8_PKS5_SA_S6_PS5_21rocsparse_index_base_b.private_seg_size, 0
	.set _ZN9rocsparseL19gebsrmvn_2xn_kernelILj128ELj8ELj16E21rocsparse_complex_numIdEEEvi20rocsparse_direction_NS_24const_host_device_scalarIT2_EEPKiS8_PKS5_SA_S6_PS5_21rocsparse_index_base_b.uses_vcc, 1
	.set _ZN9rocsparseL19gebsrmvn_2xn_kernelILj128ELj8ELj16E21rocsparse_complex_numIdEEEvi20rocsparse_direction_NS_24const_host_device_scalarIT2_EEPKiS8_PKS5_SA_S6_PS5_21rocsparse_index_base_b.uses_flat_scratch, 0
	.set _ZN9rocsparseL19gebsrmvn_2xn_kernelILj128ELj8ELj16E21rocsparse_complex_numIdEEEvi20rocsparse_direction_NS_24const_host_device_scalarIT2_EEPKiS8_PKS5_SA_S6_PS5_21rocsparse_index_base_b.has_dyn_sized_stack, 0
	.set _ZN9rocsparseL19gebsrmvn_2xn_kernelILj128ELj8ELj16E21rocsparse_complex_numIdEEEvi20rocsparse_direction_NS_24const_host_device_scalarIT2_EEPKiS8_PKS5_SA_S6_PS5_21rocsparse_index_base_b.has_recursion, 0
	.set _ZN9rocsparseL19gebsrmvn_2xn_kernelILj128ELj8ELj16E21rocsparse_complex_numIdEEEvi20rocsparse_direction_NS_24const_host_device_scalarIT2_EEPKiS8_PKS5_SA_S6_PS5_21rocsparse_index_base_b.has_indirect_call, 0
	.section	.AMDGPU.csdata,"",@progbits
; Kernel info:
; codeLenInByte = 2944
; TotalNumSgprs: 16
; NumVgprs: 102
; ScratchSize: 0
; MemoryBound: 1
; FloatMode: 240
; IeeeMode: 1
; LDSByteSize: 0 bytes/workgroup (compile time only)
; SGPRBlocks: 0
; VGPRBlocks: 6
; NumSGPRsForWavesPerEU: 16
; NumVGPRsForWavesPerEU: 102
; NamedBarCnt: 0
; Occupancy: 9
; WaveLimiterHint : 1
; COMPUTE_PGM_RSRC2:SCRATCH_EN: 0
; COMPUTE_PGM_RSRC2:USER_SGPR: 2
; COMPUTE_PGM_RSRC2:TRAP_HANDLER: 0
; COMPUTE_PGM_RSRC2:TGID_X_EN: 1
; COMPUTE_PGM_RSRC2:TGID_Y_EN: 0
; COMPUTE_PGM_RSRC2:TGID_Z_EN: 0
; COMPUTE_PGM_RSRC2:TIDIG_COMP_CNT: 0
	.section	.text._ZN9rocsparseL19gebsrmvn_2xn_kernelILj128ELj8ELj32E21rocsparse_complex_numIdEEEvi20rocsparse_direction_NS_24const_host_device_scalarIT2_EEPKiS8_PKS5_SA_S6_PS5_21rocsparse_index_base_b,"axG",@progbits,_ZN9rocsparseL19gebsrmvn_2xn_kernelILj128ELj8ELj32E21rocsparse_complex_numIdEEEvi20rocsparse_direction_NS_24const_host_device_scalarIT2_EEPKiS8_PKS5_SA_S6_PS5_21rocsparse_index_base_b,comdat
	.globl	_ZN9rocsparseL19gebsrmvn_2xn_kernelILj128ELj8ELj32E21rocsparse_complex_numIdEEEvi20rocsparse_direction_NS_24const_host_device_scalarIT2_EEPKiS8_PKS5_SA_S6_PS5_21rocsparse_index_base_b ; -- Begin function _ZN9rocsparseL19gebsrmvn_2xn_kernelILj128ELj8ELj32E21rocsparse_complex_numIdEEEvi20rocsparse_direction_NS_24const_host_device_scalarIT2_EEPKiS8_PKS5_SA_S6_PS5_21rocsparse_index_base_b
	.p2align	8
	.type	_ZN9rocsparseL19gebsrmvn_2xn_kernelILj128ELj8ELj32E21rocsparse_complex_numIdEEEvi20rocsparse_direction_NS_24const_host_device_scalarIT2_EEPKiS8_PKS5_SA_S6_PS5_21rocsparse_index_base_b,@function
_ZN9rocsparseL19gebsrmvn_2xn_kernelILj128ELj8ELj32E21rocsparse_complex_numIdEEEvi20rocsparse_direction_NS_24const_host_device_scalarIT2_EEPKiS8_PKS5_SA_S6_PS5_21rocsparse_index_base_b: ; @_ZN9rocsparseL19gebsrmvn_2xn_kernelILj128ELj8ELj32E21rocsparse_complex_numIdEEEvi20rocsparse_direction_NS_24const_host_device_scalarIT2_EEPKiS8_PKS5_SA_S6_PS5_21rocsparse_index_base_b
; %bb.0:
	s_clause 0x1
	s_load_b64 s[12:13], s[0:1], 0x50
	s_load_b64 s[2:3], s[0:1], 0x8
	v_mov_b32_e32 v1, 0
	s_add_nc_u64 s[4:5], s[0:1], 8
	s_load_b64 s[6:7], s[0:1], 0x38
	s_wait_kmcnt 0x0
	s_bitcmp1_b32 s13, 0
	s_cselect_b32 s3, s5, s3
	s_cselect_b32 s2, s4, s2
	flat_load_b128 v[2:5], v1, s[2:3]
	s_wait_xcnt 0x0
	s_add_nc_u64 s[2:3], s[0:1], 56
	s_delay_alu instid0(SALU_CYCLE_1)
	s_cselect_b32 s3, s3, s7
	s_cselect_b32 s2, s2, s6
	flat_load_b128 v[6:9], v1, s[2:3]
	s_wait_loadcnt_dscnt 0x101
	v_cmp_eq_f64_e32 vcc_lo, 0, v[2:3]
	s_wait_xcnt 0x0
	v_cmp_eq_f64_e64 s2, 0, v[4:5]
	s_and_b32 s4, vcc_lo, s2
	s_mov_b32 s2, -1
	s_and_saveexec_b32 s3, s4
	s_cbranch_execz .LBB261_2
; %bb.1:
	s_wait_loadcnt_dscnt 0x0
	v_cmp_neq_f64_e32 vcc_lo, 1.0, v[6:7]
	v_cmp_neq_f64_e64 s2, 0, v[8:9]
	s_or_b32 s2, vcc_lo, s2
	s_delay_alu instid0(SALU_CYCLE_1)
	s_or_not1_b32 s2, s2, exec_lo
.LBB261_2:
	s_or_b32 exec_lo, exec_lo, s3
	s_and_saveexec_b32 s3, s2
	s_cbranch_execz .LBB261_21
; %bb.3:
	s_load_b64 s[2:3], s[0:1], 0x0
	s_bfe_u32 s4, ttmp6, 0x4000c
	s_and_b32 s5, ttmp6, 15
	s_add_co_i32 s4, s4, 1
	s_getreg_b32 s6, hwreg(HW_REG_IB_STS2, 6, 4)
	s_mul_i32 s4, ttmp9, s4
	v_lshrrev_b32_e32 v1, 5, v0
	s_add_co_i32 s5, s5, s4
	s_cmp_eq_u32 s6, 0
	s_cselect_b32 s4, ttmp9, s5
	s_delay_alu instid0(VALU_DEP_1) | instid1(SALU_CYCLE_1)
	v_lshl_or_b32 v10, s4, 2, v1
	s_wait_kmcnt 0x0
	s_delay_alu instid0(VALU_DEP_1)
	v_cmp_gt_i32_e32 vcc_lo, s2, v10
	s_and_b32 exec_lo, exec_lo, vcc_lo
	s_cbranch_execz .LBB261_21
; %bb.4:
	s_load_b256 s[4:11], s[0:1], 0x18
	v_ashrrev_i32_e32 v11, 31, v10
	s_cmp_lg_u32 s3, 0
	s_wait_kmcnt 0x0
	s_delay_alu instid0(VALU_DEP_1)
	v_lshl_add_u64 v[12:13], v[10:11], 2, s[4:5]
	v_and_b32_e32 v11, 31, v0
	global_load_b64 v[12:13], v[12:13], off
	s_wait_loadcnt 0x0
	v_subrev_nc_u32_e32 v0, s12, v12
	v_subrev_nc_u32_e32 v18, s12, v13
	s_delay_alu instid0(VALU_DEP_2) | instskip(NEXT) | instid1(VALU_DEP_1)
	v_add_nc_u32_e32 v19, v0, v11
	v_cmp_lt_i32_e64 s2, v19, v18
	s_cbranch_scc0 .LBB261_10
; %bb.5:
	v_mov_b64_e32 v[0:1], 0
	v_mov_b64_e32 v[14:15], 0
	;; [unrolled: 1-line block ×4, first 2 shown]
	s_and_saveexec_b32 s3, s2
	s_cbranch_execz .LBB261_9
; %bb.6:
	v_mov_b64_e32 v[0:1], 0
	v_mov_b64_e32 v[14:15], 0
	;; [unrolled: 1-line block ×4, first 2 shown]
	v_dual_mov_b32 v21, v19 :: v_dual_lshlrev_b32 v20, 4, v19
	s_mov_b32 s4, 0
.LBB261_7:                              ; =>This Inner Loop Header: Depth=1
	global_load_b32 v22, v21, s[6:7] scale_offset
	s_wait_xcnt 0x0
	v_add_nc_u32_e32 v21, 32, v21
	s_delay_alu instid0(VALU_DEP_1)
	v_cmp_ge_i32_e32 vcc_lo, v21, v18
	s_or_b32 s4, vcc_lo, s4
	s_wait_loadcnt 0x0
	v_subrev_nc_u32_e32 v26, s12, v22
	global_load_b128 v[22:25], v20, s[8:9] offset:16 scale_offset
	v_lshlrev_b32_e32 v96, 3, v26
	global_load_b128 v[26:29], v20, s[8:9] scale_offset
	global_load_b128 v[30:33], v96, s[10:11] scale_offset
	s_clause 0x1
	global_load_b128 v[34:37], v20, s[8:9] offset:32 scale_offset
	global_load_b128 v[38:41], v20, s[8:9] offset:48 scale_offset
	global_load_b128 v[42:45], v96, s[10:11] offset:16 scale_offset
	s_clause 0x1
	global_load_b128 v[46:49], v20, s[8:9] offset:80 scale_offset
	global_load_b128 v[50:53], v20, s[8:9] offset:64 scale_offset
	global_load_b128 v[54:57], v96, s[10:11] offset:32 scale_offset
	;; [unrolled: 4-line block ×5, first 2 shown]
	s_wait_loadcnt 0xf
	v_fmac_f64_e32 v[14:15], v[26:27], v[30:31]
	v_fmac_f64_e32 v[0:1], v[28:29], v[30:31]
	;; [unrolled: 1-line block ×4, first 2 shown]
	s_delay_alu instid0(VALU_DEP_4) | instskip(NEXT) | instid1(VALU_DEP_4)
	v_fma_f64 v[30:31], -v[28:29], v[32:33], v[14:15]
	v_fmac_f64_e32 v[0:1], v[26:27], v[32:33]
	s_delay_alu instid0(VALU_DEP_4) | instskip(NEXT) | instid1(VALU_DEP_4)
	v_fma_f64 v[94:95], -v[24:25], v[32:33], v[16:17]
	v_fmac_f64_e32 v[12:13], v[22:23], v[32:33]
	s_clause 0x1
	global_load_b128 v[14:17], v20, s[8:9] offset:208 scale_offset
	global_load_b128 v[22:25], v20, s[8:9] offset:192 scale_offset
	;; [unrolled: 1-line block ×3, first 2 shown]
	s_wait_loadcnt 0xf
	v_fmac_f64_e32 v[30:31], v[34:35], v[42:43]
	v_fmac_f64_e32 v[0:1], v[36:37], v[42:43]
	;; [unrolled: 1-line block ×4, first 2 shown]
	s_delay_alu instid0(VALU_DEP_4) | instskip(NEXT) | instid1(VALU_DEP_4)
	v_fma_f64 v[42:43], -v[36:37], v[44:45], v[30:31]
	v_fmac_f64_e32 v[0:1], v[34:35], v[44:45]
	s_delay_alu instid0(VALU_DEP_4) | instskip(NEXT) | instid1(VALU_DEP_4)
	v_fma_f64 v[94:95], -v[40:41], v[44:45], v[94:95]
	v_fmac_f64_e32 v[12:13], v[38:39], v[44:45]
	s_clause 0x1
	global_load_b128 v[30:33], v20, s[8:9] offset:224 scale_offset
	global_load_b128 v[34:37], v20, s[8:9] offset:240 scale_offset
	;; [unrolled: 1-line block ×3, first 2 shown]
	s_wait_xcnt 0x1
	v_add_nc_u32_e32 v20, 0x200, v20
	s_wait_loadcnt 0xf
	v_fmac_f64_e32 v[42:43], v[50:51], v[54:55]
	v_fmac_f64_e32 v[0:1], v[52:53], v[54:55]
	;; [unrolled: 1-line block ×4, first 2 shown]
	s_delay_alu instid0(VALU_DEP_4) | instskip(NEXT) | instid1(VALU_DEP_4)
	v_fma_f64 v[42:43], -v[52:53], v[56:57], v[42:43]
	v_fmac_f64_e32 v[0:1], v[50:51], v[56:57]
	s_delay_alu instid0(VALU_DEP_4) | instskip(NEXT) | instid1(VALU_DEP_4)
	v_fma_f64 v[44:45], -v[48:49], v[56:57], v[94:95]
	v_fmac_f64_e32 v[12:13], v[46:47], v[56:57]
	s_wait_loadcnt 0xc
	s_delay_alu instid0(VALU_DEP_4) | instskip(NEXT) | instid1(VALU_DEP_4)
	v_fmac_f64_e32 v[42:43], v[58:59], v[66:67]
	v_fmac_f64_e32 v[0:1], v[60:61], v[66:67]
	s_delay_alu instid0(VALU_DEP_4) | instskip(NEXT) | instid1(VALU_DEP_4)
	v_fmac_f64_e32 v[44:45], v[62:63], v[66:67]
	v_fmac_f64_e32 v[12:13], v[64:65], v[66:67]
	s_delay_alu instid0(VALU_DEP_4) | instskip(NEXT) | instid1(VALU_DEP_4)
	v_fma_f64 v[42:43], -v[60:61], v[68:69], v[42:43]
	v_fmac_f64_e32 v[0:1], v[58:59], v[68:69]
	s_delay_alu instid0(VALU_DEP_4) | instskip(NEXT) | instid1(VALU_DEP_4)
	v_fma_f64 v[44:45], -v[64:65], v[68:69], v[44:45]
	v_fmac_f64_e32 v[12:13], v[62:63], v[68:69]
	s_wait_loadcnt 0x9
	s_delay_alu instid0(VALU_DEP_4) | instskip(NEXT) | instid1(VALU_DEP_4)
	v_fmac_f64_e32 v[42:43], v[74:75], v[78:79]
	v_fmac_f64_e32 v[0:1], v[76:77], v[78:79]
	s_delay_alu instid0(VALU_DEP_4) | instskip(NEXT) | instid1(VALU_DEP_4)
	v_fmac_f64_e32 v[44:45], v[70:71], v[78:79]
	v_fmac_f64_e32 v[12:13], v[72:73], v[78:79]
	;; [unrolled: 13-line block ×5, first 2 shown]
	s_delay_alu instid0(VALU_DEP_4) | instskip(NEXT) | instid1(VALU_DEP_4)
	v_fma_f64 v[14:15], -v[32:33], v[40:41], v[24:25]
	v_fmac_f64_e32 v[0:1], v[30:31], v[40:41]
	s_delay_alu instid0(VALU_DEP_4) | instskip(NEXT) | instid1(VALU_DEP_4)
	v_fma_f64 v[16:17], -v[36:37], v[40:41], v[16:17]
	v_fmac_f64_e32 v[12:13], v[34:35], v[40:41]
	s_and_not1_b32 exec_lo, exec_lo, s4
	s_cbranch_execnz .LBB261_7
; %bb.8:
	s_or_b32 exec_lo, exec_lo, s4
.LBB261_9:
	s_delay_alu instid0(SALU_CYCLE_1)
	s_or_b32 exec_lo, exec_lo, s3
	s_cbranch_execz .LBB261_11
	s_branch .LBB261_16
.LBB261_10:
                                        ; implicit-def: $vgpr0_vgpr1
                                        ; implicit-def: $vgpr14_vgpr15
                                        ; implicit-def: $vgpr16_vgpr17
                                        ; implicit-def: $vgpr12_vgpr13
.LBB261_11:
	v_mov_b64_e32 v[0:1], 0
	v_mov_b64_e32 v[14:15], 0
	;; [unrolled: 1-line block ×4, first 2 shown]
	s_and_saveexec_b32 s3, s2
	s_cbranch_execz .LBB261_15
; %bb.12:
	v_mov_b64_e32 v[0:1], 0
	v_mov_b64_e32 v[14:15], 0
	v_mov_b64_e32 v[16:17], 0
	v_mov_b64_e32 v[12:13], 0
	v_lshlrev_b32_e32 v20, 4, v19
	s_mov_b32 s2, 0
.LBB261_13:                             ; =>This Inner Loop Header: Depth=1
	global_load_b32 v21, v19, s[6:7] scale_offset
	s_clause 0x2
	global_load_b128 v[22:25], v20, s[8:9] offset:16 scale_offset
	global_load_b128 v[26:29], v20, s[8:9] scale_offset
	global_load_b128 v[30:33], v20, s[8:9] offset:144 scale_offset
	s_wait_xcnt 0x3
	v_add_nc_u32_e32 v19, 32, v19
	s_delay_alu instid0(VALU_DEP_1) | instskip(SKIP_3) | instid1(VALU_DEP_1)
	v_cmp_ge_i32_e32 vcc_lo, v19, v18
	s_or_b32 s2, vcc_lo, s2
	s_wait_loadcnt 0x3
	v_subrev_nc_u32_e32 v21, s12, v21
	v_lshlrev_b32_e32 v21, 3, v21
	global_load_b128 v[34:37], v20, s[8:9] offset:128 scale_offset
	s_clause 0x1
	global_load_b128 v[38:41], v21, s[10:11] scale_offset
	global_load_b128 v[42:45], v21, s[10:11] offset:16 scale_offset
	s_clause 0x3
	global_load_b128 v[46:49], v20, s[8:9] offset:48 scale_offset
	global_load_b128 v[50:53], v20, s[8:9] offset:32 scale_offset
	;; [unrolled: 1-line block ×4, first 2 shown]
	s_clause 0x1
	global_load_b128 v[62:65], v21, s[10:11] offset:32 scale_offset
	global_load_b128 v[66:69], v21, s[10:11] offset:48 scale_offset
	s_clause 0x3
	global_load_b128 v[70:73], v20, s[8:9] offset:80 scale_offset
	global_load_b128 v[74:77], v20, s[8:9] offset:64 scale_offset
	;; [unrolled: 1-line block ×4, first 2 shown]
	s_clause 0x1
	global_load_b128 v[86:89], v21, s[10:11] offset:64 scale_offset
	global_load_b128 v[90:93], v21, s[10:11] offset:80 scale_offset
	s_wait_loadcnt 0xd
	v_fmac_f64_e32 v[14:15], v[26:27], v[38:39]
	v_fmac_f64_e32 v[0:1], v[28:29], v[38:39]
	;; [unrolled: 1-line block ×4, first 2 shown]
	s_delay_alu instid0(VALU_DEP_4) | instskip(NEXT) | instid1(VALU_DEP_4)
	v_fma_f64 v[98:99], -v[28:29], v[40:41], v[14:15]
	v_fmac_f64_e32 v[0:1], v[26:27], v[40:41]
	s_delay_alu instid0(VALU_DEP_4) | instskip(NEXT) | instid1(VALU_DEP_4)
	v_fma_f64 v[100:101], -v[36:37], v[40:41], v[16:17]
	v_fmac_f64_e32 v[12:13], v[34:35], v[40:41]
	s_clause 0x3
	global_load_b128 v[26:29], v20, s[8:9] offset:112 scale_offset
	global_load_b128 v[14:17], v20, s[8:9] offset:96 scale_offset
	;; [unrolled: 1-line block ×5, first 2 shown]
	s_wait_xcnt 0x1
	v_add_nc_u32_e32 v20, 0x200, v20
	s_wait_loadcnt 0x11
	v_fmac_f64_e32 v[98:99], v[22:23], v[42:43]
	v_fmac_f64_e32 v[0:1], v[24:25], v[42:43]
	;; [unrolled: 1-line block ×4, first 2 shown]
	s_delay_alu instid0(VALU_DEP_4) | instskip(NEXT) | instid1(VALU_DEP_4)
	v_fma_f64 v[42:43], -v[24:25], v[44:45], v[98:99]
	v_fmac_f64_e32 v[0:1], v[22:23], v[44:45]
	s_delay_alu instid0(VALU_DEP_4) | instskip(NEXT) | instid1(VALU_DEP_4)
	v_fma_f64 v[32:33], -v[32:33], v[44:45], v[100:101]
	v_fmac_f64_e32 v[12:13], v[30:31], v[44:45]
	global_load_b128 v[22:25], v21, s[10:11] offset:112 scale_offset
	s_wait_loadcnt 0xd
	v_fmac_f64_e32 v[42:43], v[50:51], v[62:63]
	v_fmac_f64_e32 v[0:1], v[52:53], v[62:63]
	;; [unrolled: 1-line block ×4, first 2 shown]
	s_delay_alu instid0(VALU_DEP_4) | instskip(NEXT) | instid1(VALU_DEP_4)
	v_fma_f64 v[30:31], -v[52:53], v[64:65], v[42:43]
	v_fmac_f64_e32 v[0:1], v[50:51], v[64:65]
	s_delay_alu instid0(VALU_DEP_4) | instskip(NEXT) | instid1(VALU_DEP_4)
	v_fma_f64 v[32:33], -v[60:61], v[64:65], v[32:33]
	v_fmac_f64_e32 v[12:13], v[58:59], v[64:65]
	s_wait_loadcnt 0xc
	s_delay_alu instid0(VALU_DEP_4) | instskip(NEXT) | instid1(VALU_DEP_4)
	v_fmac_f64_e32 v[30:31], v[46:47], v[66:67]
	v_fmac_f64_e32 v[0:1], v[48:49], v[66:67]
	s_delay_alu instid0(VALU_DEP_4) | instskip(NEXT) | instid1(VALU_DEP_4)
	v_fmac_f64_e32 v[32:33], v[54:55], v[66:67]
	v_fmac_f64_e32 v[12:13], v[56:57], v[66:67]
	s_delay_alu instid0(VALU_DEP_4) | instskip(NEXT) | instid1(VALU_DEP_4)
	v_fma_f64 v[30:31], -v[48:49], v[68:69], v[30:31]
	v_fmac_f64_e32 v[0:1], v[46:47], v[68:69]
	s_delay_alu instid0(VALU_DEP_4) | instskip(NEXT) | instid1(VALU_DEP_4)
	v_fma_f64 v[32:33], -v[56:57], v[68:69], v[32:33]
	v_fmac_f64_e32 v[12:13], v[54:55], v[68:69]
	s_wait_loadcnt 0x7
	s_delay_alu instid0(VALU_DEP_4) | instskip(NEXT) | instid1(VALU_DEP_4)
	v_fmac_f64_e32 v[30:31], v[74:75], v[86:87]
	v_fmac_f64_e32 v[0:1], v[76:77], v[86:87]
	s_delay_alu instid0(VALU_DEP_4) | instskip(NEXT) | instid1(VALU_DEP_4)
	v_fmac_f64_e32 v[32:33], v[82:83], v[86:87]
	v_fmac_f64_e32 v[12:13], v[84:85], v[86:87]
	;; [unrolled: 13-line block ×5, first 2 shown]
	s_delay_alu instid0(VALU_DEP_4) | instskip(NEXT) | instid1(VALU_DEP_4)
	v_fma_f64 v[14:15], -v[28:29], v[24:25], v[16:17]
	v_fmac_f64_e32 v[0:1], v[26:27], v[24:25]
	s_delay_alu instid0(VALU_DEP_4) | instskip(NEXT) | instid1(VALU_DEP_4)
	v_fma_f64 v[16:17], -v[36:37], v[24:25], v[30:31]
	v_fmac_f64_e32 v[12:13], v[34:35], v[24:25]
	s_and_not1_b32 exec_lo, exec_lo, s2
	s_cbranch_execnz .LBB261_13
; %bb.14:
	s_or_b32 exec_lo, exec_lo, s2
.LBB261_15:
	s_delay_alu instid0(SALU_CYCLE_1)
	s_or_b32 exec_lo, exec_lo, s3
.LBB261_16:
	v_mbcnt_lo_u32_b32 v28, -1, 0
	s_delay_alu instid0(VALU_DEP_1) | instskip(NEXT) | instid1(VALU_DEP_1)
	v_xor_b32_e32 v18, 16, v28
	v_cmp_gt_i32_e32 vcc_lo, 32, v18
	v_cndmask_b32_e32 v18, v28, v18, vcc_lo
	s_delay_alu instid0(VALU_DEP_1)
	v_lshlrev_b32_e32 v25, 2, v18
	ds_bpermute_b32 v20, v25, v0
	ds_bpermute_b32 v21, v25, v1
	s_wait_dscnt 0x0
	v_add_f64_e32 v[0:1], v[0:1], v[20:21]
	ds_bpermute_b32 v18, v25, v14
	ds_bpermute_b32 v19, v25, v15
	;; [unrolled: 1-line block ×6, first 2 shown]
	s_wait_dscnt 0x4
	v_dual_add_f64 v[14:15], v[14:15], v[18:19] :: v_dual_bitop2_b32 v18, 8, v28 bitop3:0x14
	s_wait_dscnt 0x2
	v_add_f64_e32 v[16:17], v[16:17], v[22:23]
	s_delay_alu instid0(VALU_DEP_2) | instskip(SKIP_2) | instid1(VALU_DEP_1)
	v_cmp_gt_i32_e32 vcc_lo, 32, v18
	v_cndmask_b32_e32 v18, v28, v18, vcc_lo
	s_wait_dscnt 0x0
	v_dual_add_f64 v[12:13], v[12:13], v[24:25] :: v_dual_lshlrev_b32 v25, 2, v18
	ds_bpermute_b32 v20, v25, v0
	ds_bpermute_b32 v21, v25, v1
	;; [unrolled: 1-line block ×8, first 2 shown]
	s_wait_dscnt 0x4
	v_dual_add_f64 v[14:15], v[14:15], v[18:19] :: v_dual_bitop2_b32 v18, 4, v28 bitop3:0x14
	s_wait_dscnt 0x2
	v_add_f64_e32 v[16:17], v[16:17], v[22:23]
	s_delay_alu instid0(VALU_DEP_2) | instskip(SKIP_3) | instid1(VALU_DEP_2)
	v_cmp_gt_i32_e32 vcc_lo, 32, v18
	v_cndmask_b32_e32 v18, v28, v18, vcc_lo
	v_add_f64_e32 v[0:1], v[0:1], v[20:21]
	s_wait_dscnt 0x0
	v_dual_add_f64 v[12:13], v[12:13], v[24:25] :: v_dual_lshlrev_b32 v25, 2, v18
	ds_bpermute_b32 v18, v25, v14
	ds_bpermute_b32 v19, v25, v15
	;; [unrolled: 1-line block ×8, first 2 shown]
	s_wait_dscnt 0x6
	v_add_f64_e32 v[14:15], v[14:15], v[18:19]
	s_wait_dscnt 0x2
	v_add_f64_e32 v[18:19], v[0:1], v[20:21]
	v_add_f64_e32 v[20:21], v[16:17], v[22:23]
	s_wait_dscnt 0x0
	v_add_f64_e32 v[22:23], v[12:13], v[24:25]
	v_xor_b32_e32 v0, 2, v28
	s_delay_alu instid0(VALU_DEP_1) | instskip(SKIP_1) | instid1(VALU_DEP_1)
	v_cmp_gt_i32_e32 vcc_lo, 32, v0
	v_cndmask_b32_e32 v0, v28, v0, vcc_lo
	v_lshlrev_b32_e32 v16, 2, v0
	ds_bpermute_b32 v0, v16, v14
	ds_bpermute_b32 v1, v16, v15
	;; [unrolled: 1-line block ×8, first 2 shown]
	s_wait_dscnt 0x4
	v_add_f64_e32 v[16:17], v[18:19], v[12:13]
	v_xor_b32_e32 v18, 1, v28
	s_wait_dscnt 0x2
	v_add_f64_e32 v[12:13], v[20:21], v[24:25]
	s_delay_alu instid0(VALU_DEP_2)
	v_cmp_gt_i32_e32 vcc_lo, 32, v18
	v_add_f64_e32 v[0:1], v[14:15], v[0:1]
	s_wait_dscnt 0x0
	v_add_f64_e32 v[14:15], v[22:23], v[26:27]
	v_cndmask_b32_e32 v18, v28, v18, vcc_lo
	v_cmp_eq_u32_e32 vcc_lo, 31, v11
	s_delay_alu instid0(VALU_DEP_2)
	v_lshlrev_b32_e32 v21, 2, v18
	ds_bpermute_b32 v22, v21, v16
	ds_bpermute_b32 v23, v21, v17
	;; [unrolled: 1-line block ×8, first 2 shown]
	s_and_b32 exec_lo, exec_lo, vcc_lo
	s_cbranch_execz .LBB261_21
; %bb.17:
	v_cmp_eq_f64_e32 vcc_lo, 0, v[6:7]
	v_cmp_eq_f64_e64 s2, 0, v[8:9]
	s_wait_dscnt 0x2
	v_add_f64_e32 v[0:1], v[0:1], v[24:25]
	v_add_f64_e32 v[16:17], v[16:17], v[22:23]
	;; [unrolled: 1-line block ×3, first 2 shown]
	s_wait_dscnt 0x0
	v_add_f64_e32 v[14:15], v[14:15], v[20:21]
	s_load_b64 s[0:1], s[0:1], 0x48
	s_and_b32 s2, vcc_lo, s2
	s_delay_alu instid0(SALU_CYCLE_1) | instskip(NEXT) | instid1(SALU_CYCLE_1)
	s_and_saveexec_b32 s3, s2
	s_xor_b32 s2, exec_lo, s3
	s_cbranch_execz .LBB261_19
; %bb.18:
	s_delay_alu instid0(VALU_DEP_3) | instskip(SKIP_1) | instid1(VALU_DEP_3)
	v_mul_f64_e64 v[6:7], v[16:17], -v[4:5]
	v_mul_f64_e32 v[8:9], v[2:3], v[16:17]
	v_mul_f64_e64 v[16:17], v[14:15], -v[4:5]
	v_mul_f64_e32 v[18:19], v[2:3], v[14:15]
                                        ; implicit-def: $vgpr14_vgpr15
	s_delay_alu instid0(VALU_DEP_4) | instskip(NEXT) | instid1(VALU_DEP_4)
	v_fmac_f64_e32 v[6:7], v[2:3], v[0:1]
	v_fmac_f64_e32 v[8:9], v[4:5], v[0:1]
	s_delay_alu instid0(VALU_DEP_4) | instskip(NEXT) | instid1(VALU_DEP_4)
	v_fmac_f64_e32 v[16:17], v[2:3], v[12:13]
	v_fmac_f64_e32 v[18:19], v[4:5], v[12:13]
	v_lshlrev_b32_e32 v0, 1, v10
                                        ; implicit-def: $vgpr10
                                        ; implicit-def: $vgpr12_vgpr13
                                        ; implicit-def: $vgpr4_vgpr5
	s_wait_kmcnt 0x0
	s_clause 0x1
	global_store_b128 v0, v[6:9], s[0:1] scale_offset
	global_store_b128 v0, v[16:19], s[0:1] offset:16 scale_offset
                                        ; implicit-def: $vgpr0_vgpr1
                                        ; implicit-def: $vgpr16_vgpr17
                                        ; implicit-def: $vgpr8_vgpr9
.LBB261_19:
	s_wait_xcnt 0x0
	s_and_not1_saveexec_b32 s2, s2
	s_cbranch_execz .LBB261_21
; %bb.20:
	s_delay_alu instid0(VALU_DEP_3) | instskip(SKIP_1) | instid1(VALU_DEP_3)
	v_dual_mul_f64 v[26:27], v[16:17], -v[4:5] :: v_dual_lshlrev_b32 v30, 1, v10
	v_mul_f64_e32 v[16:17], v[2:3], v[16:17]
	v_mul_f64_e64 v[28:29], v[14:15], -v[4:5]
	v_mul_f64_e32 v[10:11], v[2:3], v[14:15]
	s_wait_kmcnt 0x0
	s_clause 0x1
	global_load_b128 v[18:21], v30, s[0:1] scale_offset
	global_load_b128 v[22:25], v30, s[0:1] offset:16 scale_offset
	v_fmac_f64_e32 v[26:27], v[2:3], v[0:1]
	v_fmac_f64_e32 v[16:17], v[4:5], v[0:1]
	;; [unrolled: 1-line block ×4, first 2 shown]
	s_wait_loadcnt 0x1
	s_delay_alu instid0(VALU_DEP_4) | instskip(NEXT) | instid1(VALU_DEP_4)
	v_fmac_f64_e32 v[26:27], v[6:7], v[18:19]
	v_fmac_f64_e32 v[16:17], v[8:9], v[18:19]
	s_wait_loadcnt 0x0
	s_delay_alu instid0(VALU_DEP_4) | instskip(NEXT) | instid1(VALU_DEP_4)
	v_fmac_f64_e32 v[28:29], v[6:7], v[22:23]
	v_fmac_f64_e32 v[10:11], v[8:9], v[22:23]
	s_delay_alu instid0(VALU_DEP_4) | instskip(NEXT) | instid1(VALU_DEP_4)
	v_fma_f64 v[14:15], -v[8:9], v[20:21], v[26:27]
	v_fmac_f64_e32 v[16:17], v[6:7], v[20:21]
	s_delay_alu instid0(VALU_DEP_4) | instskip(NEXT) | instid1(VALU_DEP_4)
	v_fma_f64 v[8:9], -v[8:9], v[24:25], v[28:29]
	v_fmac_f64_e32 v[10:11], v[6:7], v[24:25]
	s_clause 0x1
	global_store_b128 v30, v[14:17], s[0:1] scale_offset
	global_store_b128 v30, v[8:11], s[0:1] offset:16 scale_offset
.LBB261_21:
	s_sendmsg sendmsg(MSG_DEALLOC_VGPRS)
	s_endpgm
	.section	.rodata,"a",@progbits
	.p2align	6, 0x0
	.amdhsa_kernel _ZN9rocsparseL19gebsrmvn_2xn_kernelILj128ELj8ELj32E21rocsparse_complex_numIdEEEvi20rocsparse_direction_NS_24const_host_device_scalarIT2_EEPKiS8_PKS5_SA_S6_PS5_21rocsparse_index_base_b
		.amdhsa_group_segment_fixed_size 0
		.amdhsa_private_segment_fixed_size 0
		.amdhsa_kernarg_size 88
		.amdhsa_user_sgpr_count 2
		.amdhsa_user_sgpr_dispatch_ptr 0
		.amdhsa_user_sgpr_queue_ptr 0
		.amdhsa_user_sgpr_kernarg_segment_ptr 1
		.amdhsa_user_sgpr_dispatch_id 0
		.amdhsa_user_sgpr_kernarg_preload_length 0
		.amdhsa_user_sgpr_kernarg_preload_offset 0
		.amdhsa_user_sgpr_private_segment_size 0
		.amdhsa_wavefront_size32 1
		.amdhsa_uses_dynamic_stack 0
		.amdhsa_enable_private_segment 0
		.amdhsa_system_sgpr_workgroup_id_x 1
		.amdhsa_system_sgpr_workgroup_id_y 0
		.amdhsa_system_sgpr_workgroup_id_z 0
		.amdhsa_system_sgpr_workgroup_info 0
		.amdhsa_system_vgpr_workitem_id 0
		.amdhsa_next_free_vgpr 102
		.amdhsa_next_free_sgpr 14
		.amdhsa_named_barrier_count 0
		.amdhsa_reserve_vcc 1
		.amdhsa_float_round_mode_32 0
		.amdhsa_float_round_mode_16_64 0
		.amdhsa_float_denorm_mode_32 3
		.amdhsa_float_denorm_mode_16_64 3
		.amdhsa_fp16_overflow 0
		.amdhsa_memory_ordered 1
		.amdhsa_forward_progress 1
		.amdhsa_inst_pref_size 24
		.amdhsa_round_robin_scheduling 0
		.amdhsa_exception_fp_ieee_invalid_op 0
		.amdhsa_exception_fp_denorm_src 0
		.amdhsa_exception_fp_ieee_div_zero 0
		.amdhsa_exception_fp_ieee_overflow 0
		.amdhsa_exception_fp_ieee_underflow 0
		.amdhsa_exception_fp_ieee_inexact 0
		.amdhsa_exception_int_div_zero 0
	.end_amdhsa_kernel
	.section	.text._ZN9rocsparseL19gebsrmvn_2xn_kernelILj128ELj8ELj32E21rocsparse_complex_numIdEEEvi20rocsparse_direction_NS_24const_host_device_scalarIT2_EEPKiS8_PKS5_SA_S6_PS5_21rocsparse_index_base_b,"axG",@progbits,_ZN9rocsparseL19gebsrmvn_2xn_kernelILj128ELj8ELj32E21rocsparse_complex_numIdEEEvi20rocsparse_direction_NS_24const_host_device_scalarIT2_EEPKiS8_PKS5_SA_S6_PS5_21rocsparse_index_base_b,comdat
.Lfunc_end261:
	.size	_ZN9rocsparseL19gebsrmvn_2xn_kernelILj128ELj8ELj32E21rocsparse_complex_numIdEEEvi20rocsparse_direction_NS_24const_host_device_scalarIT2_EEPKiS8_PKS5_SA_S6_PS5_21rocsparse_index_base_b, .Lfunc_end261-_ZN9rocsparseL19gebsrmvn_2xn_kernelILj128ELj8ELj32E21rocsparse_complex_numIdEEEvi20rocsparse_direction_NS_24const_host_device_scalarIT2_EEPKiS8_PKS5_SA_S6_PS5_21rocsparse_index_base_b
                                        ; -- End function
	.set _ZN9rocsparseL19gebsrmvn_2xn_kernelILj128ELj8ELj32E21rocsparse_complex_numIdEEEvi20rocsparse_direction_NS_24const_host_device_scalarIT2_EEPKiS8_PKS5_SA_S6_PS5_21rocsparse_index_base_b.num_vgpr, 102
	.set _ZN9rocsparseL19gebsrmvn_2xn_kernelILj128ELj8ELj32E21rocsparse_complex_numIdEEEvi20rocsparse_direction_NS_24const_host_device_scalarIT2_EEPKiS8_PKS5_SA_S6_PS5_21rocsparse_index_base_b.num_agpr, 0
	.set _ZN9rocsparseL19gebsrmvn_2xn_kernelILj128ELj8ELj32E21rocsparse_complex_numIdEEEvi20rocsparse_direction_NS_24const_host_device_scalarIT2_EEPKiS8_PKS5_SA_S6_PS5_21rocsparse_index_base_b.numbered_sgpr, 14
	.set _ZN9rocsparseL19gebsrmvn_2xn_kernelILj128ELj8ELj32E21rocsparse_complex_numIdEEEvi20rocsparse_direction_NS_24const_host_device_scalarIT2_EEPKiS8_PKS5_SA_S6_PS5_21rocsparse_index_base_b.num_named_barrier, 0
	.set _ZN9rocsparseL19gebsrmvn_2xn_kernelILj128ELj8ELj32E21rocsparse_complex_numIdEEEvi20rocsparse_direction_NS_24const_host_device_scalarIT2_EEPKiS8_PKS5_SA_S6_PS5_21rocsparse_index_base_b.private_seg_size, 0
	.set _ZN9rocsparseL19gebsrmvn_2xn_kernelILj128ELj8ELj32E21rocsparse_complex_numIdEEEvi20rocsparse_direction_NS_24const_host_device_scalarIT2_EEPKiS8_PKS5_SA_S6_PS5_21rocsparse_index_base_b.uses_vcc, 1
	.set _ZN9rocsparseL19gebsrmvn_2xn_kernelILj128ELj8ELj32E21rocsparse_complex_numIdEEEvi20rocsparse_direction_NS_24const_host_device_scalarIT2_EEPKiS8_PKS5_SA_S6_PS5_21rocsparse_index_base_b.uses_flat_scratch, 0
	.set _ZN9rocsparseL19gebsrmvn_2xn_kernelILj128ELj8ELj32E21rocsparse_complex_numIdEEEvi20rocsparse_direction_NS_24const_host_device_scalarIT2_EEPKiS8_PKS5_SA_S6_PS5_21rocsparse_index_base_b.has_dyn_sized_stack, 0
	.set _ZN9rocsparseL19gebsrmvn_2xn_kernelILj128ELj8ELj32E21rocsparse_complex_numIdEEEvi20rocsparse_direction_NS_24const_host_device_scalarIT2_EEPKiS8_PKS5_SA_S6_PS5_21rocsparse_index_base_b.has_recursion, 0
	.set _ZN9rocsparseL19gebsrmvn_2xn_kernelILj128ELj8ELj32E21rocsparse_complex_numIdEEEvi20rocsparse_direction_NS_24const_host_device_scalarIT2_EEPKiS8_PKS5_SA_S6_PS5_21rocsparse_index_base_b.has_indirect_call, 0
	.section	.AMDGPU.csdata,"",@progbits
; Kernel info:
; codeLenInByte = 3060
; TotalNumSgprs: 16
; NumVgprs: 102
; ScratchSize: 0
; MemoryBound: 1
; FloatMode: 240
; IeeeMode: 1
; LDSByteSize: 0 bytes/workgroup (compile time only)
; SGPRBlocks: 0
; VGPRBlocks: 6
; NumSGPRsForWavesPerEU: 16
; NumVGPRsForWavesPerEU: 102
; NamedBarCnt: 0
; Occupancy: 9
; WaveLimiterHint : 1
; COMPUTE_PGM_RSRC2:SCRATCH_EN: 0
; COMPUTE_PGM_RSRC2:USER_SGPR: 2
; COMPUTE_PGM_RSRC2:TRAP_HANDLER: 0
; COMPUTE_PGM_RSRC2:TGID_X_EN: 1
; COMPUTE_PGM_RSRC2:TGID_Y_EN: 0
; COMPUTE_PGM_RSRC2:TGID_Z_EN: 0
; COMPUTE_PGM_RSRC2:TIDIG_COMP_CNT: 0
	.section	.text._ZN9rocsparseL19gebsrmvn_2xn_kernelILj128ELj8ELj64E21rocsparse_complex_numIdEEEvi20rocsparse_direction_NS_24const_host_device_scalarIT2_EEPKiS8_PKS5_SA_S6_PS5_21rocsparse_index_base_b,"axG",@progbits,_ZN9rocsparseL19gebsrmvn_2xn_kernelILj128ELj8ELj64E21rocsparse_complex_numIdEEEvi20rocsparse_direction_NS_24const_host_device_scalarIT2_EEPKiS8_PKS5_SA_S6_PS5_21rocsparse_index_base_b,comdat
	.globl	_ZN9rocsparseL19gebsrmvn_2xn_kernelILj128ELj8ELj64E21rocsparse_complex_numIdEEEvi20rocsparse_direction_NS_24const_host_device_scalarIT2_EEPKiS8_PKS5_SA_S6_PS5_21rocsparse_index_base_b ; -- Begin function _ZN9rocsparseL19gebsrmvn_2xn_kernelILj128ELj8ELj64E21rocsparse_complex_numIdEEEvi20rocsparse_direction_NS_24const_host_device_scalarIT2_EEPKiS8_PKS5_SA_S6_PS5_21rocsparse_index_base_b
	.p2align	8
	.type	_ZN9rocsparseL19gebsrmvn_2xn_kernelILj128ELj8ELj64E21rocsparse_complex_numIdEEEvi20rocsparse_direction_NS_24const_host_device_scalarIT2_EEPKiS8_PKS5_SA_S6_PS5_21rocsparse_index_base_b,@function
_ZN9rocsparseL19gebsrmvn_2xn_kernelILj128ELj8ELj64E21rocsparse_complex_numIdEEEvi20rocsparse_direction_NS_24const_host_device_scalarIT2_EEPKiS8_PKS5_SA_S6_PS5_21rocsparse_index_base_b: ; @_ZN9rocsparseL19gebsrmvn_2xn_kernelILj128ELj8ELj64E21rocsparse_complex_numIdEEEvi20rocsparse_direction_NS_24const_host_device_scalarIT2_EEPKiS8_PKS5_SA_S6_PS5_21rocsparse_index_base_b
; %bb.0:
	s_clause 0x1
	s_load_b64 s[12:13], s[0:1], 0x50
	s_load_b64 s[2:3], s[0:1], 0x8
	v_mov_b32_e32 v1, 0
	s_add_nc_u64 s[4:5], s[0:1], 8
	s_load_b64 s[6:7], s[0:1], 0x38
	s_wait_kmcnt 0x0
	s_bitcmp1_b32 s13, 0
	s_cselect_b32 s3, s5, s3
	s_cselect_b32 s2, s4, s2
	flat_load_b128 v[2:5], v1, s[2:3]
	s_wait_xcnt 0x0
	s_add_nc_u64 s[2:3], s[0:1], 56
	s_delay_alu instid0(SALU_CYCLE_1)
	s_cselect_b32 s3, s3, s7
	s_cselect_b32 s2, s2, s6
	flat_load_b128 v[6:9], v1, s[2:3]
	s_wait_loadcnt_dscnt 0x101
	v_cmp_eq_f64_e32 vcc_lo, 0, v[2:3]
	s_wait_xcnt 0x0
	v_cmp_eq_f64_e64 s2, 0, v[4:5]
	s_and_b32 s4, vcc_lo, s2
	s_mov_b32 s2, -1
	s_and_saveexec_b32 s3, s4
	s_cbranch_execz .LBB262_2
; %bb.1:
	s_wait_loadcnt_dscnt 0x0
	v_cmp_neq_f64_e32 vcc_lo, 1.0, v[6:7]
	v_cmp_neq_f64_e64 s2, 0, v[8:9]
	s_or_b32 s2, vcc_lo, s2
	s_delay_alu instid0(SALU_CYCLE_1)
	s_or_not1_b32 s2, s2, exec_lo
.LBB262_2:
	s_or_b32 exec_lo, exec_lo, s3
	s_and_saveexec_b32 s3, s2
	s_cbranch_execz .LBB262_21
; %bb.3:
	s_load_b64 s[2:3], s[0:1], 0x0
	s_bfe_u32 s4, ttmp6, 0x4000c
	s_and_b32 s5, ttmp6, 15
	s_add_co_i32 s4, s4, 1
	s_getreg_b32 s6, hwreg(HW_REG_IB_STS2, 6, 4)
	s_mul_i32 s4, ttmp9, s4
	v_lshrrev_b32_e32 v1, 6, v0
	s_add_co_i32 s5, s5, s4
	s_cmp_eq_u32 s6, 0
	s_cselect_b32 s4, ttmp9, s5
	s_delay_alu instid0(VALU_DEP_1) | instid1(SALU_CYCLE_1)
	v_lshl_or_b32 v10, s4, 1, v1
	s_wait_kmcnt 0x0
	s_delay_alu instid0(VALU_DEP_1)
	v_cmp_gt_i32_e32 vcc_lo, s2, v10
	s_and_b32 exec_lo, exec_lo, vcc_lo
	s_cbranch_execz .LBB262_21
; %bb.4:
	s_load_b256 s[4:11], s[0:1], 0x18
	v_ashrrev_i32_e32 v11, 31, v10
	s_cmp_lg_u32 s3, 0
	s_wait_kmcnt 0x0
	s_delay_alu instid0(VALU_DEP_1)
	v_lshl_add_u64 v[12:13], v[10:11], 2, s[4:5]
	v_and_b32_e32 v11, 63, v0
	global_load_b64 v[12:13], v[12:13], off
	s_wait_loadcnt 0x0
	v_subrev_nc_u32_e32 v0, s12, v12
	v_subrev_nc_u32_e32 v18, s12, v13
	s_delay_alu instid0(VALU_DEP_2) | instskip(NEXT) | instid1(VALU_DEP_1)
	v_add_nc_u32_e32 v19, v0, v11
	v_cmp_lt_i32_e64 s2, v19, v18
	s_cbranch_scc0 .LBB262_10
; %bb.5:
	v_mov_b64_e32 v[0:1], 0
	v_mov_b64_e32 v[14:15], 0
	;; [unrolled: 1-line block ×4, first 2 shown]
	s_and_saveexec_b32 s3, s2
	s_cbranch_execz .LBB262_9
; %bb.6:
	v_mov_b64_e32 v[0:1], 0
	v_mov_b64_e32 v[14:15], 0
	;; [unrolled: 1-line block ×4, first 2 shown]
	v_dual_mov_b32 v21, v19 :: v_dual_lshlrev_b32 v20, 4, v19
	s_mov_b32 s4, 0
.LBB262_7:                              ; =>This Inner Loop Header: Depth=1
	global_load_b32 v22, v21, s[6:7] scale_offset
	s_wait_xcnt 0x0
	v_add_nc_u32_e32 v21, 64, v21
	s_delay_alu instid0(VALU_DEP_1)
	v_cmp_ge_i32_e32 vcc_lo, v21, v18
	s_or_b32 s4, vcc_lo, s4
	s_wait_loadcnt 0x0
	v_subrev_nc_u32_e32 v26, s12, v22
	global_load_b128 v[22:25], v20, s[8:9] offset:16 scale_offset
	v_lshlrev_b32_e32 v96, 3, v26
	global_load_b128 v[26:29], v20, s[8:9] scale_offset
	global_load_b128 v[30:33], v96, s[10:11] scale_offset
	s_clause 0x1
	global_load_b128 v[34:37], v20, s[8:9] offset:32 scale_offset
	global_load_b128 v[38:41], v20, s[8:9] offset:48 scale_offset
	global_load_b128 v[42:45], v96, s[10:11] offset:16 scale_offset
	s_clause 0x1
	global_load_b128 v[46:49], v20, s[8:9] offset:80 scale_offset
	global_load_b128 v[50:53], v20, s[8:9] offset:64 scale_offset
	global_load_b128 v[54:57], v96, s[10:11] offset:32 scale_offset
	;; [unrolled: 4-line block ×5, first 2 shown]
	s_wait_loadcnt 0xf
	v_fmac_f64_e32 v[14:15], v[26:27], v[30:31]
	v_fmac_f64_e32 v[0:1], v[28:29], v[30:31]
	;; [unrolled: 1-line block ×4, first 2 shown]
	s_delay_alu instid0(VALU_DEP_4) | instskip(NEXT) | instid1(VALU_DEP_4)
	v_fma_f64 v[30:31], -v[28:29], v[32:33], v[14:15]
	v_fmac_f64_e32 v[0:1], v[26:27], v[32:33]
	s_delay_alu instid0(VALU_DEP_4) | instskip(NEXT) | instid1(VALU_DEP_4)
	v_fma_f64 v[94:95], -v[24:25], v[32:33], v[16:17]
	v_fmac_f64_e32 v[12:13], v[22:23], v[32:33]
	s_clause 0x1
	global_load_b128 v[14:17], v20, s[8:9] offset:208 scale_offset
	global_load_b128 v[22:25], v20, s[8:9] offset:192 scale_offset
	;; [unrolled: 1-line block ×3, first 2 shown]
	s_wait_loadcnt 0xf
	v_fmac_f64_e32 v[30:31], v[34:35], v[42:43]
	v_fmac_f64_e32 v[0:1], v[36:37], v[42:43]
	;; [unrolled: 1-line block ×4, first 2 shown]
	s_delay_alu instid0(VALU_DEP_4) | instskip(NEXT) | instid1(VALU_DEP_4)
	v_fma_f64 v[42:43], -v[36:37], v[44:45], v[30:31]
	v_fmac_f64_e32 v[0:1], v[34:35], v[44:45]
	s_delay_alu instid0(VALU_DEP_4) | instskip(NEXT) | instid1(VALU_DEP_4)
	v_fma_f64 v[94:95], -v[40:41], v[44:45], v[94:95]
	v_fmac_f64_e32 v[12:13], v[38:39], v[44:45]
	s_clause 0x1
	global_load_b128 v[30:33], v20, s[8:9] offset:224 scale_offset
	global_load_b128 v[34:37], v20, s[8:9] offset:240 scale_offset
	;; [unrolled: 1-line block ×3, first 2 shown]
	s_wait_xcnt 0x1
	v_add_nc_u32_e32 v20, 0x400, v20
	s_wait_loadcnt 0xf
	v_fmac_f64_e32 v[42:43], v[50:51], v[54:55]
	v_fmac_f64_e32 v[0:1], v[52:53], v[54:55]
	;; [unrolled: 1-line block ×4, first 2 shown]
	s_delay_alu instid0(VALU_DEP_4) | instskip(NEXT) | instid1(VALU_DEP_4)
	v_fma_f64 v[42:43], -v[52:53], v[56:57], v[42:43]
	v_fmac_f64_e32 v[0:1], v[50:51], v[56:57]
	s_delay_alu instid0(VALU_DEP_4) | instskip(NEXT) | instid1(VALU_DEP_4)
	v_fma_f64 v[44:45], -v[48:49], v[56:57], v[94:95]
	v_fmac_f64_e32 v[12:13], v[46:47], v[56:57]
	s_wait_loadcnt 0xc
	s_delay_alu instid0(VALU_DEP_4) | instskip(NEXT) | instid1(VALU_DEP_4)
	v_fmac_f64_e32 v[42:43], v[58:59], v[66:67]
	v_fmac_f64_e32 v[0:1], v[60:61], v[66:67]
	s_delay_alu instid0(VALU_DEP_4) | instskip(NEXT) | instid1(VALU_DEP_4)
	v_fmac_f64_e32 v[44:45], v[62:63], v[66:67]
	v_fmac_f64_e32 v[12:13], v[64:65], v[66:67]
	s_delay_alu instid0(VALU_DEP_4) | instskip(NEXT) | instid1(VALU_DEP_4)
	v_fma_f64 v[42:43], -v[60:61], v[68:69], v[42:43]
	v_fmac_f64_e32 v[0:1], v[58:59], v[68:69]
	s_delay_alu instid0(VALU_DEP_4) | instskip(NEXT) | instid1(VALU_DEP_4)
	v_fma_f64 v[44:45], -v[64:65], v[68:69], v[44:45]
	v_fmac_f64_e32 v[12:13], v[62:63], v[68:69]
	s_wait_loadcnt 0x9
	s_delay_alu instid0(VALU_DEP_4) | instskip(NEXT) | instid1(VALU_DEP_4)
	v_fmac_f64_e32 v[42:43], v[74:75], v[78:79]
	v_fmac_f64_e32 v[0:1], v[76:77], v[78:79]
	s_delay_alu instid0(VALU_DEP_4) | instskip(NEXT) | instid1(VALU_DEP_4)
	v_fmac_f64_e32 v[44:45], v[70:71], v[78:79]
	v_fmac_f64_e32 v[12:13], v[72:73], v[78:79]
	;; [unrolled: 13-line block ×5, first 2 shown]
	s_delay_alu instid0(VALU_DEP_4) | instskip(NEXT) | instid1(VALU_DEP_4)
	v_fma_f64 v[14:15], -v[32:33], v[40:41], v[24:25]
	v_fmac_f64_e32 v[0:1], v[30:31], v[40:41]
	s_delay_alu instid0(VALU_DEP_4) | instskip(NEXT) | instid1(VALU_DEP_4)
	v_fma_f64 v[16:17], -v[36:37], v[40:41], v[16:17]
	v_fmac_f64_e32 v[12:13], v[34:35], v[40:41]
	s_and_not1_b32 exec_lo, exec_lo, s4
	s_cbranch_execnz .LBB262_7
; %bb.8:
	s_or_b32 exec_lo, exec_lo, s4
.LBB262_9:
	s_delay_alu instid0(SALU_CYCLE_1)
	s_or_b32 exec_lo, exec_lo, s3
	s_cbranch_execz .LBB262_11
	s_branch .LBB262_16
.LBB262_10:
                                        ; implicit-def: $vgpr0_vgpr1
                                        ; implicit-def: $vgpr14_vgpr15
                                        ; implicit-def: $vgpr16_vgpr17
                                        ; implicit-def: $vgpr12_vgpr13
.LBB262_11:
	v_mov_b64_e32 v[0:1], 0
	v_mov_b64_e32 v[14:15], 0
	;; [unrolled: 1-line block ×4, first 2 shown]
	s_and_saveexec_b32 s3, s2
	s_cbranch_execz .LBB262_15
; %bb.12:
	v_mov_b64_e32 v[0:1], 0
	v_mov_b64_e32 v[14:15], 0
	;; [unrolled: 1-line block ×4, first 2 shown]
	v_lshlrev_b32_e32 v20, 4, v19
	s_mov_b32 s2, 0
.LBB262_13:                             ; =>This Inner Loop Header: Depth=1
	global_load_b32 v21, v19, s[6:7] scale_offset
	s_clause 0x2
	global_load_b128 v[22:25], v20, s[8:9] offset:16 scale_offset
	global_load_b128 v[26:29], v20, s[8:9] scale_offset
	global_load_b128 v[30:33], v20, s[8:9] offset:144 scale_offset
	s_wait_xcnt 0x3
	v_add_nc_u32_e32 v19, 64, v19
	s_delay_alu instid0(VALU_DEP_1) | instskip(SKIP_3) | instid1(VALU_DEP_1)
	v_cmp_ge_i32_e32 vcc_lo, v19, v18
	s_or_b32 s2, vcc_lo, s2
	s_wait_loadcnt 0x3
	v_subrev_nc_u32_e32 v21, s12, v21
	v_lshlrev_b32_e32 v21, 3, v21
	global_load_b128 v[34:37], v20, s[8:9] offset:128 scale_offset
	s_clause 0x1
	global_load_b128 v[38:41], v21, s[10:11] scale_offset
	global_load_b128 v[42:45], v21, s[10:11] offset:16 scale_offset
	s_clause 0x3
	global_load_b128 v[46:49], v20, s[8:9] offset:48 scale_offset
	global_load_b128 v[50:53], v20, s[8:9] offset:32 scale_offset
	;; [unrolled: 1-line block ×4, first 2 shown]
	s_clause 0x1
	global_load_b128 v[62:65], v21, s[10:11] offset:32 scale_offset
	global_load_b128 v[66:69], v21, s[10:11] offset:48 scale_offset
	s_clause 0x3
	global_load_b128 v[70:73], v20, s[8:9] offset:80 scale_offset
	global_load_b128 v[74:77], v20, s[8:9] offset:64 scale_offset
	;; [unrolled: 1-line block ×4, first 2 shown]
	s_clause 0x1
	global_load_b128 v[86:89], v21, s[10:11] offset:64 scale_offset
	global_load_b128 v[90:93], v21, s[10:11] offset:80 scale_offset
	s_wait_loadcnt 0xd
	v_fmac_f64_e32 v[14:15], v[26:27], v[38:39]
	v_fmac_f64_e32 v[0:1], v[28:29], v[38:39]
	;; [unrolled: 1-line block ×4, first 2 shown]
	s_delay_alu instid0(VALU_DEP_4) | instskip(NEXT) | instid1(VALU_DEP_4)
	v_fma_f64 v[98:99], -v[28:29], v[40:41], v[14:15]
	v_fmac_f64_e32 v[0:1], v[26:27], v[40:41]
	s_delay_alu instid0(VALU_DEP_4) | instskip(NEXT) | instid1(VALU_DEP_4)
	v_fma_f64 v[100:101], -v[36:37], v[40:41], v[16:17]
	v_fmac_f64_e32 v[12:13], v[34:35], v[40:41]
	s_clause 0x3
	global_load_b128 v[26:29], v20, s[8:9] offset:112 scale_offset
	global_load_b128 v[14:17], v20, s[8:9] offset:96 scale_offset
	;; [unrolled: 1-line block ×5, first 2 shown]
	s_wait_xcnt 0x1
	v_add_nc_u32_e32 v20, 0x400, v20
	s_wait_loadcnt 0x11
	v_fmac_f64_e32 v[98:99], v[22:23], v[42:43]
	v_fmac_f64_e32 v[0:1], v[24:25], v[42:43]
	;; [unrolled: 1-line block ×4, first 2 shown]
	s_delay_alu instid0(VALU_DEP_4) | instskip(NEXT) | instid1(VALU_DEP_4)
	v_fma_f64 v[42:43], -v[24:25], v[44:45], v[98:99]
	v_fmac_f64_e32 v[0:1], v[22:23], v[44:45]
	s_delay_alu instid0(VALU_DEP_4) | instskip(NEXT) | instid1(VALU_DEP_4)
	v_fma_f64 v[32:33], -v[32:33], v[44:45], v[100:101]
	v_fmac_f64_e32 v[12:13], v[30:31], v[44:45]
	global_load_b128 v[22:25], v21, s[10:11] offset:112 scale_offset
	s_wait_loadcnt 0xd
	v_fmac_f64_e32 v[42:43], v[50:51], v[62:63]
	v_fmac_f64_e32 v[0:1], v[52:53], v[62:63]
	;; [unrolled: 1-line block ×4, first 2 shown]
	s_delay_alu instid0(VALU_DEP_4) | instskip(NEXT) | instid1(VALU_DEP_4)
	v_fma_f64 v[30:31], -v[52:53], v[64:65], v[42:43]
	v_fmac_f64_e32 v[0:1], v[50:51], v[64:65]
	s_delay_alu instid0(VALU_DEP_4) | instskip(NEXT) | instid1(VALU_DEP_4)
	v_fma_f64 v[32:33], -v[60:61], v[64:65], v[32:33]
	v_fmac_f64_e32 v[12:13], v[58:59], v[64:65]
	s_wait_loadcnt 0xc
	s_delay_alu instid0(VALU_DEP_4) | instskip(NEXT) | instid1(VALU_DEP_4)
	v_fmac_f64_e32 v[30:31], v[46:47], v[66:67]
	v_fmac_f64_e32 v[0:1], v[48:49], v[66:67]
	s_delay_alu instid0(VALU_DEP_4) | instskip(NEXT) | instid1(VALU_DEP_4)
	v_fmac_f64_e32 v[32:33], v[54:55], v[66:67]
	v_fmac_f64_e32 v[12:13], v[56:57], v[66:67]
	s_delay_alu instid0(VALU_DEP_4) | instskip(NEXT) | instid1(VALU_DEP_4)
	v_fma_f64 v[30:31], -v[48:49], v[68:69], v[30:31]
	v_fmac_f64_e32 v[0:1], v[46:47], v[68:69]
	s_delay_alu instid0(VALU_DEP_4) | instskip(NEXT) | instid1(VALU_DEP_4)
	v_fma_f64 v[32:33], -v[56:57], v[68:69], v[32:33]
	v_fmac_f64_e32 v[12:13], v[54:55], v[68:69]
	s_wait_loadcnt 0x7
	s_delay_alu instid0(VALU_DEP_4) | instskip(NEXT) | instid1(VALU_DEP_4)
	v_fmac_f64_e32 v[30:31], v[74:75], v[86:87]
	v_fmac_f64_e32 v[0:1], v[76:77], v[86:87]
	s_delay_alu instid0(VALU_DEP_4) | instskip(NEXT) | instid1(VALU_DEP_4)
	v_fmac_f64_e32 v[32:33], v[82:83], v[86:87]
	v_fmac_f64_e32 v[12:13], v[84:85], v[86:87]
	;; [unrolled: 13-line block ×5, first 2 shown]
	s_delay_alu instid0(VALU_DEP_4) | instskip(NEXT) | instid1(VALU_DEP_4)
	v_fma_f64 v[14:15], -v[28:29], v[24:25], v[16:17]
	v_fmac_f64_e32 v[0:1], v[26:27], v[24:25]
	s_delay_alu instid0(VALU_DEP_4) | instskip(NEXT) | instid1(VALU_DEP_4)
	v_fma_f64 v[16:17], -v[36:37], v[24:25], v[30:31]
	v_fmac_f64_e32 v[12:13], v[34:35], v[24:25]
	s_and_not1_b32 exec_lo, exec_lo, s2
	s_cbranch_execnz .LBB262_13
; %bb.14:
	s_or_b32 exec_lo, exec_lo, s2
.LBB262_15:
	s_delay_alu instid0(SALU_CYCLE_1)
	s_or_b32 exec_lo, exec_lo, s3
.LBB262_16:
	v_mbcnt_lo_u32_b32 v28, -1, 0
	s_delay_alu instid0(VALU_DEP_1) | instskip(NEXT) | instid1(VALU_DEP_1)
	v_or_b32_e32 v18, 32, v28
	v_cmp_gt_i32_e32 vcc_lo, 32, v18
	v_cndmask_b32_e32 v18, v28, v18, vcc_lo
	s_delay_alu instid0(VALU_DEP_1)
	v_lshlrev_b32_e32 v25, 2, v18
	ds_bpermute_b32 v20, v25, v0
	ds_bpermute_b32 v21, v25, v1
	s_wait_dscnt 0x0
	v_add_f64_e32 v[0:1], v[0:1], v[20:21]
	ds_bpermute_b32 v18, v25, v14
	ds_bpermute_b32 v19, v25, v15
	;; [unrolled: 1-line block ×6, first 2 shown]
	s_wait_dscnt 0x4
	v_dual_add_f64 v[14:15], v[14:15], v[18:19] :: v_dual_bitop2_b32 v18, 16, v28 bitop3:0x14
	s_wait_dscnt 0x2
	v_add_f64_e32 v[16:17], v[16:17], v[22:23]
	s_delay_alu instid0(VALU_DEP_2) | instskip(SKIP_2) | instid1(VALU_DEP_1)
	v_cmp_gt_i32_e32 vcc_lo, 32, v18
	v_cndmask_b32_e32 v18, v28, v18, vcc_lo
	s_wait_dscnt 0x0
	v_dual_add_f64 v[12:13], v[12:13], v[24:25] :: v_dual_lshlrev_b32 v25, 2, v18
	ds_bpermute_b32 v20, v25, v0
	ds_bpermute_b32 v21, v25, v1
	;; [unrolled: 1-line block ×8, first 2 shown]
	s_wait_dscnt 0x4
	v_dual_add_f64 v[14:15], v[14:15], v[18:19] :: v_dual_bitop2_b32 v18, 8, v28 bitop3:0x14
	s_wait_dscnt 0x2
	v_add_f64_e32 v[16:17], v[16:17], v[22:23]
	s_delay_alu instid0(VALU_DEP_2) | instskip(SKIP_3) | instid1(VALU_DEP_2)
	v_cmp_gt_i32_e32 vcc_lo, 32, v18
	v_cndmask_b32_e32 v18, v28, v18, vcc_lo
	v_add_f64_e32 v[0:1], v[0:1], v[20:21]
	s_wait_dscnt 0x0
	v_dual_add_f64 v[12:13], v[12:13], v[24:25] :: v_dual_lshlrev_b32 v25, 2, v18
	ds_bpermute_b32 v18, v25, v14
	ds_bpermute_b32 v19, v25, v15
	;; [unrolled: 1-line block ×5, first 2 shown]
	s_wait_dscnt 0x3
	v_dual_add_f64 v[14:15], v[14:15], v[18:19] :: v_dual_bitop2_b32 v18, 4, v28 bitop3:0x14
	ds_bpermute_b32 v22, v25, v16
	ds_bpermute_b32 v23, v25, v17
	;; [unrolled: 1-line block ×3, first 2 shown]
	v_cmp_gt_i32_e32 vcc_lo, 32, v18
	v_cndmask_b32_e32 v18, v28, v18, vcc_lo
	s_wait_dscnt 0x4
	v_add_f64_e32 v[0:1], v[0:1], v[20:21]
	s_wait_dscnt 0x1
	v_add_f64_e32 v[16:17], v[16:17], v[22:23]
	s_wait_dscnt 0x0
	v_dual_add_f64 v[12:13], v[12:13], v[24:25] :: v_dual_lshlrev_b32 v25, 2, v18
	ds_bpermute_b32 v18, v25, v14
	ds_bpermute_b32 v19, v25, v15
	;; [unrolled: 1-line block ×4, first 2 shown]
	s_wait_dscnt 0x2
	v_add_f64_e32 v[14:15], v[14:15], v[18:19]
	ds_bpermute_b32 v22, v25, v16
	ds_bpermute_b32 v23, v25, v17
	ds_bpermute_b32 v24, v25, v12
	ds_bpermute_b32 v25, v25, v13
	s_wait_dscnt 0x4
	v_add_f64_e32 v[18:19], v[0:1], v[20:21]
	v_xor_b32_e32 v0, 2, v28
	s_delay_alu instid0(VALU_DEP_1)
	v_cmp_gt_i32_e32 vcc_lo, 32, v0
	s_wait_dscnt 0x2
	v_add_f64_e32 v[20:21], v[16:17], v[22:23]
	v_cndmask_b32_e32 v0, v28, v0, vcc_lo
	s_wait_dscnt 0x0
	v_add_f64_e32 v[22:23], v[12:13], v[24:25]
	s_delay_alu instid0(VALU_DEP_2)
	v_lshlrev_b32_e32 v16, 2, v0
	ds_bpermute_b32 v0, v16, v14
	ds_bpermute_b32 v1, v16, v15
	;; [unrolled: 1-line block ×8, first 2 shown]
	s_wait_dscnt 0x6
	v_add_f64_e32 v[0:1], v[14:15], v[0:1]
	s_wait_dscnt 0x4
	v_add_f64_e32 v[16:17], v[18:19], v[12:13]
	v_xor_b32_e32 v18, 1, v28
	s_delay_alu instid0(VALU_DEP_1)
	v_cmp_gt_i32_e32 vcc_lo, 32, v18
	s_wait_dscnt 0x2
	v_add_f64_e32 v[12:13], v[20:21], v[24:25]
	v_cndmask_b32_e32 v18, v28, v18, vcc_lo
	s_wait_dscnt 0x0
	v_add_f64_e32 v[14:15], v[22:23], v[26:27]
	v_cmp_eq_u32_e32 vcc_lo, 63, v11
	s_delay_alu instid0(VALU_DEP_3)
	v_lshlrev_b32_e32 v21, 2, v18
	ds_bpermute_b32 v24, v21, v0
	ds_bpermute_b32 v25, v21, v1
	;; [unrolled: 1-line block ×8, first 2 shown]
	s_and_b32 exec_lo, exec_lo, vcc_lo
	s_cbranch_execz .LBB262_21
; %bb.17:
	v_cmp_eq_f64_e32 vcc_lo, 0, v[6:7]
	v_cmp_eq_f64_e64 s2, 0, v[8:9]
	s_wait_dscnt 0x6
	v_add_f64_e32 v[0:1], v[0:1], v[24:25]
	s_wait_dscnt 0x4
	v_add_f64_e32 v[16:17], v[16:17], v[22:23]
	;; [unrolled: 2-line block ×4, first 2 shown]
	s_load_b64 s[0:1], s[0:1], 0x48
	s_and_b32 s2, vcc_lo, s2
	s_delay_alu instid0(SALU_CYCLE_1) | instskip(NEXT) | instid1(SALU_CYCLE_1)
	s_and_saveexec_b32 s3, s2
	s_xor_b32 s2, exec_lo, s3
	s_cbranch_execz .LBB262_19
; %bb.18:
	s_delay_alu instid0(VALU_DEP_3) | instskip(SKIP_1) | instid1(VALU_DEP_3)
	v_mul_f64_e64 v[6:7], v[16:17], -v[4:5]
	v_mul_f64_e32 v[8:9], v[2:3], v[16:17]
	v_mul_f64_e64 v[16:17], v[14:15], -v[4:5]
	v_mul_f64_e32 v[18:19], v[2:3], v[14:15]
                                        ; implicit-def: $vgpr14_vgpr15
	s_delay_alu instid0(VALU_DEP_4) | instskip(NEXT) | instid1(VALU_DEP_4)
	v_fmac_f64_e32 v[6:7], v[2:3], v[0:1]
	v_fmac_f64_e32 v[8:9], v[4:5], v[0:1]
	s_delay_alu instid0(VALU_DEP_4) | instskip(NEXT) | instid1(VALU_DEP_4)
	v_fmac_f64_e32 v[16:17], v[2:3], v[12:13]
	v_fmac_f64_e32 v[18:19], v[4:5], v[12:13]
	v_lshlrev_b32_e32 v0, 1, v10
                                        ; implicit-def: $vgpr10
                                        ; implicit-def: $vgpr12_vgpr13
                                        ; implicit-def: $vgpr4_vgpr5
	s_wait_kmcnt 0x0
	s_clause 0x1
	global_store_b128 v0, v[6:9], s[0:1] scale_offset
	global_store_b128 v0, v[16:19], s[0:1] offset:16 scale_offset
                                        ; implicit-def: $vgpr0_vgpr1
                                        ; implicit-def: $vgpr16_vgpr17
                                        ; implicit-def: $vgpr8_vgpr9
.LBB262_19:
	s_wait_xcnt 0x0
	s_and_not1_saveexec_b32 s2, s2
	s_cbranch_execz .LBB262_21
; %bb.20:
	s_delay_alu instid0(VALU_DEP_3) | instskip(SKIP_1) | instid1(VALU_DEP_3)
	v_dual_mul_f64 v[26:27], v[16:17], -v[4:5] :: v_dual_lshlrev_b32 v30, 1, v10
	v_mul_f64_e32 v[16:17], v[2:3], v[16:17]
	v_mul_f64_e64 v[28:29], v[14:15], -v[4:5]
	v_mul_f64_e32 v[10:11], v[2:3], v[14:15]
	s_wait_kmcnt 0x0
	s_clause 0x1
	global_load_b128 v[18:21], v30, s[0:1] scale_offset
	global_load_b128 v[22:25], v30, s[0:1] offset:16 scale_offset
	v_fmac_f64_e32 v[26:27], v[2:3], v[0:1]
	v_fmac_f64_e32 v[16:17], v[4:5], v[0:1]
	;; [unrolled: 1-line block ×4, first 2 shown]
	s_wait_loadcnt 0x1
	s_delay_alu instid0(VALU_DEP_4) | instskip(NEXT) | instid1(VALU_DEP_4)
	v_fmac_f64_e32 v[26:27], v[6:7], v[18:19]
	v_fmac_f64_e32 v[16:17], v[8:9], v[18:19]
	s_wait_loadcnt 0x0
	s_delay_alu instid0(VALU_DEP_4) | instskip(NEXT) | instid1(VALU_DEP_4)
	v_fmac_f64_e32 v[28:29], v[6:7], v[22:23]
	v_fmac_f64_e32 v[10:11], v[8:9], v[22:23]
	s_delay_alu instid0(VALU_DEP_4) | instskip(NEXT) | instid1(VALU_DEP_4)
	v_fma_f64 v[14:15], -v[8:9], v[20:21], v[26:27]
	v_fmac_f64_e32 v[16:17], v[6:7], v[20:21]
	s_delay_alu instid0(VALU_DEP_4) | instskip(NEXT) | instid1(VALU_DEP_4)
	v_fma_f64 v[8:9], -v[8:9], v[24:25], v[28:29]
	v_fmac_f64_e32 v[10:11], v[6:7], v[24:25]
	s_clause 0x1
	global_store_b128 v30, v[14:17], s[0:1] scale_offset
	global_store_b128 v30, v[8:11], s[0:1] offset:16 scale_offset
.LBB262_21:
	s_sendmsg sendmsg(MSG_DEALLOC_VGPRS)
	s_endpgm
	.section	.rodata,"a",@progbits
	.p2align	6, 0x0
	.amdhsa_kernel _ZN9rocsparseL19gebsrmvn_2xn_kernelILj128ELj8ELj64E21rocsparse_complex_numIdEEEvi20rocsparse_direction_NS_24const_host_device_scalarIT2_EEPKiS8_PKS5_SA_S6_PS5_21rocsparse_index_base_b
		.amdhsa_group_segment_fixed_size 0
		.amdhsa_private_segment_fixed_size 0
		.amdhsa_kernarg_size 88
		.amdhsa_user_sgpr_count 2
		.amdhsa_user_sgpr_dispatch_ptr 0
		.amdhsa_user_sgpr_queue_ptr 0
		.amdhsa_user_sgpr_kernarg_segment_ptr 1
		.amdhsa_user_sgpr_dispatch_id 0
		.amdhsa_user_sgpr_kernarg_preload_length 0
		.amdhsa_user_sgpr_kernarg_preload_offset 0
		.amdhsa_user_sgpr_private_segment_size 0
		.amdhsa_wavefront_size32 1
		.amdhsa_uses_dynamic_stack 0
		.amdhsa_enable_private_segment 0
		.amdhsa_system_sgpr_workgroup_id_x 1
		.amdhsa_system_sgpr_workgroup_id_y 0
		.amdhsa_system_sgpr_workgroup_id_z 0
		.amdhsa_system_sgpr_workgroup_info 0
		.amdhsa_system_vgpr_workitem_id 0
		.amdhsa_next_free_vgpr 102
		.amdhsa_next_free_sgpr 14
		.amdhsa_named_barrier_count 0
		.amdhsa_reserve_vcc 1
		.amdhsa_float_round_mode_32 0
		.amdhsa_float_round_mode_16_64 0
		.amdhsa_float_denorm_mode_32 3
		.amdhsa_float_denorm_mode_16_64 3
		.amdhsa_fp16_overflow 0
		.amdhsa_memory_ordered 1
		.amdhsa_forward_progress 1
		.amdhsa_inst_pref_size 25
		.amdhsa_round_robin_scheduling 0
		.amdhsa_exception_fp_ieee_invalid_op 0
		.amdhsa_exception_fp_denorm_src 0
		.amdhsa_exception_fp_ieee_div_zero 0
		.amdhsa_exception_fp_ieee_overflow 0
		.amdhsa_exception_fp_ieee_underflow 0
		.amdhsa_exception_fp_ieee_inexact 0
		.amdhsa_exception_int_div_zero 0
	.end_amdhsa_kernel
	.section	.text._ZN9rocsparseL19gebsrmvn_2xn_kernelILj128ELj8ELj64E21rocsparse_complex_numIdEEEvi20rocsparse_direction_NS_24const_host_device_scalarIT2_EEPKiS8_PKS5_SA_S6_PS5_21rocsparse_index_base_b,"axG",@progbits,_ZN9rocsparseL19gebsrmvn_2xn_kernelILj128ELj8ELj64E21rocsparse_complex_numIdEEEvi20rocsparse_direction_NS_24const_host_device_scalarIT2_EEPKiS8_PKS5_SA_S6_PS5_21rocsparse_index_base_b,comdat
.Lfunc_end262:
	.size	_ZN9rocsparseL19gebsrmvn_2xn_kernelILj128ELj8ELj64E21rocsparse_complex_numIdEEEvi20rocsparse_direction_NS_24const_host_device_scalarIT2_EEPKiS8_PKS5_SA_S6_PS5_21rocsparse_index_base_b, .Lfunc_end262-_ZN9rocsparseL19gebsrmvn_2xn_kernelILj128ELj8ELj64E21rocsparse_complex_numIdEEEvi20rocsparse_direction_NS_24const_host_device_scalarIT2_EEPKiS8_PKS5_SA_S6_PS5_21rocsparse_index_base_b
                                        ; -- End function
	.set _ZN9rocsparseL19gebsrmvn_2xn_kernelILj128ELj8ELj64E21rocsparse_complex_numIdEEEvi20rocsparse_direction_NS_24const_host_device_scalarIT2_EEPKiS8_PKS5_SA_S6_PS5_21rocsparse_index_base_b.num_vgpr, 102
	.set _ZN9rocsparseL19gebsrmvn_2xn_kernelILj128ELj8ELj64E21rocsparse_complex_numIdEEEvi20rocsparse_direction_NS_24const_host_device_scalarIT2_EEPKiS8_PKS5_SA_S6_PS5_21rocsparse_index_base_b.num_agpr, 0
	.set _ZN9rocsparseL19gebsrmvn_2xn_kernelILj128ELj8ELj64E21rocsparse_complex_numIdEEEvi20rocsparse_direction_NS_24const_host_device_scalarIT2_EEPKiS8_PKS5_SA_S6_PS5_21rocsparse_index_base_b.numbered_sgpr, 14
	.set _ZN9rocsparseL19gebsrmvn_2xn_kernelILj128ELj8ELj64E21rocsparse_complex_numIdEEEvi20rocsparse_direction_NS_24const_host_device_scalarIT2_EEPKiS8_PKS5_SA_S6_PS5_21rocsparse_index_base_b.num_named_barrier, 0
	.set _ZN9rocsparseL19gebsrmvn_2xn_kernelILj128ELj8ELj64E21rocsparse_complex_numIdEEEvi20rocsparse_direction_NS_24const_host_device_scalarIT2_EEPKiS8_PKS5_SA_S6_PS5_21rocsparse_index_base_b.private_seg_size, 0
	.set _ZN9rocsparseL19gebsrmvn_2xn_kernelILj128ELj8ELj64E21rocsparse_complex_numIdEEEvi20rocsparse_direction_NS_24const_host_device_scalarIT2_EEPKiS8_PKS5_SA_S6_PS5_21rocsparse_index_base_b.uses_vcc, 1
	.set _ZN9rocsparseL19gebsrmvn_2xn_kernelILj128ELj8ELj64E21rocsparse_complex_numIdEEEvi20rocsparse_direction_NS_24const_host_device_scalarIT2_EEPKiS8_PKS5_SA_S6_PS5_21rocsparse_index_base_b.uses_flat_scratch, 0
	.set _ZN9rocsparseL19gebsrmvn_2xn_kernelILj128ELj8ELj64E21rocsparse_complex_numIdEEEvi20rocsparse_direction_NS_24const_host_device_scalarIT2_EEPKiS8_PKS5_SA_S6_PS5_21rocsparse_index_base_b.has_dyn_sized_stack, 0
	.set _ZN9rocsparseL19gebsrmvn_2xn_kernelILj128ELj8ELj64E21rocsparse_complex_numIdEEEvi20rocsparse_direction_NS_24const_host_device_scalarIT2_EEPKiS8_PKS5_SA_S6_PS5_21rocsparse_index_base_b.has_recursion, 0
	.set _ZN9rocsparseL19gebsrmvn_2xn_kernelILj128ELj8ELj64E21rocsparse_complex_numIdEEEvi20rocsparse_direction_NS_24const_host_device_scalarIT2_EEPKiS8_PKS5_SA_S6_PS5_21rocsparse_index_base_b.has_indirect_call, 0
	.section	.AMDGPU.csdata,"",@progbits
; Kernel info:
; codeLenInByte = 3200
; TotalNumSgprs: 16
; NumVgprs: 102
; ScratchSize: 0
; MemoryBound: 1
; FloatMode: 240
; IeeeMode: 1
; LDSByteSize: 0 bytes/workgroup (compile time only)
; SGPRBlocks: 0
; VGPRBlocks: 6
; NumSGPRsForWavesPerEU: 16
; NumVGPRsForWavesPerEU: 102
; NamedBarCnt: 0
; Occupancy: 9
; WaveLimiterHint : 1
; COMPUTE_PGM_RSRC2:SCRATCH_EN: 0
; COMPUTE_PGM_RSRC2:USER_SGPR: 2
; COMPUTE_PGM_RSRC2:TRAP_HANDLER: 0
; COMPUTE_PGM_RSRC2:TGID_X_EN: 1
; COMPUTE_PGM_RSRC2:TGID_Y_EN: 0
; COMPUTE_PGM_RSRC2:TGID_Z_EN: 0
; COMPUTE_PGM_RSRC2:TIDIG_COMP_CNT: 0
	.section	.text._ZN9rocsparseL19gebsrmvn_2xn_kernelILj128ELj9ELj4E21rocsparse_complex_numIdEEEvi20rocsparse_direction_NS_24const_host_device_scalarIT2_EEPKiS8_PKS5_SA_S6_PS5_21rocsparse_index_base_b,"axG",@progbits,_ZN9rocsparseL19gebsrmvn_2xn_kernelILj128ELj9ELj4E21rocsparse_complex_numIdEEEvi20rocsparse_direction_NS_24const_host_device_scalarIT2_EEPKiS8_PKS5_SA_S6_PS5_21rocsparse_index_base_b,comdat
	.globl	_ZN9rocsparseL19gebsrmvn_2xn_kernelILj128ELj9ELj4E21rocsparse_complex_numIdEEEvi20rocsparse_direction_NS_24const_host_device_scalarIT2_EEPKiS8_PKS5_SA_S6_PS5_21rocsparse_index_base_b ; -- Begin function _ZN9rocsparseL19gebsrmvn_2xn_kernelILj128ELj9ELj4E21rocsparse_complex_numIdEEEvi20rocsparse_direction_NS_24const_host_device_scalarIT2_EEPKiS8_PKS5_SA_S6_PS5_21rocsparse_index_base_b
	.p2align	8
	.type	_ZN9rocsparseL19gebsrmvn_2xn_kernelILj128ELj9ELj4E21rocsparse_complex_numIdEEEvi20rocsparse_direction_NS_24const_host_device_scalarIT2_EEPKiS8_PKS5_SA_S6_PS5_21rocsparse_index_base_b,@function
_ZN9rocsparseL19gebsrmvn_2xn_kernelILj128ELj9ELj4E21rocsparse_complex_numIdEEEvi20rocsparse_direction_NS_24const_host_device_scalarIT2_EEPKiS8_PKS5_SA_S6_PS5_21rocsparse_index_base_b: ; @_ZN9rocsparseL19gebsrmvn_2xn_kernelILj128ELj9ELj4E21rocsparse_complex_numIdEEEvi20rocsparse_direction_NS_24const_host_device_scalarIT2_EEPKiS8_PKS5_SA_S6_PS5_21rocsparse_index_base_b
; %bb.0:
	s_clause 0x1
	s_load_b64 s[12:13], s[0:1], 0x50
	s_load_b64 s[2:3], s[0:1], 0x8
	v_mov_b32_e32 v1, 0
	s_add_nc_u64 s[4:5], s[0:1], 8
	s_load_b64 s[6:7], s[0:1], 0x38
	s_wait_kmcnt 0x0
	s_bitcmp1_b32 s13, 0
	s_cselect_b32 s3, s5, s3
	s_cselect_b32 s2, s4, s2
	flat_load_b128 v[2:5], v1, s[2:3]
	s_wait_xcnt 0x0
	s_add_nc_u64 s[2:3], s[0:1], 56
	s_delay_alu instid0(SALU_CYCLE_1)
	s_cselect_b32 s3, s3, s7
	s_cselect_b32 s2, s2, s6
	flat_load_b128 v[6:9], v1, s[2:3]
	s_wait_loadcnt_dscnt 0x101
	v_cmp_eq_f64_e32 vcc_lo, 0, v[2:3]
	s_wait_xcnt 0x0
	v_cmp_eq_f64_e64 s2, 0, v[4:5]
	s_and_b32 s4, vcc_lo, s2
	s_mov_b32 s2, -1
	s_and_saveexec_b32 s3, s4
	s_cbranch_execz .LBB263_2
; %bb.1:
	s_wait_loadcnt_dscnt 0x0
	v_cmp_neq_f64_e32 vcc_lo, 1.0, v[6:7]
	v_cmp_neq_f64_e64 s2, 0, v[8:9]
	s_or_b32 s2, vcc_lo, s2
	s_delay_alu instid0(SALU_CYCLE_1)
	s_or_not1_b32 s2, s2, exec_lo
.LBB263_2:
	s_or_b32 exec_lo, exec_lo, s3
	s_and_saveexec_b32 s3, s2
	s_cbranch_execz .LBB263_21
; %bb.3:
	s_load_b64 s[2:3], s[0:1], 0x0
	s_bfe_u32 s4, ttmp6, 0x4000c
	s_and_b32 s5, ttmp6, 15
	s_add_co_i32 s4, s4, 1
	s_getreg_b32 s6, hwreg(HW_REG_IB_STS2, 6, 4)
	s_mul_i32 s4, ttmp9, s4
	v_lshrrev_b32_e32 v1, 2, v0
	s_add_co_i32 s5, s5, s4
	s_cmp_eq_u32 s6, 0
	s_cselect_b32 s4, ttmp9, s5
	s_delay_alu instid0(VALU_DEP_1) | instid1(SALU_CYCLE_1)
	v_lshl_or_b32 v10, s4, 5, v1
	s_wait_kmcnt 0x0
	s_delay_alu instid0(VALU_DEP_1)
	v_cmp_gt_i32_e32 vcc_lo, s2, v10
	s_and_b32 exec_lo, exec_lo, vcc_lo
	s_cbranch_execz .LBB263_21
; %bb.4:
	s_load_b256 s[4:11], s[0:1], 0x18
	v_ashrrev_i32_e32 v11, 31, v10
	s_cmp_lg_u32 s3, 0
	s_wait_kmcnt 0x0
	s_delay_alu instid0(VALU_DEP_1)
	v_lshl_add_u64 v[12:13], v[10:11], 2, s[4:5]
	v_and_b32_e32 v11, 3, v0
	global_load_b64 v[12:13], v[12:13], off
	s_wait_loadcnt 0x0
	v_subrev_nc_u32_e32 v0, s12, v12
	v_subrev_nc_u32_e32 v18, s12, v13
	s_delay_alu instid0(VALU_DEP_2) | instskip(NEXT) | instid1(VALU_DEP_1)
	v_add_nc_u32_e32 v19, v0, v11
	v_cmp_lt_i32_e64 s2, v19, v18
	s_cbranch_scc0 .LBB263_10
; %bb.5:
	v_mov_b64_e32 v[0:1], 0
	v_mov_b64_e32 v[14:15], 0
	;; [unrolled: 1-line block ×4, first 2 shown]
	s_and_saveexec_b32 s3, s2
	s_cbranch_execz .LBB263_9
; %bb.6:
	v_mad_u32 v20, v19, 18, 16
	v_mov_b64_e32 v[0:1], 0
	v_mov_b64_e32 v[14:15], 0
	;; [unrolled: 1-line block ×4, first 2 shown]
	v_mov_b32_e32 v21, v19
	s_mov_b32 s4, 0
.LBB263_7:                              ; =>This Inner Loop Header: Depth=1
	global_load_b32 v22, v21, s[6:7] scale_offset
	v_dual_add_nc_u32 v34, -16, v20 :: v_dual_add_nc_u32 v46, -14, v20
	v_dual_add_nc_u32 v58, -12, v20 :: v_dual_add_nc_u32 v70, -10, v20
	v_dual_add_nc_u32 v82, -8, v20 :: v_dual_add_nc_u32 v90, -6, v20
	s_wait_xcnt 0x0
	v_add_nc_u32_e32 v21, 4, v21
	s_delay_alu instid0(VALU_DEP_1)
	v_cmp_ge_i32_e32 vcc_lo, v21, v18
	s_or_b32 s4, vcc_lo, s4
	s_wait_loadcnt 0x0
	v_subrev_nc_u32_e32 v26, s12, v22
	global_load_b128 v[22:25], v34, s[8:9] offset:16 scale_offset
	v_lshl_add_u32 v96, v26, 3, v26
	global_load_b128 v[26:29], v34, s[8:9] scale_offset
	global_load_b128 v[30:33], v96, s[10:11] scale_offset
	v_dual_add_nc_u32 v47, 1, v96 :: v_dual_add_nc_u32 v59, 2, v96
	global_load_b128 v[34:37], v46, s[8:9] offset:16 scale_offset
	v_dual_add_nc_u32 v71, 3, v96 :: v_dual_add_nc_u32 v83, 4, v96
	global_load_b128 v[38:41], v46, s[8:9] scale_offset
	global_load_b128 v[42:45], v47, s[10:11] scale_offset
	s_clause 0x1
	global_load_b128 v[46:49], v58, s[8:9] offset:16 scale_offset
	global_load_b128 v[50:53], v58, s[8:9] scale_offset
	global_load_b128 v[54:57], v59, s[10:11] scale_offset
	s_clause 0x1
	global_load_b128 v[58:61], v70, s[8:9] offset:16 scale_offset
	;; [unrolled: 4-line block ×4, first 2 shown]
	global_load_b128 v[86:89], v90, s[8:9] scale_offset
	s_wait_xcnt 0x0
	v_add_nc_u32_e32 v90, 5, v96
	global_load_b128 v[90:93], v90, s[10:11] scale_offset
	s_wait_loadcnt 0xf
	v_fmac_f64_e32 v[0:1], v[28:29], v[30:31]
	v_fmac_f64_e32 v[14:15], v[26:27], v[30:31]
	;; [unrolled: 1-line block ×4, first 2 shown]
	s_delay_alu instid0(VALU_DEP_4) | instskip(NEXT) | instid1(VALU_DEP_4)
	v_fmac_f64_e32 v[0:1], v[26:27], v[32:33]
	v_fma_f64 v[30:31], -v[28:29], v[32:33], v[14:15]
	s_delay_alu instid0(VALU_DEP_4) | instskip(NEXT) | instid1(VALU_DEP_4)
	v_fma_f64 v[94:95], -v[24:25], v[32:33], v[16:17]
	v_fmac_f64_e32 v[12:13], v[22:23], v[32:33]
	v_add_nc_u32_e32 v26, -4, v20
	s_wait_loadcnt 0xc
	v_fmac_f64_e32 v[0:1], v[40:41], v[42:43]
	v_fmac_f64_e32 v[30:31], v[38:39], v[42:43]
	;; [unrolled: 1-line block ×4, first 2 shown]
	s_delay_alu instid0(VALU_DEP_4)
	v_fmac_f64_e32 v[0:1], v[38:39], v[44:45]
	v_add_nc_u32_e32 v38, -2, v20
	s_clause 0x1
	global_load_b128 v[14:17], v26, s[8:9] offset:16 scale_offset
	global_load_b128 v[22:25], v26, s[8:9] scale_offset
	s_wait_xcnt 0x0
	v_add_nc_u32_e32 v26, 6, v96
	v_fma_f64 v[42:43], -v[40:41], v[44:45], v[30:31]
	v_fma_f64 v[94:95], -v[36:37], v[44:45], v[94:95]
	v_fmac_f64_e32 v[12:13], v[34:35], v[44:45]
	global_load_b128 v[26:29], v26, s[10:11] scale_offset
	s_clause 0x1
	global_load_b128 v[30:33], v38, s[8:9] offset:16 scale_offset
	global_load_b128 v[34:37], v38, s[8:9] scale_offset
	s_wait_xcnt 0x0
	v_add_nc_u32_e32 v38, 7, v96
	s_wait_loadcnt 0xe
	v_fmac_f64_e32 v[0:1], v[52:53], v[54:55]
	v_fmac_f64_e32 v[42:43], v[50:51], v[54:55]
	;; [unrolled: 1-line block ×4, first 2 shown]
	s_delay_alu instid0(VALU_DEP_4)
	v_fmac_f64_e32 v[0:1], v[50:51], v[56:57]
	v_add_nc_u32_e32 v50, 8, v96
	global_load_b128 v[38:41], v38, s[10:11] scale_offset
	v_fma_f64 v[54:55], -v[52:53], v[56:57], v[42:43]
	v_fma_f64 v[94:95], -v[48:49], v[56:57], v[94:95]
	v_fmac_f64_e32 v[12:13], v[46:47], v[56:57]
	s_clause 0x1
	global_load_b128 v[42:45], v20, s[8:9] offset:16 scale_offset
	global_load_b128 v[46:49], v20, s[8:9] scale_offset
	global_load_b128 v[50:53], v50, s[10:11] scale_offset
	s_wait_xcnt 0x1
	v_add_nc_u32_e32 v20, 0x48, v20
	s_wait_loadcnt 0xf
	v_fmac_f64_e32 v[0:1], v[64:65], v[66:67]
	v_fmac_f64_e32 v[54:55], v[62:63], v[66:67]
	v_fmac_f64_e32 v[94:95], v[58:59], v[66:67]
	v_fmac_f64_e32 v[12:13], v[60:61], v[66:67]
	s_delay_alu instid0(VALU_DEP_4) | instskip(NEXT) | instid1(VALU_DEP_4)
	v_fmac_f64_e32 v[0:1], v[62:63], v[68:69]
	v_fma_f64 v[54:55], -v[64:65], v[68:69], v[54:55]
	s_delay_alu instid0(VALU_DEP_4) | instskip(NEXT) | instid1(VALU_DEP_4)
	v_fma_f64 v[56:57], -v[60:61], v[68:69], v[94:95]
	v_fmac_f64_e32 v[12:13], v[58:59], v[68:69]
	s_wait_loadcnt 0xc
	s_delay_alu instid0(VALU_DEP_4) | instskip(NEXT) | instid1(VALU_DEP_4)
	v_fmac_f64_e32 v[0:1], v[76:77], v[78:79]
	v_fmac_f64_e32 v[54:55], v[74:75], v[78:79]
	s_delay_alu instid0(VALU_DEP_4) | instskip(NEXT) | instid1(VALU_DEP_4)
	v_fmac_f64_e32 v[56:57], v[70:71], v[78:79]
	v_fmac_f64_e32 v[12:13], v[72:73], v[78:79]
	s_delay_alu instid0(VALU_DEP_4) | instskip(NEXT) | instid1(VALU_DEP_4)
	v_fmac_f64_e32 v[0:1], v[74:75], v[80:81]
	v_fma_f64 v[54:55], -v[76:77], v[80:81], v[54:55]
	s_delay_alu instid0(VALU_DEP_4) | instskip(NEXT) | instid1(VALU_DEP_4)
	v_fma_f64 v[56:57], -v[72:73], v[80:81], v[56:57]
	v_fmac_f64_e32 v[12:13], v[70:71], v[80:81]
	s_wait_loadcnt 0x9
	s_delay_alu instid0(VALU_DEP_4) | instskip(NEXT) | instid1(VALU_DEP_4)
	v_fmac_f64_e32 v[0:1], v[88:89], v[90:91]
	v_fmac_f64_e32 v[54:55], v[86:87], v[90:91]
	s_delay_alu instid0(VALU_DEP_4) | instskip(NEXT) | instid1(VALU_DEP_4)
	v_fmac_f64_e32 v[56:57], v[82:83], v[90:91]
	v_fmac_f64_e32 v[12:13], v[84:85], v[90:91]
	s_delay_alu instid0(VALU_DEP_4) | instskip(NEXT) | instid1(VALU_DEP_4)
	v_fmac_f64_e32 v[0:1], v[86:87], v[92:93]
	v_fma_f64 v[54:55], -v[88:89], v[92:93], v[54:55]
	s_delay_alu instid0(VALU_DEP_4) | instskip(NEXT) | instid1(VALU_DEP_4)
	v_fma_f64 v[56:57], -v[84:85], v[92:93], v[56:57]
	v_fmac_f64_e32 v[12:13], v[82:83], v[92:93]
	s_wait_loadcnt 0x6
	s_delay_alu instid0(VALU_DEP_3) | instskip(SKIP_1) | instid1(VALU_DEP_4)
	v_fmac_f64_e32 v[54:55], v[22:23], v[26:27]
	v_fmac_f64_e32 v[0:1], v[24:25], v[26:27]
	;; [unrolled: 1-line block ×3, first 2 shown]
	s_delay_alu instid0(VALU_DEP_4) | instskip(NEXT) | instid1(VALU_DEP_4)
	v_fmac_f64_e32 v[12:13], v[16:17], v[26:27]
	v_fma_f64 v[24:25], -v[24:25], v[28:29], v[54:55]
	s_delay_alu instid0(VALU_DEP_4) | instskip(NEXT) | instid1(VALU_DEP_4)
	v_fmac_f64_e32 v[0:1], v[22:23], v[28:29]
	v_fma_f64 v[16:17], -v[16:17], v[28:29], v[56:57]
	s_delay_alu instid0(VALU_DEP_4) | instskip(SKIP_1) | instid1(VALU_DEP_4)
	v_fmac_f64_e32 v[12:13], v[14:15], v[28:29]
	s_wait_loadcnt 0x3
	v_fmac_f64_e32 v[24:25], v[34:35], v[38:39]
	s_delay_alu instid0(VALU_DEP_4) | instskip(NEXT) | instid1(VALU_DEP_4)
	v_fmac_f64_e32 v[0:1], v[36:37], v[38:39]
	v_fmac_f64_e32 v[16:17], v[30:31], v[38:39]
	s_delay_alu instid0(VALU_DEP_4) | instskip(NEXT) | instid1(VALU_DEP_4)
	v_fmac_f64_e32 v[12:13], v[32:33], v[38:39]
	v_fma_f64 v[14:15], -v[36:37], v[40:41], v[24:25]
	s_delay_alu instid0(VALU_DEP_4) | instskip(NEXT) | instid1(VALU_DEP_4)
	v_fmac_f64_e32 v[0:1], v[34:35], v[40:41]
	v_fma_f64 v[16:17], -v[32:33], v[40:41], v[16:17]
	s_delay_alu instid0(VALU_DEP_4) | instskip(SKIP_1) | instid1(VALU_DEP_4)
	v_fmac_f64_e32 v[12:13], v[30:31], v[40:41]
	s_wait_loadcnt 0x0
	v_fmac_f64_e32 v[14:15], v[46:47], v[50:51]
	s_delay_alu instid0(VALU_DEP_4) | instskip(NEXT) | instid1(VALU_DEP_4)
	v_fmac_f64_e32 v[0:1], v[48:49], v[50:51]
	v_fmac_f64_e32 v[16:17], v[42:43], v[50:51]
	s_delay_alu instid0(VALU_DEP_4) | instskip(NEXT) | instid1(VALU_DEP_4)
	v_fmac_f64_e32 v[12:13], v[44:45], v[50:51]
	v_fma_f64 v[14:15], -v[48:49], v[52:53], v[14:15]
	s_delay_alu instid0(VALU_DEP_4) | instskip(NEXT) | instid1(VALU_DEP_4)
	v_fmac_f64_e32 v[0:1], v[46:47], v[52:53]
	v_fma_f64 v[16:17], -v[44:45], v[52:53], v[16:17]
	s_delay_alu instid0(VALU_DEP_4)
	v_fmac_f64_e32 v[12:13], v[42:43], v[52:53]
	s_and_not1_b32 exec_lo, exec_lo, s4
	s_cbranch_execnz .LBB263_7
; %bb.8:
	s_or_b32 exec_lo, exec_lo, s4
.LBB263_9:
	s_delay_alu instid0(SALU_CYCLE_1)
	s_or_b32 exec_lo, exec_lo, s3
	s_cbranch_execz .LBB263_11
	s_branch .LBB263_16
.LBB263_10:
                                        ; implicit-def: $vgpr0_vgpr1
                                        ; implicit-def: $vgpr14_vgpr15
                                        ; implicit-def: $vgpr16_vgpr17
                                        ; implicit-def: $vgpr12_vgpr13
.LBB263_11:
	v_mov_b64_e32 v[0:1], 0
	v_mov_b64_e32 v[14:15], 0
	;; [unrolled: 1-line block ×4, first 2 shown]
	s_and_saveexec_b32 s3, s2
	s_cbranch_execz .LBB263_15
; %bb.12:
	v_mad_u32 v20, v19, 18, 17
	v_mov_b64_e32 v[0:1], 0
	v_mov_b64_e32 v[14:15], 0
	;; [unrolled: 1-line block ×4, first 2 shown]
	s_mov_b32 s2, 0
.LBB263_13:                             ; =>This Inner Loop Header: Depth=1
	global_load_b32 v21, v19, s[6:7] scale_offset
	v_subrev_nc_u32_e32 v26, 17, v20
	v_dual_add_nc_u32 v38, -8, v20 :: v_dual_add_nc_u32 v46, -7, v20
	v_dual_add_nc_u32 v90, -12, v20 :: v_dual_add_nc_u32 v91, -3, v20
	s_clause 0x1
	global_load_b128 v[22:25], v26, s[8:9] offset:16 scale_offset
	global_load_b128 v[26:29], v26, s[8:9] scale_offset
	v_dual_add_nc_u32 v70, -5, v20 :: v_dual_add_nc_u32 v19, 4, v19
	s_delay_alu instid0(VALU_DEP_1) | instskip(SKIP_3) | instid1(VALU_DEP_1)
	v_cmp_ge_i32_e32 vcc_lo, v19, v18
	s_or_b32 s2, vcc_lo, s2
	s_wait_loadcnt 0x2
	v_subrev_nc_u32_e32 v21, s12, v21
	v_lshl_add_u32 v21, v21, 3, v21
	global_load_b128 v[30:33], v38, s[8:9] scale_offset
	global_load_b128 v[34:37], v21, s[10:11] scale_offset
	v_add_nc_u32_e32 v47, 1, v21
	global_load_b128 v[38:41], v46, s[8:9] scale_offset
	global_load_b128 v[42:45], v47, s[10:11] scale_offset
	s_wait_xcnt 0x1
	v_dual_add_nc_u32 v46, -15, v20 :: v_dual_add_nc_u32 v58, -6, v20
	v_dual_add_nc_u32 v59, 2, v21 :: v_dual_add_nc_u32 v71, 3, v21
	v_dual_add_nc_u32 v82, -4, v20 :: v_dual_add_nc_u32 v83, 4, v21
	s_clause 0x1
	global_load_b128 v[46:49], v46, s[8:9] scale_offset
	global_load_b128 v[50:53], v58, s[8:9] scale_offset
	;; [unrolled: 1-line block ×3, first 2 shown]
	s_wait_xcnt 0x1
	v_add_nc_u32_e32 v58, -14, v20
	s_clause 0x1
	global_load_b128 v[58:61], v58, s[8:9] scale_offset
	global_load_b128 v[62:65], v70, s[8:9] scale_offset
	;; [unrolled: 1-line block ×3, first 2 shown]
	s_wait_xcnt 0x1
	v_add_nc_u32_e32 v70, -13, v20
	s_clause 0x1
	global_load_b128 v[70:73], v70, s[8:9] scale_offset
	global_load_b128 v[74:77], v82, s[8:9] scale_offset
	;; [unrolled: 1-line block ×3, first 2 shown]
	s_clause 0x1
	global_load_b128 v[82:85], v90, s[8:9] scale_offset
	global_load_b128 v[86:89], v91, s[8:9] scale_offset
	s_wait_xcnt 0x1
	v_add_nc_u32_e32 v90, 5, v21
	s_wait_loadcnt 0xd
	v_fmac_f64_e32 v[12:13], v[32:33], v[34:35]
	v_fmac_f64_e32 v[14:15], v[26:27], v[34:35]
	v_fmac_f64_e32 v[0:1], v[28:29], v[34:35]
	v_fmac_f64_e32 v[16:17], v[30:31], v[34:35]
	s_delay_alu instid0(VALU_DEP_4)
	v_fmac_f64_e32 v[12:13], v[30:31], v[36:37]
	v_add_nc_u32_e32 v30, -11, v20
	global_load_b128 v[90:93], v90, s[10:11] scale_offset
	v_fma_f64 v[34:35], -v[28:29], v[36:37], v[14:15]
	v_fmac_f64_e32 v[0:1], v[26:27], v[36:37]
	v_fma_f64 v[94:95], -v[32:33], v[36:37], v[16:17]
	v_add_nc_u32_e32 v31, -2, v20
	s_clause 0x1
	global_load_b128 v[14:17], v30, s[8:9] scale_offset
	global_load_b128 v[26:29], v31, s[8:9] scale_offset
	s_wait_xcnt 0x1
	v_add_nc_u32_e32 v30, 6, v21
	global_load_b128 v[30:33], v30, s[10:11] scale_offset
	s_wait_loadcnt 0xf
	v_fmac_f64_e32 v[12:13], v[40:41], v[42:43]
	v_fmac_f64_e32 v[34:35], v[22:23], v[42:43]
	v_fmac_f64_e32 v[0:1], v[24:25], v[42:43]
	v_fmac_f64_e32 v[94:95], v[38:39], v[42:43]
	s_delay_alu instid0(VALU_DEP_4)
	v_fmac_f64_e32 v[12:13], v[38:39], v[44:45]
	v_dual_add_nc_u32 v38, -10, v20 :: v_dual_add_nc_u32 v39, -1, v20
	v_fma_f64 v[42:43], -v[24:25], v[44:45], v[34:35]
	v_fmac_f64_e32 v[0:1], v[22:23], v[44:45]
	v_fma_f64 v[94:95], -v[40:41], v[44:45], v[94:95]
	s_clause 0x1
	global_load_b128 v[22:25], v38, s[8:9] scale_offset
	global_load_b128 v[34:37], v39, s[8:9] scale_offset
	s_wait_xcnt 0x1
	v_dual_add_nc_u32 v38, 7, v21 :: v_dual_add_nc_u32 v21, 8, v21
	s_wait_loadcnt 0xe
	v_fmac_f64_e32 v[12:13], v[52:53], v[54:55]
	v_fmac_f64_e32 v[42:43], v[46:47], v[54:55]
	v_fmac_f64_e32 v[0:1], v[48:49], v[54:55]
	v_fmac_f64_e32 v[94:95], v[50:51], v[54:55]
	s_delay_alu instid0(VALU_DEP_4)
	v_fmac_f64_e32 v[12:13], v[50:51], v[56:57]
	v_add_nc_u32_e32 v50, -9, v20
	global_load_b128 v[38:41], v38, s[10:11] scale_offset
	v_fma_f64 v[54:55], -v[48:49], v[56:57], v[42:43]
	v_fmac_f64_e32 v[0:1], v[46:47], v[56:57]
	v_fma_f64 v[94:95], -v[52:53], v[56:57], v[94:95]
	s_clause 0x1
	global_load_b128 v[42:45], v20, s[8:9] scale_offset
	global_load_b128 v[46:49], v50, s[8:9] scale_offset
	;; [unrolled: 1-line block ×3, first 2 shown]
	v_add_nc_u32_e32 v20, 0x48, v20
	s_wait_loadcnt 0xf
	v_fmac_f64_e32 v[12:13], v[64:65], v[66:67]
	v_fmac_f64_e32 v[54:55], v[58:59], v[66:67]
	;; [unrolled: 1-line block ×4, first 2 shown]
	s_delay_alu instid0(VALU_DEP_4) | instskip(NEXT) | instid1(VALU_DEP_4)
	v_fmac_f64_e32 v[12:13], v[62:63], v[68:69]
	v_fma_f64 v[54:55], -v[60:61], v[68:69], v[54:55]
	s_delay_alu instid0(VALU_DEP_4) | instskip(NEXT) | instid1(VALU_DEP_4)
	v_fmac_f64_e32 v[0:1], v[58:59], v[68:69]
	v_fma_f64 v[56:57], -v[64:65], v[68:69], v[94:95]
	s_wait_loadcnt 0xc
	s_delay_alu instid0(VALU_DEP_4) | instskip(NEXT) | instid1(VALU_DEP_4)
	v_fmac_f64_e32 v[12:13], v[76:77], v[78:79]
	v_fmac_f64_e32 v[54:55], v[70:71], v[78:79]
	s_delay_alu instid0(VALU_DEP_4) | instskip(NEXT) | instid1(VALU_DEP_4)
	v_fmac_f64_e32 v[0:1], v[72:73], v[78:79]
	v_fmac_f64_e32 v[56:57], v[74:75], v[78:79]
	s_delay_alu instid0(VALU_DEP_4) | instskip(NEXT) | instid1(VALU_DEP_4)
	v_fmac_f64_e32 v[12:13], v[74:75], v[80:81]
	v_fma_f64 v[54:55], -v[72:73], v[80:81], v[54:55]
	s_delay_alu instid0(VALU_DEP_4) | instskip(NEXT) | instid1(VALU_DEP_4)
	v_fmac_f64_e32 v[0:1], v[70:71], v[80:81]
	v_fma_f64 v[56:57], -v[76:77], v[80:81], v[56:57]
	s_wait_loadcnt 0x9
	s_delay_alu instid0(VALU_DEP_3) | instskip(NEXT) | instid1(VALU_DEP_3)
	v_fmac_f64_e32 v[54:55], v[82:83], v[90:91]
	v_fmac_f64_e32 v[0:1], v[84:85], v[90:91]
	s_delay_alu instid0(VALU_DEP_3) | instskip(SKIP_1) | instid1(VALU_DEP_4)
	v_fmac_f64_e32 v[56:57], v[86:87], v[90:91]
	v_fmac_f64_e32 v[12:13], v[88:89], v[90:91]
	v_fma_f64 v[54:55], -v[84:85], v[92:93], v[54:55]
	s_delay_alu instid0(VALU_DEP_4) | instskip(NEXT) | instid1(VALU_DEP_4)
	v_fmac_f64_e32 v[0:1], v[82:83], v[92:93]
	v_fma_f64 v[56:57], -v[88:89], v[92:93], v[56:57]
	s_delay_alu instid0(VALU_DEP_4) | instskip(SKIP_1) | instid1(VALU_DEP_4)
	v_fmac_f64_e32 v[12:13], v[86:87], v[92:93]
	s_wait_loadcnt 0x6
	v_fmac_f64_e32 v[54:55], v[14:15], v[30:31]
	s_delay_alu instid0(VALU_DEP_4) | instskip(NEXT) | instid1(VALU_DEP_4)
	v_fmac_f64_e32 v[0:1], v[16:17], v[30:31]
	v_fmac_f64_e32 v[56:57], v[26:27], v[30:31]
	s_delay_alu instid0(VALU_DEP_4) | instskip(NEXT) | instid1(VALU_DEP_4)
	v_fmac_f64_e32 v[12:13], v[28:29], v[30:31]
	v_fma_f64 v[16:17], -v[16:17], v[32:33], v[54:55]
	s_delay_alu instid0(VALU_DEP_4) | instskip(NEXT) | instid1(VALU_DEP_4)
	v_fmac_f64_e32 v[0:1], v[14:15], v[32:33]
	v_fma_f64 v[14:15], -v[28:29], v[32:33], v[56:57]
	s_delay_alu instid0(VALU_DEP_4) | instskip(SKIP_1) | instid1(VALU_DEP_4)
	v_fmac_f64_e32 v[12:13], v[26:27], v[32:33]
	s_wait_loadcnt 0x3
	v_fmac_f64_e32 v[16:17], v[22:23], v[38:39]
	s_delay_alu instid0(VALU_DEP_4) | instskip(NEXT) | instid1(VALU_DEP_4)
	v_fmac_f64_e32 v[0:1], v[24:25], v[38:39]
	v_fmac_f64_e32 v[14:15], v[34:35], v[38:39]
	s_delay_alu instid0(VALU_DEP_4) | instskip(NEXT) | instid1(VALU_DEP_4)
	;; [unrolled: 13-line block ×3, first 2 shown]
	v_fmac_f64_e32 v[12:13], v[44:45], v[50:51]
	v_fma_f64 v[14:15], -v[48:49], v[52:53], v[16:17]
	s_delay_alu instid0(VALU_DEP_4) | instskip(NEXT) | instid1(VALU_DEP_4)
	v_fmac_f64_e32 v[0:1], v[46:47], v[52:53]
	v_fma_f64 v[16:17], -v[44:45], v[52:53], v[22:23]
	s_delay_alu instid0(VALU_DEP_4)
	v_fmac_f64_e32 v[12:13], v[42:43], v[52:53]
	s_and_not1_b32 exec_lo, exec_lo, s2
	s_cbranch_execnz .LBB263_13
; %bb.14:
	s_or_b32 exec_lo, exec_lo, s2
.LBB263_15:
	s_delay_alu instid0(SALU_CYCLE_1)
	s_or_b32 exec_lo, exec_lo, s3
.LBB263_16:
	v_mbcnt_lo_u32_b32 v28, -1, 0
	s_delay_alu instid0(VALU_DEP_1) | instskip(NEXT) | instid1(VALU_DEP_1)
	v_xor_b32_e32 v18, 2, v28
	v_cmp_gt_i32_e32 vcc_lo, 32, v18
	v_cndmask_b32_e32 v18, v28, v18, vcc_lo
	s_delay_alu instid0(VALU_DEP_1)
	v_lshlrev_b32_e32 v22, 2, v18
	ds_bpermute_b32 v20, v22, v0
	ds_bpermute_b32 v21, v22, v1
	s_wait_dscnt 0x0
	v_add_f64_e32 v[20:21], v[0:1], v[20:21]
	ds_bpermute_b32 v18, v22, v14
	ds_bpermute_b32 v19, v22, v15
	;; [unrolled: 1-line block ×6, first 2 shown]
	v_xor_b32_e32 v0, 1, v28
	s_delay_alu instid0(VALU_DEP_1)
	v_cmp_gt_i32_e32 vcc_lo, 32, v0
	v_cndmask_b32_e32 v0, v28, v0, vcc_lo
	v_cmp_eq_u32_e32 vcc_lo, 3, v11
	s_wait_dscnt 0x4
	v_add_f64_e32 v[22:23], v[14:15], v[18:19]
	s_wait_dscnt 0x2
	v_add_f64_e32 v[14:15], v[16:17], v[24:25]
	s_wait_dscnt 0x0
	v_dual_add_f64 v[18:19], v[12:13], v[26:27] :: v_dual_lshlrev_b32 v25, 2, v0
	ds_bpermute_b32 v16, v25, v20
	ds_bpermute_b32 v17, v25, v21
	;; [unrolled: 1-line block ×8, first 2 shown]
	s_and_b32 exec_lo, exec_lo, vcc_lo
	s_cbranch_execz .LBB263_21
; %bb.17:
	v_cmp_eq_f64_e32 vcc_lo, 0, v[6:7]
	v_cmp_eq_f64_e64 s2, 0, v[8:9]
	s_wait_dscnt 0x4
	v_add_f64_e32 v[0:1], v[22:23], v[0:1]
	v_add_f64_e32 v[16:17], v[20:21], v[16:17]
	s_wait_dscnt 0x2
	v_add_f64_e32 v[12:13], v[14:15], v[12:13]
	s_wait_dscnt 0x0
	v_add_f64_e32 v[14:15], v[18:19], v[24:25]
	s_load_b64 s[0:1], s[0:1], 0x48
	s_and_b32 s2, vcc_lo, s2
	s_delay_alu instid0(SALU_CYCLE_1) | instskip(NEXT) | instid1(SALU_CYCLE_1)
	s_and_saveexec_b32 s3, s2
	s_xor_b32 s2, exec_lo, s3
	s_cbranch_execz .LBB263_19
; %bb.18:
	s_delay_alu instid0(VALU_DEP_3) | instskip(SKIP_1) | instid1(VALU_DEP_3)
	v_mul_f64_e64 v[6:7], v[16:17], -v[4:5]
	v_mul_f64_e32 v[8:9], v[2:3], v[16:17]
	v_mul_f64_e64 v[16:17], v[14:15], -v[4:5]
	v_mul_f64_e32 v[18:19], v[2:3], v[14:15]
                                        ; implicit-def: $vgpr14_vgpr15
	s_delay_alu instid0(VALU_DEP_4) | instskip(NEXT) | instid1(VALU_DEP_4)
	v_fmac_f64_e32 v[6:7], v[2:3], v[0:1]
	v_fmac_f64_e32 v[8:9], v[4:5], v[0:1]
	s_delay_alu instid0(VALU_DEP_4) | instskip(NEXT) | instid1(VALU_DEP_4)
	v_fmac_f64_e32 v[16:17], v[2:3], v[12:13]
	v_fmac_f64_e32 v[18:19], v[4:5], v[12:13]
	v_lshlrev_b32_e32 v0, 1, v10
                                        ; implicit-def: $vgpr10
                                        ; implicit-def: $vgpr12_vgpr13
                                        ; implicit-def: $vgpr4_vgpr5
	s_wait_kmcnt 0x0
	s_clause 0x1
	global_store_b128 v0, v[6:9], s[0:1] scale_offset
	global_store_b128 v0, v[16:19], s[0:1] offset:16 scale_offset
                                        ; implicit-def: $vgpr0_vgpr1
                                        ; implicit-def: $vgpr16_vgpr17
                                        ; implicit-def: $vgpr8_vgpr9
.LBB263_19:
	s_wait_xcnt 0x0
	s_and_not1_saveexec_b32 s2, s2
	s_cbranch_execz .LBB263_21
; %bb.20:
	s_delay_alu instid0(VALU_DEP_3) | instskip(SKIP_1) | instid1(VALU_DEP_3)
	v_dual_mul_f64 v[26:27], v[16:17], -v[4:5] :: v_dual_lshlrev_b32 v30, 1, v10
	v_mul_f64_e32 v[16:17], v[2:3], v[16:17]
	v_mul_f64_e64 v[28:29], v[14:15], -v[4:5]
	v_mul_f64_e32 v[10:11], v[2:3], v[14:15]
	s_wait_kmcnt 0x0
	s_clause 0x1
	global_load_b128 v[18:21], v30, s[0:1] scale_offset
	global_load_b128 v[22:25], v30, s[0:1] offset:16 scale_offset
	v_fmac_f64_e32 v[26:27], v[2:3], v[0:1]
	v_fmac_f64_e32 v[16:17], v[4:5], v[0:1]
	v_fmac_f64_e32 v[28:29], v[2:3], v[12:13]
	v_fmac_f64_e32 v[10:11], v[4:5], v[12:13]
	s_wait_loadcnt 0x1
	s_delay_alu instid0(VALU_DEP_4) | instskip(NEXT) | instid1(VALU_DEP_4)
	v_fmac_f64_e32 v[26:27], v[6:7], v[18:19]
	v_fmac_f64_e32 v[16:17], v[8:9], v[18:19]
	s_wait_loadcnt 0x0
	s_delay_alu instid0(VALU_DEP_4) | instskip(NEXT) | instid1(VALU_DEP_4)
	v_fmac_f64_e32 v[28:29], v[6:7], v[22:23]
	v_fmac_f64_e32 v[10:11], v[8:9], v[22:23]
	s_delay_alu instid0(VALU_DEP_4) | instskip(NEXT) | instid1(VALU_DEP_4)
	v_fma_f64 v[14:15], -v[8:9], v[20:21], v[26:27]
	v_fmac_f64_e32 v[16:17], v[6:7], v[20:21]
	s_delay_alu instid0(VALU_DEP_4) | instskip(NEXT) | instid1(VALU_DEP_4)
	v_fma_f64 v[8:9], -v[8:9], v[24:25], v[28:29]
	v_fmac_f64_e32 v[10:11], v[6:7], v[24:25]
	s_clause 0x1
	global_store_b128 v30, v[14:17], s[0:1] scale_offset
	global_store_b128 v30, v[8:11], s[0:1] offset:16 scale_offset
.LBB263_21:
	s_sendmsg sendmsg(MSG_DEALLOC_VGPRS)
	s_endpgm
	.section	.rodata,"a",@progbits
	.p2align	6, 0x0
	.amdhsa_kernel _ZN9rocsparseL19gebsrmvn_2xn_kernelILj128ELj9ELj4E21rocsparse_complex_numIdEEEvi20rocsparse_direction_NS_24const_host_device_scalarIT2_EEPKiS8_PKS5_SA_S6_PS5_21rocsparse_index_base_b
		.amdhsa_group_segment_fixed_size 0
		.amdhsa_private_segment_fixed_size 0
		.amdhsa_kernarg_size 88
		.amdhsa_user_sgpr_count 2
		.amdhsa_user_sgpr_dispatch_ptr 0
		.amdhsa_user_sgpr_queue_ptr 0
		.amdhsa_user_sgpr_kernarg_segment_ptr 1
		.amdhsa_user_sgpr_dispatch_id 0
		.amdhsa_user_sgpr_kernarg_preload_length 0
		.amdhsa_user_sgpr_kernarg_preload_offset 0
		.amdhsa_user_sgpr_private_segment_size 0
		.amdhsa_wavefront_size32 1
		.amdhsa_uses_dynamic_stack 0
		.amdhsa_enable_private_segment 0
		.amdhsa_system_sgpr_workgroup_id_x 1
		.amdhsa_system_sgpr_workgroup_id_y 0
		.amdhsa_system_sgpr_workgroup_id_z 0
		.amdhsa_system_sgpr_workgroup_info 0
		.amdhsa_system_vgpr_workitem_id 0
		.amdhsa_next_free_vgpr 97
		.amdhsa_next_free_sgpr 14
		.amdhsa_named_barrier_count 0
		.amdhsa_reserve_vcc 1
		.amdhsa_float_round_mode_32 0
		.amdhsa_float_round_mode_16_64 0
		.amdhsa_float_denorm_mode_32 3
		.amdhsa_float_denorm_mode_16_64 3
		.amdhsa_fp16_overflow 0
		.amdhsa_memory_ordered 1
		.amdhsa_forward_progress 1
		.amdhsa_inst_pref_size 25
		.amdhsa_round_robin_scheduling 0
		.amdhsa_exception_fp_ieee_invalid_op 0
		.amdhsa_exception_fp_denorm_src 0
		.amdhsa_exception_fp_ieee_div_zero 0
		.amdhsa_exception_fp_ieee_overflow 0
		.amdhsa_exception_fp_ieee_underflow 0
		.amdhsa_exception_fp_ieee_inexact 0
		.amdhsa_exception_int_div_zero 0
	.end_amdhsa_kernel
	.section	.text._ZN9rocsparseL19gebsrmvn_2xn_kernelILj128ELj9ELj4E21rocsparse_complex_numIdEEEvi20rocsparse_direction_NS_24const_host_device_scalarIT2_EEPKiS8_PKS5_SA_S6_PS5_21rocsparse_index_base_b,"axG",@progbits,_ZN9rocsparseL19gebsrmvn_2xn_kernelILj128ELj9ELj4E21rocsparse_complex_numIdEEEvi20rocsparse_direction_NS_24const_host_device_scalarIT2_EEPKiS8_PKS5_SA_S6_PS5_21rocsparse_index_base_b,comdat
.Lfunc_end263:
	.size	_ZN9rocsparseL19gebsrmvn_2xn_kernelILj128ELj9ELj4E21rocsparse_complex_numIdEEEvi20rocsparse_direction_NS_24const_host_device_scalarIT2_EEPKiS8_PKS5_SA_S6_PS5_21rocsparse_index_base_b, .Lfunc_end263-_ZN9rocsparseL19gebsrmvn_2xn_kernelILj128ELj9ELj4E21rocsparse_complex_numIdEEEvi20rocsparse_direction_NS_24const_host_device_scalarIT2_EEPKiS8_PKS5_SA_S6_PS5_21rocsparse_index_base_b
                                        ; -- End function
	.set _ZN9rocsparseL19gebsrmvn_2xn_kernelILj128ELj9ELj4E21rocsparse_complex_numIdEEEvi20rocsparse_direction_NS_24const_host_device_scalarIT2_EEPKiS8_PKS5_SA_S6_PS5_21rocsparse_index_base_b.num_vgpr, 97
	.set _ZN9rocsparseL19gebsrmvn_2xn_kernelILj128ELj9ELj4E21rocsparse_complex_numIdEEEvi20rocsparse_direction_NS_24const_host_device_scalarIT2_EEPKiS8_PKS5_SA_S6_PS5_21rocsparse_index_base_b.num_agpr, 0
	.set _ZN9rocsparseL19gebsrmvn_2xn_kernelILj128ELj9ELj4E21rocsparse_complex_numIdEEEvi20rocsparse_direction_NS_24const_host_device_scalarIT2_EEPKiS8_PKS5_SA_S6_PS5_21rocsparse_index_base_b.numbered_sgpr, 14
	.set _ZN9rocsparseL19gebsrmvn_2xn_kernelILj128ELj9ELj4E21rocsparse_complex_numIdEEEvi20rocsparse_direction_NS_24const_host_device_scalarIT2_EEPKiS8_PKS5_SA_S6_PS5_21rocsparse_index_base_b.num_named_barrier, 0
	.set _ZN9rocsparseL19gebsrmvn_2xn_kernelILj128ELj9ELj4E21rocsparse_complex_numIdEEEvi20rocsparse_direction_NS_24const_host_device_scalarIT2_EEPKiS8_PKS5_SA_S6_PS5_21rocsparse_index_base_b.private_seg_size, 0
	.set _ZN9rocsparseL19gebsrmvn_2xn_kernelILj128ELj9ELj4E21rocsparse_complex_numIdEEEvi20rocsparse_direction_NS_24const_host_device_scalarIT2_EEPKiS8_PKS5_SA_S6_PS5_21rocsparse_index_base_b.uses_vcc, 1
	.set _ZN9rocsparseL19gebsrmvn_2xn_kernelILj128ELj9ELj4E21rocsparse_complex_numIdEEEvi20rocsparse_direction_NS_24const_host_device_scalarIT2_EEPKiS8_PKS5_SA_S6_PS5_21rocsparse_index_base_b.uses_flat_scratch, 0
	.set _ZN9rocsparseL19gebsrmvn_2xn_kernelILj128ELj9ELj4E21rocsparse_complex_numIdEEEvi20rocsparse_direction_NS_24const_host_device_scalarIT2_EEPKiS8_PKS5_SA_S6_PS5_21rocsparse_index_base_b.has_dyn_sized_stack, 0
	.set _ZN9rocsparseL19gebsrmvn_2xn_kernelILj128ELj9ELj4E21rocsparse_complex_numIdEEEvi20rocsparse_direction_NS_24const_host_device_scalarIT2_EEPKiS8_PKS5_SA_S6_PS5_21rocsparse_index_base_b.has_recursion, 0
	.set _ZN9rocsparseL19gebsrmvn_2xn_kernelILj128ELj9ELj4E21rocsparse_complex_numIdEEEvi20rocsparse_direction_NS_24const_host_device_scalarIT2_EEPKiS8_PKS5_SA_S6_PS5_21rocsparse_index_base_b.has_indirect_call, 0
	.section	.AMDGPU.csdata,"",@progbits
; Kernel info:
; codeLenInByte = 3128
; TotalNumSgprs: 16
; NumVgprs: 97
; ScratchSize: 0
; MemoryBound: 0
; FloatMode: 240
; IeeeMode: 1
; LDSByteSize: 0 bytes/workgroup (compile time only)
; SGPRBlocks: 0
; VGPRBlocks: 6
; NumSGPRsForWavesPerEU: 16
; NumVGPRsForWavesPerEU: 97
; NamedBarCnt: 0
; Occupancy: 9
; WaveLimiterHint : 1
; COMPUTE_PGM_RSRC2:SCRATCH_EN: 0
; COMPUTE_PGM_RSRC2:USER_SGPR: 2
; COMPUTE_PGM_RSRC2:TRAP_HANDLER: 0
; COMPUTE_PGM_RSRC2:TGID_X_EN: 1
; COMPUTE_PGM_RSRC2:TGID_Y_EN: 0
; COMPUTE_PGM_RSRC2:TGID_Z_EN: 0
; COMPUTE_PGM_RSRC2:TIDIG_COMP_CNT: 0
	.section	.text._ZN9rocsparseL19gebsrmvn_2xn_kernelILj128ELj9ELj8E21rocsparse_complex_numIdEEEvi20rocsparse_direction_NS_24const_host_device_scalarIT2_EEPKiS8_PKS5_SA_S6_PS5_21rocsparse_index_base_b,"axG",@progbits,_ZN9rocsparseL19gebsrmvn_2xn_kernelILj128ELj9ELj8E21rocsparse_complex_numIdEEEvi20rocsparse_direction_NS_24const_host_device_scalarIT2_EEPKiS8_PKS5_SA_S6_PS5_21rocsparse_index_base_b,comdat
	.globl	_ZN9rocsparseL19gebsrmvn_2xn_kernelILj128ELj9ELj8E21rocsparse_complex_numIdEEEvi20rocsparse_direction_NS_24const_host_device_scalarIT2_EEPKiS8_PKS5_SA_S6_PS5_21rocsparse_index_base_b ; -- Begin function _ZN9rocsparseL19gebsrmvn_2xn_kernelILj128ELj9ELj8E21rocsparse_complex_numIdEEEvi20rocsparse_direction_NS_24const_host_device_scalarIT2_EEPKiS8_PKS5_SA_S6_PS5_21rocsparse_index_base_b
	.p2align	8
	.type	_ZN9rocsparseL19gebsrmvn_2xn_kernelILj128ELj9ELj8E21rocsparse_complex_numIdEEEvi20rocsparse_direction_NS_24const_host_device_scalarIT2_EEPKiS8_PKS5_SA_S6_PS5_21rocsparse_index_base_b,@function
_ZN9rocsparseL19gebsrmvn_2xn_kernelILj128ELj9ELj8E21rocsparse_complex_numIdEEEvi20rocsparse_direction_NS_24const_host_device_scalarIT2_EEPKiS8_PKS5_SA_S6_PS5_21rocsparse_index_base_b: ; @_ZN9rocsparseL19gebsrmvn_2xn_kernelILj128ELj9ELj8E21rocsparse_complex_numIdEEEvi20rocsparse_direction_NS_24const_host_device_scalarIT2_EEPKiS8_PKS5_SA_S6_PS5_21rocsparse_index_base_b
; %bb.0:
	s_clause 0x1
	s_load_b64 s[12:13], s[0:1], 0x50
	s_load_b64 s[2:3], s[0:1], 0x8
	v_mov_b32_e32 v1, 0
	s_add_nc_u64 s[4:5], s[0:1], 8
	s_load_b64 s[6:7], s[0:1], 0x38
	s_wait_kmcnt 0x0
	s_bitcmp1_b32 s13, 0
	s_cselect_b32 s3, s5, s3
	s_cselect_b32 s2, s4, s2
	flat_load_b128 v[2:5], v1, s[2:3]
	s_wait_xcnt 0x0
	s_add_nc_u64 s[2:3], s[0:1], 56
	s_delay_alu instid0(SALU_CYCLE_1)
	s_cselect_b32 s3, s3, s7
	s_cselect_b32 s2, s2, s6
	flat_load_b128 v[6:9], v1, s[2:3]
	s_wait_loadcnt_dscnt 0x101
	v_cmp_eq_f64_e32 vcc_lo, 0, v[2:3]
	s_wait_xcnt 0x0
	v_cmp_eq_f64_e64 s2, 0, v[4:5]
	s_and_b32 s4, vcc_lo, s2
	s_mov_b32 s2, -1
	s_and_saveexec_b32 s3, s4
	s_cbranch_execz .LBB264_2
; %bb.1:
	s_wait_loadcnt_dscnt 0x0
	v_cmp_neq_f64_e32 vcc_lo, 1.0, v[6:7]
	v_cmp_neq_f64_e64 s2, 0, v[8:9]
	s_or_b32 s2, vcc_lo, s2
	s_delay_alu instid0(SALU_CYCLE_1)
	s_or_not1_b32 s2, s2, exec_lo
.LBB264_2:
	s_or_b32 exec_lo, exec_lo, s3
	s_and_saveexec_b32 s3, s2
	s_cbranch_execz .LBB264_21
; %bb.3:
	s_load_b64 s[2:3], s[0:1], 0x0
	s_bfe_u32 s4, ttmp6, 0x4000c
	s_and_b32 s5, ttmp6, 15
	s_add_co_i32 s4, s4, 1
	s_getreg_b32 s6, hwreg(HW_REG_IB_STS2, 6, 4)
	s_mul_i32 s4, ttmp9, s4
	v_lshrrev_b32_e32 v1, 3, v0
	s_add_co_i32 s5, s5, s4
	s_cmp_eq_u32 s6, 0
	s_cselect_b32 s4, ttmp9, s5
	s_delay_alu instid0(VALU_DEP_1) | instid1(SALU_CYCLE_1)
	v_lshl_or_b32 v10, s4, 4, v1
	s_wait_kmcnt 0x0
	s_delay_alu instid0(VALU_DEP_1)
	v_cmp_gt_i32_e32 vcc_lo, s2, v10
	s_and_b32 exec_lo, exec_lo, vcc_lo
	s_cbranch_execz .LBB264_21
; %bb.4:
	s_load_b256 s[4:11], s[0:1], 0x18
	v_ashrrev_i32_e32 v11, 31, v10
	s_cmp_lg_u32 s3, 0
	s_wait_kmcnt 0x0
	s_delay_alu instid0(VALU_DEP_1)
	v_lshl_add_u64 v[12:13], v[10:11], 2, s[4:5]
	v_and_b32_e32 v11, 7, v0
	global_load_b64 v[12:13], v[12:13], off
	s_wait_loadcnt 0x0
	v_subrev_nc_u32_e32 v0, s12, v12
	v_subrev_nc_u32_e32 v18, s12, v13
	s_delay_alu instid0(VALU_DEP_2) | instskip(NEXT) | instid1(VALU_DEP_1)
	v_add_nc_u32_e32 v19, v0, v11
	v_cmp_lt_i32_e64 s2, v19, v18
	s_cbranch_scc0 .LBB264_10
; %bb.5:
	v_mov_b64_e32 v[0:1], 0
	v_mov_b64_e32 v[14:15], 0
	;; [unrolled: 1-line block ×4, first 2 shown]
	s_and_saveexec_b32 s3, s2
	s_cbranch_execz .LBB264_9
; %bb.6:
	v_mad_u32 v20, v19, 18, 16
	v_mov_b64_e32 v[0:1], 0
	v_mov_b64_e32 v[14:15], 0
	;; [unrolled: 1-line block ×4, first 2 shown]
	v_mov_b32_e32 v21, v19
	s_mov_b32 s4, 0
.LBB264_7:                              ; =>This Inner Loop Header: Depth=1
	global_load_b32 v22, v21, s[6:7] scale_offset
	v_dual_add_nc_u32 v34, -16, v20 :: v_dual_add_nc_u32 v46, -14, v20
	v_dual_add_nc_u32 v58, -12, v20 :: v_dual_add_nc_u32 v70, -10, v20
	;; [unrolled: 1-line block ×3, first 2 shown]
	s_wait_xcnt 0x0
	v_add_nc_u32_e32 v21, 8, v21
	s_delay_alu instid0(VALU_DEP_1)
	v_cmp_ge_i32_e32 vcc_lo, v21, v18
	s_or_b32 s4, vcc_lo, s4
	s_wait_loadcnt 0x0
	v_subrev_nc_u32_e32 v26, s12, v22
	global_load_b128 v[22:25], v34, s[8:9] offset:16 scale_offset
	v_lshl_add_u32 v96, v26, 3, v26
	global_load_b128 v[26:29], v34, s[8:9] scale_offset
	global_load_b128 v[30:33], v96, s[10:11] scale_offset
	v_dual_add_nc_u32 v47, 1, v96 :: v_dual_add_nc_u32 v59, 2, v96
	global_load_b128 v[34:37], v46, s[8:9] offset:16 scale_offset
	v_dual_add_nc_u32 v71, 3, v96 :: v_dual_add_nc_u32 v83, 4, v96
	global_load_b128 v[38:41], v46, s[8:9] scale_offset
	global_load_b128 v[42:45], v47, s[10:11] scale_offset
	s_clause 0x1
	global_load_b128 v[46:49], v58, s[8:9] offset:16 scale_offset
	global_load_b128 v[50:53], v58, s[8:9] scale_offset
	global_load_b128 v[54:57], v59, s[10:11] scale_offset
	s_clause 0x1
	global_load_b128 v[58:61], v70, s[8:9] offset:16 scale_offset
	;; [unrolled: 4-line block ×4, first 2 shown]
	global_load_b128 v[86:89], v90, s[8:9] scale_offset
	s_wait_xcnt 0x0
	v_add_nc_u32_e32 v90, 5, v96
	global_load_b128 v[90:93], v90, s[10:11] scale_offset
	s_wait_loadcnt 0xf
	v_fmac_f64_e32 v[0:1], v[28:29], v[30:31]
	v_fmac_f64_e32 v[14:15], v[26:27], v[30:31]
	;; [unrolled: 1-line block ×4, first 2 shown]
	s_delay_alu instid0(VALU_DEP_4) | instskip(NEXT) | instid1(VALU_DEP_4)
	v_fmac_f64_e32 v[0:1], v[26:27], v[32:33]
	v_fma_f64 v[30:31], -v[28:29], v[32:33], v[14:15]
	s_delay_alu instid0(VALU_DEP_4) | instskip(NEXT) | instid1(VALU_DEP_4)
	v_fma_f64 v[94:95], -v[24:25], v[32:33], v[16:17]
	v_fmac_f64_e32 v[12:13], v[22:23], v[32:33]
	v_add_nc_u32_e32 v26, -4, v20
	s_wait_loadcnt 0xc
	v_fmac_f64_e32 v[0:1], v[40:41], v[42:43]
	v_fmac_f64_e32 v[30:31], v[38:39], v[42:43]
	;; [unrolled: 1-line block ×4, first 2 shown]
	s_delay_alu instid0(VALU_DEP_4)
	v_fmac_f64_e32 v[0:1], v[38:39], v[44:45]
	v_add_nc_u32_e32 v38, -2, v20
	s_clause 0x1
	global_load_b128 v[14:17], v26, s[8:9] offset:16 scale_offset
	global_load_b128 v[22:25], v26, s[8:9] scale_offset
	s_wait_xcnt 0x0
	v_add_nc_u32_e32 v26, 6, v96
	v_fma_f64 v[42:43], -v[40:41], v[44:45], v[30:31]
	v_fma_f64 v[94:95], -v[36:37], v[44:45], v[94:95]
	v_fmac_f64_e32 v[12:13], v[34:35], v[44:45]
	global_load_b128 v[26:29], v26, s[10:11] scale_offset
	s_clause 0x1
	global_load_b128 v[30:33], v38, s[8:9] offset:16 scale_offset
	global_load_b128 v[34:37], v38, s[8:9] scale_offset
	s_wait_xcnt 0x0
	v_add_nc_u32_e32 v38, 7, v96
	s_wait_loadcnt 0xe
	v_fmac_f64_e32 v[0:1], v[52:53], v[54:55]
	v_fmac_f64_e32 v[42:43], v[50:51], v[54:55]
	;; [unrolled: 1-line block ×4, first 2 shown]
	s_delay_alu instid0(VALU_DEP_4)
	v_fmac_f64_e32 v[0:1], v[50:51], v[56:57]
	v_add_nc_u32_e32 v50, 8, v96
	global_load_b128 v[38:41], v38, s[10:11] scale_offset
	v_fma_f64 v[54:55], -v[52:53], v[56:57], v[42:43]
	v_fma_f64 v[94:95], -v[48:49], v[56:57], v[94:95]
	v_fmac_f64_e32 v[12:13], v[46:47], v[56:57]
	s_clause 0x1
	global_load_b128 v[42:45], v20, s[8:9] offset:16 scale_offset
	global_load_b128 v[46:49], v20, s[8:9] scale_offset
	global_load_b128 v[50:53], v50, s[10:11] scale_offset
	s_wait_xcnt 0x1
	v_add_nc_u32_e32 v20, 0x90, v20
	s_wait_loadcnt 0xf
	v_fmac_f64_e32 v[0:1], v[64:65], v[66:67]
	v_fmac_f64_e32 v[54:55], v[62:63], v[66:67]
	;; [unrolled: 1-line block ×4, first 2 shown]
	s_delay_alu instid0(VALU_DEP_4) | instskip(NEXT) | instid1(VALU_DEP_4)
	v_fmac_f64_e32 v[0:1], v[62:63], v[68:69]
	v_fma_f64 v[54:55], -v[64:65], v[68:69], v[54:55]
	s_delay_alu instid0(VALU_DEP_4) | instskip(NEXT) | instid1(VALU_DEP_4)
	v_fma_f64 v[56:57], -v[60:61], v[68:69], v[94:95]
	v_fmac_f64_e32 v[12:13], v[58:59], v[68:69]
	s_wait_loadcnt 0xc
	s_delay_alu instid0(VALU_DEP_4) | instskip(NEXT) | instid1(VALU_DEP_4)
	v_fmac_f64_e32 v[0:1], v[76:77], v[78:79]
	v_fmac_f64_e32 v[54:55], v[74:75], v[78:79]
	s_delay_alu instid0(VALU_DEP_4) | instskip(NEXT) | instid1(VALU_DEP_4)
	v_fmac_f64_e32 v[56:57], v[70:71], v[78:79]
	v_fmac_f64_e32 v[12:13], v[72:73], v[78:79]
	s_delay_alu instid0(VALU_DEP_4) | instskip(NEXT) | instid1(VALU_DEP_4)
	v_fmac_f64_e32 v[0:1], v[74:75], v[80:81]
	v_fma_f64 v[54:55], -v[76:77], v[80:81], v[54:55]
	s_delay_alu instid0(VALU_DEP_4) | instskip(NEXT) | instid1(VALU_DEP_4)
	v_fma_f64 v[56:57], -v[72:73], v[80:81], v[56:57]
	v_fmac_f64_e32 v[12:13], v[70:71], v[80:81]
	s_wait_loadcnt 0x9
	s_delay_alu instid0(VALU_DEP_4) | instskip(NEXT) | instid1(VALU_DEP_4)
	v_fmac_f64_e32 v[0:1], v[88:89], v[90:91]
	v_fmac_f64_e32 v[54:55], v[86:87], v[90:91]
	s_delay_alu instid0(VALU_DEP_4) | instskip(NEXT) | instid1(VALU_DEP_4)
	v_fmac_f64_e32 v[56:57], v[82:83], v[90:91]
	v_fmac_f64_e32 v[12:13], v[84:85], v[90:91]
	s_delay_alu instid0(VALU_DEP_4) | instskip(NEXT) | instid1(VALU_DEP_4)
	v_fmac_f64_e32 v[0:1], v[86:87], v[92:93]
	v_fma_f64 v[54:55], -v[88:89], v[92:93], v[54:55]
	s_delay_alu instid0(VALU_DEP_4) | instskip(NEXT) | instid1(VALU_DEP_4)
	v_fma_f64 v[56:57], -v[84:85], v[92:93], v[56:57]
	v_fmac_f64_e32 v[12:13], v[82:83], v[92:93]
	s_wait_loadcnt 0x6
	s_delay_alu instid0(VALU_DEP_3) | instskip(SKIP_1) | instid1(VALU_DEP_4)
	v_fmac_f64_e32 v[54:55], v[22:23], v[26:27]
	v_fmac_f64_e32 v[0:1], v[24:25], v[26:27]
	v_fmac_f64_e32 v[56:57], v[14:15], v[26:27]
	s_delay_alu instid0(VALU_DEP_4) | instskip(NEXT) | instid1(VALU_DEP_4)
	v_fmac_f64_e32 v[12:13], v[16:17], v[26:27]
	v_fma_f64 v[24:25], -v[24:25], v[28:29], v[54:55]
	s_delay_alu instid0(VALU_DEP_4) | instskip(NEXT) | instid1(VALU_DEP_4)
	v_fmac_f64_e32 v[0:1], v[22:23], v[28:29]
	v_fma_f64 v[16:17], -v[16:17], v[28:29], v[56:57]
	s_delay_alu instid0(VALU_DEP_4) | instskip(SKIP_1) | instid1(VALU_DEP_4)
	v_fmac_f64_e32 v[12:13], v[14:15], v[28:29]
	s_wait_loadcnt 0x3
	v_fmac_f64_e32 v[24:25], v[34:35], v[38:39]
	s_delay_alu instid0(VALU_DEP_4) | instskip(NEXT) | instid1(VALU_DEP_4)
	v_fmac_f64_e32 v[0:1], v[36:37], v[38:39]
	v_fmac_f64_e32 v[16:17], v[30:31], v[38:39]
	s_delay_alu instid0(VALU_DEP_4) | instskip(NEXT) | instid1(VALU_DEP_4)
	v_fmac_f64_e32 v[12:13], v[32:33], v[38:39]
	v_fma_f64 v[14:15], -v[36:37], v[40:41], v[24:25]
	s_delay_alu instid0(VALU_DEP_4) | instskip(NEXT) | instid1(VALU_DEP_4)
	v_fmac_f64_e32 v[0:1], v[34:35], v[40:41]
	v_fma_f64 v[16:17], -v[32:33], v[40:41], v[16:17]
	s_delay_alu instid0(VALU_DEP_4) | instskip(SKIP_1) | instid1(VALU_DEP_4)
	v_fmac_f64_e32 v[12:13], v[30:31], v[40:41]
	s_wait_loadcnt 0x0
	v_fmac_f64_e32 v[14:15], v[46:47], v[50:51]
	s_delay_alu instid0(VALU_DEP_4) | instskip(NEXT) | instid1(VALU_DEP_4)
	v_fmac_f64_e32 v[0:1], v[48:49], v[50:51]
	v_fmac_f64_e32 v[16:17], v[42:43], v[50:51]
	s_delay_alu instid0(VALU_DEP_4) | instskip(NEXT) | instid1(VALU_DEP_4)
	v_fmac_f64_e32 v[12:13], v[44:45], v[50:51]
	v_fma_f64 v[14:15], -v[48:49], v[52:53], v[14:15]
	s_delay_alu instid0(VALU_DEP_4) | instskip(NEXT) | instid1(VALU_DEP_4)
	v_fmac_f64_e32 v[0:1], v[46:47], v[52:53]
	v_fma_f64 v[16:17], -v[44:45], v[52:53], v[16:17]
	s_delay_alu instid0(VALU_DEP_4)
	v_fmac_f64_e32 v[12:13], v[42:43], v[52:53]
	s_and_not1_b32 exec_lo, exec_lo, s4
	s_cbranch_execnz .LBB264_7
; %bb.8:
	s_or_b32 exec_lo, exec_lo, s4
.LBB264_9:
	s_delay_alu instid0(SALU_CYCLE_1)
	s_or_b32 exec_lo, exec_lo, s3
	s_cbranch_execz .LBB264_11
	s_branch .LBB264_16
.LBB264_10:
                                        ; implicit-def: $vgpr0_vgpr1
                                        ; implicit-def: $vgpr14_vgpr15
                                        ; implicit-def: $vgpr16_vgpr17
                                        ; implicit-def: $vgpr12_vgpr13
.LBB264_11:
	v_mov_b64_e32 v[0:1], 0
	v_mov_b64_e32 v[14:15], 0
	;; [unrolled: 1-line block ×4, first 2 shown]
	s_and_saveexec_b32 s3, s2
	s_cbranch_execz .LBB264_15
; %bb.12:
	v_mad_u32 v20, v19, 18, 17
	v_mov_b64_e32 v[0:1], 0
	v_mov_b64_e32 v[14:15], 0
	;; [unrolled: 1-line block ×4, first 2 shown]
	s_mov_b32 s2, 0
.LBB264_13:                             ; =>This Inner Loop Header: Depth=1
	global_load_b32 v21, v19, s[6:7] scale_offset
	v_subrev_nc_u32_e32 v26, 17, v20
	v_dual_add_nc_u32 v38, -8, v20 :: v_dual_add_nc_u32 v46, -7, v20
	v_dual_add_nc_u32 v90, -12, v20 :: v_dual_add_nc_u32 v91, -3, v20
	s_clause 0x1
	global_load_b128 v[22:25], v26, s[8:9] offset:16 scale_offset
	global_load_b128 v[26:29], v26, s[8:9] scale_offset
	v_dual_add_nc_u32 v70, -5, v20 :: v_dual_add_nc_u32 v19, 8, v19
	s_delay_alu instid0(VALU_DEP_1) | instskip(SKIP_3) | instid1(VALU_DEP_1)
	v_cmp_ge_i32_e32 vcc_lo, v19, v18
	s_or_b32 s2, vcc_lo, s2
	s_wait_loadcnt 0x2
	v_subrev_nc_u32_e32 v21, s12, v21
	v_lshl_add_u32 v21, v21, 3, v21
	global_load_b128 v[30:33], v38, s[8:9] scale_offset
	global_load_b128 v[34:37], v21, s[10:11] scale_offset
	v_add_nc_u32_e32 v47, 1, v21
	global_load_b128 v[38:41], v46, s[8:9] scale_offset
	global_load_b128 v[42:45], v47, s[10:11] scale_offset
	s_wait_xcnt 0x1
	v_dual_add_nc_u32 v46, -15, v20 :: v_dual_add_nc_u32 v58, -6, v20
	v_dual_add_nc_u32 v59, 2, v21 :: v_dual_add_nc_u32 v71, 3, v21
	v_dual_add_nc_u32 v82, -4, v20 :: v_dual_add_nc_u32 v83, 4, v21
	s_clause 0x1
	global_load_b128 v[46:49], v46, s[8:9] scale_offset
	global_load_b128 v[50:53], v58, s[8:9] scale_offset
	;; [unrolled: 1-line block ×3, first 2 shown]
	s_wait_xcnt 0x1
	v_add_nc_u32_e32 v58, -14, v20
	s_clause 0x1
	global_load_b128 v[58:61], v58, s[8:9] scale_offset
	global_load_b128 v[62:65], v70, s[8:9] scale_offset
	;; [unrolled: 1-line block ×3, first 2 shown]
	s_wait_xcnt 0x1
	v_add_nc_u32_e32 v70, -13, v20
	s_clause 0x1
	global_load_b128 v[70:73], v70, s[8:9] scale_offset
	global_load_b128 v[74:77], v82, s[8:9] scale_offset
	;; [unrolled: 1-line block ×3, first 2 shown]
	s_clause 0x1
	global_load_b128 v[82:85], v90, s[8:9] scale_offset
	global_load_b128 v[86:89], v91, s[8:9] scale_offset
	s_wait_xcnt 0x1
	v_add_nc_u32_e32 v90, 5, v21
	s_wait_loadcnt 0xd
	v_fmac_f64_e32 v[12:13], v[32:33], v[34:35]
	v_fmac_f64_e32 v[14:15], v[26:27], v[34:35]
	;; [unrolled: 1-line block ×4, first 2 shown]
	s_delay_alu instid0(VALU_DEP_4)
	v_fmac_f64_e32 v[12:13], v[30:31], v[36:37]
	v_add_nc_u32_e32 v30, -11, v20
	global_load_b128 v[90:93], v90, s[10:11] scale_offset
	v_fma_f64 v[34:35], -v[28:29], v[36:37], v[14:15]
	v_fmac_f64_e32 v[0:1], v[26:27], v[36:37]
	v_fma_f64 v[94:95], -v[32:33], v[36:37], v[16:17]
	v_add_nc_u32_e32 v31, -2, v20
	s_clause 0x1
	global_load_b128 v[14:17], v30, s[8:9] scale_offset
	global_load_b128 v[26:29], v31, s[8:9] scale_offset
	s_wait_xcnt 0x1
	v_add_nc_u32_e32 v30, 6, v21
	global_load_b128 v[30:33], v30, s[10:11] scale_offset
	s_wait_loadcnt 0xf
	v_fmac_f64_e32 v[12:13], v[40:41], v[42:43]
	v_fmac_f64_e32 v[34:35], v[22:23], v[42:43]
	;; [unrolled: 1-line block ×4, first 2 shown]
	s_delay_alu instid0(VALU_DEP_4)
	v_fmac_f64_e32 v[12:13], v[38:39], v[44:45]
	v_dual_add_nc_u32 v38, -10, v20 :: v_dual_add_nc_u32 v39, -1, v20
	v_fma_f64 v[42:43], -v[24:25], v[44:45], v[34:35]
	v_fmac_f64_e32 v[0:1], v[22:23], v[44:45]
	v_fma_f64 v[94:95], -v[40:41], v[44:45], v[94:95]
	s_clause 0x1
	global_load_b128 v[22:25], v38, s[8:9] scale_offset
	global_load_b128 v[34:37], v39, s[8:9] scale_offset
	s_wait_xcnt 0x1
	v_dual_add_nc_u32 v38, 7, v21 :: v_dual_add_nc_u32 v21, 8, v21
	s_wait_loadcnt 0xe
	v_fmac_f64_e32 v[12:13], v[52:53], v[54:55]
	v_fmac_f64_e32 v[42:43], v[46:47], v[54:55]
	;; [unrolled: 1-line block ×4, first 2 shown]
	s_delay_alu instid0(VALU_DEP_4)
	v_fmac_f64_e32 v[12:13], v[50:51], v[56:57]
	v_add_nc_u32_e32 v50, -9, v20
	global_load_b128 v[38:41], v38, s[10:11] scale_offset
	v_fma_f64 v[54:55], -v[48:49], v[56:57], v[42:43]
	v_fmac_f64_e32 v[0:1], v[46:47], v[56:57]
	v_fma_f64 v[94:95], -v[52:53], v[56:57], v[94:95]
	s_clause 0x1
	global_load_b128 v[42:45], v20, s[8:9] scale_offset
	global_load_b128 v[46:49], v50, s[8:9] scale_offset
	;; [unrolled: 1-line block ×3, first 2 shown]
	v_add_nc_u32_e32 v20, 0x90, v20
	s_wait_loadcnt 0xf
	v_fmac_f64_e32 v[12:13], v[64:65], v[66:67]
	v_fmac_f64_e32 v[54:55], v[58:59], v[66:67]
	;; [unrolled: 1-line block ×4, first 2 shown]
	s_delay_alu instid0(VALU_DEP_4) | instskip(NEXT) | instid1(VALU_DEP_4)
	v_fmac_f64_e32 v[12:13], v[62:63], v[68:69]
	v_fma_f64 v[54:55], -v[60:61], v[68:69], v[54:55]
	s_delay_alu instid0(VALU_DEP_4) | instskip(NEXT) | instid1(VALU_DEP_4)
	v_fmac_f64_e32 v[0:1], v[58:59], v[68:69]
	v_fma_f64 v[56:57], -v[64:65], v[68:69], v[94:95]
	s_wait_loadcnt 0xc
	s_delay_alu instid0(VALU_DEP_4) | instskip(NEXT) | instid1(VALU_DEP_4)
	v_fmac_f64_e32 v[12:13], v[76:77], v[78:79]
	v_fmac_f64_e32 v[54:55], v[70:71], v[78:79]
	s_delay_alu instid0(VALU_DEP_4) | instskip(NEXT) | instid1(VALU_DEP_4)
	v_fmac_f64_e32 v[0:1], v[72:73], v[78:79]
	v_fmac_f64_e32 v[56:57], v[74:75], v[78:79]
	s_delay_alu instid0(VALU_DEP_4) | instskip(NEXT) | instid1(VALU_DEP_4)
	v_fmac_f64_e32 v[12:13], v[74:75], v[80:81]
	v_fma_f64 v[54:55], -v[72:73], v[80:81], v[54:55]
	s_delay_alu instid0(VALU_DEP_4) | instskip(NEXT) | instid1(VALU_DEP_4)
	v_fmac_f64_e32 v[0:1], v[70:71], v[80:81]
	v_fma_f64 v[56:57], -v[76:77], v[80:81], v[56:57]
	s_wait_loadcnt 0x9
	s_delay_alu instid0(VALU_DEP_3) | instskip(NEXT) | instid1(VALU_DEP_3)
	v_fmac_f64_e32 v[54:55], v[82:83], v[90:91]
	v_fmac_f64_e32 v[0:1], v[84:85], v[90:91]
	s_delay_alu instid0(VALU_DEP_3) | instskip(SKIP_1) | instid1(VALU_DEP_4)
	v_fmac_f64_e32 v[56:57], v[86:87], v[90:91]
	v_fmac_f64_e32 v[12:13], v[88:89], v[90:91]
	v_fma_f64 v[54:55], -v[84:85], v[92:93], v[54:55]
	s_delay_alu instid0(VALU_DEP_4) | instskip(NEXT) | instid1(VALU_DEP_4)
	v_fmac_f64_e32 v[0:1], v[82:83], v[92:93]
	v_fma_f64 v[56:57], -v[88:89], v[92:93], v[56:57]
	s_delay_alu instid0(VALU_DEP_4) | instskip(SKIP_1) | instid1(VALU_DEP_4)
	v_fmac_f64_e32 v[12:13], v[86:87], v[92:93]
	s_wait_loadcnt 0x6
	v_fmac_f64_e32 v[54:55], v[14:15], v[30:31]
	s_delay_alu instid0(VALU_DEP_4) | instskip(NEXT) | instid1(VALU_DEP_4)
	v_fmac_f64_e32 v[0:1], v[16:17], v[30:31]
	v_fmac_f64_e32 v[56:57], v[26:27], v[30:31]
	s_delay_alu instid0(VALU_DEP_4) | instskip(NEXT) | instid1(VALU_DEP_4)
	v_fmac_f64_e32 v[12:13], v[28:29], v[30:31]
	v_fma_f64 v[16:17], -v[16:17], v[32:33], v[54:55]
	s_delay_alu instid0(VALU_DEP_4) | instskip(NEXT) | instid1(VALU_DEP_4)
	v_fmac_f64_e32 v[0:1], v[14:15], v[32:33]
	v_fma_f64 v[14:15], -v[28:29], v[32:33], v[56:57]
	s_delay_alu instid0(VALU_DEP_4) | instskip(SKIP_1) | instid1(VALU_DEP_4)
	v_fmac_f64_e32 v[12:13], v[26:27], v[32:33]
	s_wait_loadcnt 0x3
	v_fmac_f64_e32 v[16:17], v[22:23], v[38:39]
	s_delay_alu instid0(VALU_DEP_4) | instskip(NEXT) | instid1(VALU_DEP_4)
	v_fmac_f64_e32 v[0:1], v[24:25], v[38:39]
	v_fmac_f64_e32 v[14:15], v[34:35], v[38:39]
	s_delay_alu instid0(VALU_DEP_4) | instskip(NEXT) | instid1(VALU_DEP_4)
	;; [unrolled: 13-line block ×3, first 2 shown]
	v_fmac_f64_e32 v[12:13], v[44:45], v[50:51]
	v_fma_f64 v[14:15], -v[48:49], v[52:53], v[16:17]
	s_delay_alu instid0(VALU_DEP_4) | instskip(NEXT) | instid1(VALU_DEP_4)
	v_fmac_f64_e32 v[0:1], v[46:47], v[52:53]
	v_fma_f64 v[16:17], -v[44:45], v[52:53], v[22:23]
	s_delay_alu instid0(VALU_DEP_4)
	v_fmac_f64_e32 v[12:13], v[42:43], v[52:53]
	s_and_not1_b32 exec_lo, exec_lo, s2
	s_cbranch_execnz .LBB264_13
; %bb.14:
	s_or_b32 exec_lo, exec_lo, s2
.LBB264_15:
	s_delay_alu instid0(SALU_CYCLE_1)
	s_or_b32 exec_lo, exec_lo, s3
.LBB264_16:
	v_mbcnt_lo_u32_b32 v28, -1, 0
	s_delay_alu instid0(VALU_DEP_1) | instskip(NEXT) | instid1(VALU_DEP_1)
	v_xor_b32_e32 v18, 4, v28
	v_cmp_gt_i32_e32 vcc_lo, 32, v18
	v_cndmask_b32_e32 v18, v28, v18, vcc_lo
	s_delay_alu instid0(VALU_DEP_1)
	v_lshlrev_b32_e32 v25, 2, v18
	ds_bpermute_b32 v18, v25, v14
	ds_bpermute_b32 v19, v25, v15
	ds_bpermute_b32 v20, v25, v0
	ds_bpermute_b32 v21, v25, v1
	s_wait_dscnt 0x2
	v_add_f64_e32 v[14:15], v[14:15], v[18:19]
	s_wait_dscnt 0x0
	v_add_f64_e32 v[18:19], v[0:1], v[20:21]
	ds_bpermute_b32 v22, v25, v16
	ds_bpermute_b32 v23, v25, v17
	;; [unrolled: 1-line block ×4, first 2 shown]
	v_xor_b32_e32 v0, 2, v28
	s_delay_alu instid0(VALU_DEP_1)
	v_cmp_gt_i32_e32 vcc_lo, 32, v0
	v_cndmask_b32_e32 v0, v28, v0, vcc_lo
	s_wait_dscnt 0x2
	v_add_f64_e32 v[20:21], v[16:17], v[22:23]
	s_wait_dscnt 0x0
	v_add_f64_e32 v[22:23], v[12:13], v[24:25]
	v_lshlrev_b32_e32 v16, 2, v0
	ds_bpermute_b32 v0, v16, v14
	ds_bpermute_b32 v1, v16, v15
	;; [unrolled: 1-line block ×8, first 2 shown]
	s_wait_dscnt 0x4
	v_add_f64_e32 v[16:17], v[18:19], v[12:13]
	v_xor_b32_e32 v18, 1, v28
	s_delay_alu instid0(VALU_DEP_1) | instskip(SKIP_3) | instid1(VALU_DEP_2)
	v_cmp_gt_i32_e32 vcc_lo, 32, v18
	v_dual_add_f64 v[0:1], v[14:15], v[0:1] :: v_dual_cndmask_b32 v18, v28, v18, vcc_lo
	v_cmp_eq_u32_e32 vcc_lo, 7, v11
	s_wait_dscnt 0x2
	v_dual_add_f64 v[12:13], v[20:21], v[24:25] :: v_dual_lshlrev_b32 v21, 2, v18
	s_wait_dscnt 0x0
	v_add_f64_e32 v[14:15], v[22:23], v[26:27]
	ds_bpermute_b32 v22, v21, v16
	ds_bpermute_b32 v23, v21, v17
	;; [unrolled: 1-line block ×8, first 2 shown]
	s_and_b32 exec_lo, exec_lo, vcc_lo
	s_cbranch_execz .LBB264_21
; %bb.17:
	v_cmp_eq_f64_e32 vcc_lo, 0, v[6:7]
	v_cmp_eq_f64_e64 s2, 0, v[8:9]
	s_wait_dscnt 0x4
	v_add_f64_e32 v[0:1], v[0:1], v[24:25]
	v_add_f64_e32 v[16:17], v[16:17], v[22:23]
	s_wait_dscnt 0x2
	v_add_f64_e32 v[12:13], v[12:13], v[18:19]
	s_wait_dscnt 0x0
	v_add_f64_e32 v[14:15], v[14:15], v[20:21]
	s_load_b64 s[0:1], s[0:1], 0x48
	s_and_b32 s2, vcc_lo, s2
	s_delay_alu instid0(SALU_CYCLE_1) | instskip(NEXT) | instid1(SALU_CYCLE_1)
	s_and_saveexec_b32 s3, s2
	s_xor_b32 s2, exec_lo, s3
	s_cbranch_execz .LBB264_19
; %bb.18:
	s_delay_alu instid0(VALU_DEP_3) | instskip(SKIP_1) | instid1(VALU_DEP_3)
	v_mul_f64_e64 v[6:7], v[16:17], -v[4:5]
	v_mul_f64_e32 v[8:9], v[2:3], v[16:17]
	v_mul_f64_e64 v[16:17], v[14:15], -v[4:5]
	v_mul_f64_e32 v[18:19], v[2:3], v[14:15]
                                        ; implicit-def: $vgpr14_vgpr15
	s_delay_alu instid0(VALU_DEP_4) | instskip(NEXT) | instid1(VALU_DEP_4)
	v_fmac_f64_e32 v[6:7], v[2:3], v[0:1]
	v_fmac_f64_e32 v[8:9], v[4:5], v[0:1]
	s_delay_alu instid0(VALU_DEP_4) | instskip(NEXT) | instid1(VALU_DEP_4)
	v_fmac_f64_e32 v[16:17], v[2:3], v[12:13]
	v_fmac_f64_e32 v[18:19], v[4:5], v[12:13]
	v_lshlrev_b32_e32 v0, 1, v10
                                        ; implicit-def: $vgpr10
                                        ; implicit-def: $vgpr12_vgpr13
                                        ; implicit-def: $vgpr4_vgpr5
	s_wait_kmcnt 0x0
	s_clause 0x1
	global_store_b128 v0, v[6:9], s[0:1] scale_offset
	global_store_b128 v0, v[16:19], s[0:1] offset:16 scale_offset
                                        ; implicit-def: $vgpr0_vgpr1
                                        ; implicit-def: $vgpr16_vgpr17
                                        ; implicit-def: $vgpr8_vgpr9
.LBB264_19:
	s_wait_xcnt 0x0
	s_and_not1_saveexec_b32 s2, s2
	s_cbranch_execz .LBB264_21
; %bb.20:
	s_delay_alu instid0(VALU_DEP_3) | instskip(SKIP_1) | instid1(VALU_DEP_3)
	v_dual_mul_f64 v[26:27], v[16:17], -v[4:5] :: v_dual_lshlrev_b32 v30, 1, v10
	v_mul_f64_e32 v[16:17], v[2:3], v[16:17]
	v_mul_f64_e64 v[28:29], v[14:15], -v[4:5]
	v_mul_f64_e32 v[10:11], v[2:3], v[14:15]
	s_wait_kmcnt 0x0
	s_clause 0x1
	global_load_b128 v[18:21], v30, s[0:1] scale_offset
	global_load_b128 v[22:25], v30, s[0:1] offset:16 scale_offset
	v_fmac_f64_e32 v[26:27], v[2:3], v[0:1]
	v_fmac_f64_e32 v[16:17], v[4:5], v[0:1]
	;; [unrolled: 1-line block ×4, first 2 shown]
	s_wait_loadcnt 0x1
	s_delay_alu instid0(VALU_DEP_4) | instskip(NEXT) | instid1(VALU_DEP_4)
	v_fmac_f64_e32 v[26:27], v[6:7], v[18:19]
	v_fmac_f64_e32 v[16:17], v[8:9], v[18:19]
	s_wait_loadcnt 0x0
	s_delay_alu instid0(VALU_DEP_4) | instskip(NEXT) | instid1(VALU_DEP_4)
	v_fmac_f64_e32 v[28:29], v[6:7], v[22:23]
	v_fmac_f64_e32 v[10:11], v[8:9], v[22:23]
	s_delay_alu instid0(VALU_DEP_4) | instskip(NEXT) | instid1(VALU_DEP_4)
	v_fma_f64 v[14:15], -v[8:9], v[20:21], v[26:27]
	v_fmac_f64_e32 v[16:17], v[6:7], v[20:21]
	s_delay_alu instid0(VALU_DEP_4) | instskip(NEXT) | instid1(VALU_DEP_4)
	v_fma_f64 v[8:9], -v[8:9], v[24:25], v[28:29]
	v_fmac_f64_e32 v[10:11], v[6:7], v[24:25]
	s_clause 0x1
	global_store_b128 v30, v[14:17], s[0:1] scale_offset
	global_store_b128 v30, v[8:11], s[0:1] offset:16 scale_offset
.LBB264_21:
	s_sendmsg sendmsg(MSG_DEALLOC_VGPRS)
	s_endpgm
	.section	.rodata,"a",@progbits
	.p2align	6, 0x0
	.amdhsa_kernel _ZN9rocsparseL19gebsrmvn_2xn_kernelILj128ELj9ELj8E21rocsparse_complex_numIdEEEvi20rocsparse_direction_NS_24const_host_device_scalarIT2_EEPKiS8_PKS5_SA_S6_PS5_21rocsparse_index_base_b
		.amdhsa_group_segment_fixed_size 0
		.amdhsa_private_segment_fixed_size 0
		.amdhsa_kernarg_size 88
		.amdhsa_user_sgpr_count 2
		.amdhsa_user_sgpr_dispatch_ptr 0
		.amdhsa_user_sgpr_queue_ptr 0
		.amdhsa_user_sgpr_kernarg_segment_ptr 1
		.amdhsa_user_sgpr_dispatch_id 0
		.amdhsa_user_sgpr_kernarg_preload_length 0
		.amdhsa_user_sgpr_kernarg_preload_offset 0
		.amdhsa_user_sgpr_private_segment_size 0
		.amdhsa_wavefront_size32 1
		.amdhsa_uses_dynamic_stack 0
		.amdhsa_enable_private_segment 0
		.amdhsa_system_sgpr_workgroup_id_x 1
		.amdhsa_system_sgpr_workgroup_id_y 0
		.amdhsa_system_sgpr_workgroup_id_z 0
		.amdhsa_system_sgpr_workgroup_info 0
		.amdhsa_system_vgpr_workitem_id 0
		.amdhsa_next_free_vgpr 97
		.amdhsa_next_free_sgpr 14
		.amdhsa_named_barrier_count 0
		.amdhsa_reserve_vcc 1
		.amdhsa_float_round_mode_32 0
		.amdhsa_float_round_mode_16_64 0
		.amdhsa_float_denorm_mode_32 3
		.amdhsa_float_denorm_mode_16_64 3
		.amdhsa_fp16_overflow 0
		.amdhsa_memory_ordered 1
		.amdhsa_forward_progress 1
		.amdhsa_inst_pref_size 26
		.amdhsa_round_robin_scheduling 0
		.amdhsa_exception_fp_ieee_invalid_op 0
		.amdhsa_exception_fp_denorm_src 0
		.amdhsa_exception_fp_ieee_div_zero 0
		.amdhsa_exception_fp_ieee_overflow 0
		.amdhsa_exception_fp_ieee_underflow 0
		.amdhsa_exception_fp_ieee_inexact 0
		.amdhsa_exception_int_div_zero 0
	.end_amdhsa_kernel
	.section	.text._ZN9rocsparseL19gebsrmvn_2xn_kernelILj128ELj9ELj8E21rocsparse_complex_numIdEEEvi20rocsparse_direction_NS_24const_host_device_scalarIT2_EEPKiS8_PKS5_SA_S6_PS5_21rocsparse_index_base_b,"axG",@progbits,_ZN9rocsparseL19gebsrmvn_2xn_kernelILj128ELj9ELj8E21rocsparse_complex_numIdEEEvi20rocsparse_direction_NS_24const_host_device_scalarIT2_EEPKiS8_PKS5_SA_S6_PS5_21rocsparse_index_base_b,comdat
.Lfunc_end264:
	.size	_ZN9rocsparseL19gebsrmvn_2xn_kernelILj128ELj9ELj8E21rocsparse_complex_numIdEEEvi20rocsparse_direction_NS_24const_host_device_scalarIT2_EEPKiS8_PKS5_SA_S6_PS5_21rocsparse_index_base_b, .Lfunc_end264-_ZN9rocsparseL19gebsrmvn_2xn_kernelILj128ELj9ELj8E21rocsparse_complex_numIdEEEvi20rocsparse_direction_NS_24const_host_device_scalarIT2_EEPKiS8_PKS5_SA_S6_PS5_21rocsparse_index_base_b
                                        ; -- End function
	.set _ZN9rocsparseL19gebsrmvn_2xn_kernelILj128ELj9ELj8E21rocsparse_complex_numIdEEEvi20rocsparse_direction_NS_24const_host_device_scalarIT2_EEPKiS8_PKS5_SA_S6_PS5_21rocsparse_index_base_b.num_vgpr, 97
	.set _ZN9rocsparseL19gebsrmvn_2xn_kernelILj128ELj9ELj8E21rocsparse_complex_numIdEEEvi20rocsparse_direction_NS_24const_host_device_scalarIT2_EEPKiS8_PKS5_SA_S6_PS5_21rocsparse_index_base_b.num_agpr, 0
	.set _ZN9rocsparseL19gebsrmvn_2xn_kernelILj128ELj9ELj8E21rocsparse_complex_numIdEEEvi20rocsparse_direction_NS_24const_host_device_scalarIT2_EEPKiS8_PKS5_SA_S6_PS5_21rocsparse_index_base_b.numbered_sgpr, 14
	.set _ZN9rocsparseL19gebsrmvn_2xn_kernelILj128ELj9ELj8E21rocsparse_complex_numIdEEEvi20rocsparse_direction_NS_24const_host_device_scalarIT2_EEPKiS8_PKS5_SA_S6_PS5_21rocsparse_index_base_b.num_named_barrier, 0
	.set _ZN9rocsparseL19gebsrmvn_2xn_kernelILj128ELj9ELj8E21rocsparse_complex_numIdEEEvi20rocsparse_direction_NS_24const_host_device_scalarIT2_EEPKiS8_PKS5_SA_S6_PS5_21rocsparse_index_base_b.private_seg_size, 0
	.set _ZN9rocsparseL19gebsrmvn_2xn_kernelILj128ELj9ELj8E21rocsparse_complex_numIdEEEvi20rocsparse_direction_NS_24const_host_device_scalarIT2_EEPKiS8_PKS5_SA_S6_PS5_21rocsparse_index_base_b.uses_vcc, 1
	.set _ZN9rocsparseL19gebsrmvn_2xn_kernelILj128ELj9ELj8E21rocsparse_complex_numIdEEEvi20rocsparse_direction_NS_24const_host_device_scalarIT2_EEPKiS8_PKS5_SA_S6_PS5_21rocsparse_index_base_b.uses_flat_scratch, 0
	.set _ZN9rocsparseL19gebsrmvn_2xn_kernelILj128ELj9ELj8E21rocsparse_complex_numIdEEEvi20rocsparse_direction_NS_24const_host_device_scalarIT2_EEPKiS8_PKS5_SA_S6_PS5_21rocsparse_index_base_b.has_dyn_sized_stack, 0
	.set _ZN9rocsparseL19gebsrmvn_2xn_kernelILj128ELj9ELj8E21rocsparse_complex_numIdEEEvi20rocsparse_direction_NS_24const_host_device_scalarIT2_EEPKiS8_PKS5_SA_S6_PS5_21rocsparse_index_base_b.has_recursion, 0
	.set _ZN9rocsparseL19gebsrmvn_2xn_kernelILj128ELj9ELj8E21rocsparse_complex_numIdEEEvi20rocsparse_direction_NS_24const_host_device_scalarIT2_EEPKiS8_PKS5_SA_S6_PS5_21rocsparse_index_base_b.has_indirect_call, 0
	.section	.AMDGPU.csdata,"",@progbits
; Kernel info:
; codeLenInByte = 3244
; TotalNumSgprs: 16
; NumVgprs: 97
; ScratchSize: 0
; MemoryBound: 0
; FloatMode: 240
; IeeeMode: 1
; LDSByteSize: 0 bytes/workgroup (compile time only)
; SGPRBlocks: 0
; VGPRBlocks: 6
; NumSGPRsForWavesPerEU: 16
; NumVGPRsForWavesPerEU: 97
; NamedBarCnt: 0
; Occupancy: 9
; WaveLimiterHint : 1
; COMPUTE_PGM_RSRC2:SCRATCH_EN: 0
; COMPUTE_PGM_RSRC2:USER_SGPR: 2
; COMPUTE_PGM_RSRC2:TRAP_HANDLER: 0
; COMPUTE_PGM_RSRC2:TGID_X_EN: 1
; COMPUTE_PGM_RSRC2:TGID_Y_EN: 0
; COMPUTE_PGM_RSRC2:TGID_Z_EN: 0
; COMPUTE_PGM_RSRC2:TIDIG_COMP_CNT: 0
	.section	.text._ZN9rocsparseL19gebsrmvn_2xn_kernelILj128ELj9ELj16E21rocsparse_complex_numIdEEEvi20rocsparse_direction_NS_24const_host_device_scalarIT2_EEPKiS8_PKS5_SA_S6_PS5_21rocsparse_index_base_b,"axG",@progbits,_ZN9rocsparseL19gebsrmvn_2xn_kernelILj128ELj9ELj16E21rocsparse_complex_numIdEEEvi20rocsparse_direction_NS_24const_host_device_scalarIT2_EEPKiS8_PKS5_SA_S6_PS5_21rocsparse_index_base_b,comdat
	.globl	_ZN9rocsparseL19gebsrmvn_2xn_kernelILj128ELj9ELj16E21rocsparse_complex_numIdEEEvi20rocsparse_direction_NS_24const_host_device_scalarIT2_EEPKiS8_PKS5_SA_S6_PS5_21rocsparse_index_base_b ; -- Begin function _ZN9rocsparseL19gebsrmvn_2xn_kernelILj128ELj9ELj16E21rocsparse_complex_numIdEEEvi20rocsparse_direction_NS_24const_host_device_scalarIT2_EEPKiS8_PKS5_SA_S6_PS5_21rocsparse_index_base_b
	.p2align	8
	.type	_ZN9rocsparseL19gebsrmvn_2xn_kernelILj128ELj9ELj16E21rocsparse_complex_numIdEEEvi20rocsparse_direction_NS_24const_host_device_scalarIT2_EEPKiS8_PKS5_SA_S6_PS5_21rocsparse_index_base_b,@function
_ZN9rocsparseL19gebsrmvn_2xn_kernelILj128ELj9ELj16E21rocsparse_complex_numIdEEEvi20rocsparse_direction_NS_24const_host_device_scalarIT2_EEPKiS8_PKS5_SA_S6_PS5_21rocsparse_index_base_b: ; @_ZN9rocsparseL19gebsrmvn_2xn_kernelILj128ELj9ELj16E21rocsparse_complex_numIdEEEvi20rocsparse_direction_NS_24const_host_device_scalarIT2_EEPKiS8_PKS5_SA_S6_PS5_21rocsparse_index_base_b
; %bb.0:
	s_clause 0x1
	s_load_b64 s[12:13], s[0:1], 0x50
	s_load_b64 s[2:3], s[0:1], 0x8
	v_mov_b32_e32 v1, 0
	s_add_nc_u64 s[4:5], s[0:1], 8
	s_load_b64 s[6:7], s[0:1], 0x38
	s_wait_kmcnt 0x0
	s_bitcmp1_b32 s13, 0
	s_cselect_b32 s3, s5, s3
	s_cselect_b32 s2, s4, s2
	flat_load_b128 v[2:5], v1, s[2:3]
	s_wait_xcnt 0x0
	s_add_nc_u64 s[2:3], s[0:1], 56
	s_delay_alu instid0(SALU_CYCLE_1)
	s_cselect_b32 s3, s3, s7
	s_cselect_b32 s2, s2, s6
	flat_load_b128 v[6:9], v1, s[2:3]
	s_wait_loadcnt_dscnt 0x101
	v_cmp_eq_f64_e32 vcc_lo, 0, v[2:3]
	s_wait_xcnt 0x0
	v_cmp_eq_f64_e64 s2, 0, v[4:5]
	s_and_b32 s4, vcc_lo, s2
	s_mov_b32 s2, -1
	s_and_saveexec_b32 s3, s4
	s_cbranch_execz .LBB265_2
; %bb.1:
	s_wait_loadcnt_dscnt 0x0
	v_cmp_neq_f64_e32 vcc_lo, 1.0, v[6:7]
	v_cmp_neq_f64_e64 s2, 0, v[8:9]
	s_or_b32 s2, vcc_lo, s2
	s_delay_alu instid0(SALU_CYCLE_1)
	s_or_not1_b32 s2, s2, exec_lo
.LBB265_2:
	s_or_b32 exec_lo, exec_lo, s3
	s_and_saveexec_b32 s3, s2
	s_cbranch_execz .LBB265_21
; %bb.3:
	s_load_b64 s[2:3], s[0:1], 0x0
	s_bfe_u32 s4, ttmp6, 0x4000c
	s_and_b32 s5, ttmp6, 15
	s_add_co_i32 s4, s4, 1
	s_getreg_b32 s6, hwreg(HW_REG_IB_STS2, 6, 4)
	s_mul_i32 s4, ttmp9, s4
	v_lshrrev_b32_e32 v1, 4, v0
	s_add_co_i32 s5, s5, s4
	s_cmp_eq_u32 s6, 0
	s_cselect_b32 s4, ttmp9, s5
	s_delay_alu instid0(VALU_DEP_1) | instid1(SALU_CYCLE_1)
	v_lshl_or_b32 v10, s4, 3, v1
	s_wait_kmcnt 0x0
	s_delay_alu instid0(VALU_DEP_1)
	v_cmp_gt_i32_e32 vcc_lo, s2, v10
	s_and_b32 exec_lo, exec_lo, vcc_lo
	s_cbranch_execz .LBB265_21
; %bb.4:
	s_load_b256 s[4:11], s[0:1], 0x18
	v_ashrrev_i32_e32 v11, 31, v10
	s_cmp_lg_u32 s3, 0
	s_wait_kmcnt 0x0
	s_delay_alu instid0(VALU_DEP_1)
	v_lshl_add_u64 v[12:13], v[10:11], 2, s[4:5]
	v_and_b32_e32 v11, 15, v0
	global_load_b64 v[12:13], v[12:13], off
	s_wait_loadcnt 0x0
	v_subrev_nc_u32_e32 v0, s12, v12
	v_subrev_nc_u32_e32 v18, s12, v13
	s_delay_alu instid0(VALU_DEP_2) | instskip(NEXT) | instid1(VALU_DEP_1)
	v_add_nc_u32_e32 v19, v0, v11
	v_cmp_lt_i32_e64 s2, v19, v18
	s_cbranch_scc0 .LBB265_10
; %bb.5:
	v_mov_b64_e32 v[0:1], 0
	v_mov_b64_e32 v[14:15], 0
	;; [unrolled: 1-line block ×4, first 2 shown]
	s_and_saveexec_b32 s3, s2
	s_cbranch_execz .LBB265_9
; %bb.6:
	v_mad_u32 v20, v19, 18, 16
	v_mov_b64_e32 v[0:1], 0
	v_mov_b64_e32 v[14:15], 0
	;; [unrolled: 1-line block ×4, first 2 shown]
	v_mov_b32_e32 v21, v19
	s_mov_b32 s4, 0
.LBB265_7:                              ; =>This Inner Loop Header: Depth=1
	global_load_b32 v22, v21, s[6:7] scale_offset
	v_dual_add_nc_u32 v34, -16, v20 :: v_dual_add_nc_u32 v46, -14, v20
	v_dual_add_nc_u32 v58, -12, v20 :: v_dual_add_nc_u32 v70, -10, v20
	;; [unrolled: 1-line block ×3, first 2 shown]
	s_wait_xcnt 0x0
	v_add_nc_u32_e32 v21, 16, v21
	s_delay_alu instid0(VALU_DEP_1)
	v_cmp_ge_i32_e32 vcc_lo, v21, v18
	s_or_b32 s4, vcc_lo, s4
	s_wait_loadcnt 0x0
	v_subrev_nc_u32_e32 v26, s12, v22
	global_load_b128 v[22:25], v34, s[8:9] offset:16 scale_offset
	v_lshl_add_u32 v96, v26, 3, v26
	global_load_b128 v[26:29], v34, s[8:9] scale_offset
	global_load_b128 v[30:33], v96, s[10:11] scale_offset
	v_dual_add_nc_u32 v47, 1, v96 :: v_dual_add_nc_u32 v59, 2, v96
	global_load_b128 v[34:37], v46, s[8:9] offset:16 scale_offset
	v_dual_add_nc_u32 v71, 3, v96 :: v_dual_add_nc_u32 v83, 4, v96
	global_load_b128 v[38:41], v46, s[8:9] scale_offset
	global_load_b128 v[42:45], v47, s[10:11] scale_offset
	s_clause 0x1
	global_load_b128 v[46:49], v58, s[8:9] offset:16 scale_offset
	global_load_b128 v[50:53], v58, s[8:9] scale_offset
	global_load_b128 v[54:57], v59, s[10:11] scale_offset
	s_clause 0x1
	global_load_b128 v[58:61], v70, s[8:9] offset:16 scale_offset
	;; [unrolled: 4-line block ×4, first 2 shown]
	global_load_b128 v[86:89], v90, s[8:9] scale_offset
	s_wait_xcnt 0x0
	v_add_nc_u32_e32 v90, 5, v96
	global_load_b128 v[90:93], v90, s[10:11] scale_offset
	s_wait_loadcnt 0xf
	v_fmac_f64_e32 v[0:1], v[28:29], v[30:31]
	v_fmac_f64_e32 v[14:15], v[26:27], v[30:31]
	;; [unrolled: 1-line block ×4, first 2 shown]
	s_delay_alu instid0(VALU_DEP_4) | instskip(NEXT) | instid1(VALU_DEP_4)
	v_fmac_f64_e32 v[0:1], v[26:27], v[32:33]
	v_fma_f64 v[30:31], -v[28:29], v[32:33], v[14:15]
	s_delay_alu instid0(VALU_DEP_4) | instskip(NEXT) | instid1(VALU_DEP_4)
	v_fma_f64 v[94:95], -v[24:25], v[32:33], v[16:17]
	v_fmac_f64_e32 v[12:13], v[22:23], v[32:33]
	v_add_nc_u32_e32 v26, -4, v20
	s_wait_loadcnt 0xc
	v_fmac_f64_e32 v[0:1], v[40:41], v[42:43]
	v_fmac_f64_e32 v[30:31], v[38:39], v[42:43]
	;; [unrolled: 1-line block ×4, first 2 shown]
	s_delay_alu instid0(VALU_DEP_4)
	v_fmac_f64_e32 v[0:1], v[38:39], v[44:45]
	v_add_nc_u32_e32 v38, -2, v20
	s_clause 0x1
	global_load_b128 v[14:17], v26, s[8:9] offset:16 scale_offset
	global_load_b128 v[22:25], v26, s[8:9] scale_offset
	s_wait_xcnt 0x0
	v_add_nc_u32_e32 v26, 6, v96
	v_fma_f64 v[42:43], -v[40:41], v[44:45], v[30:31]
	v_fma_f64 v[94:95], -v[36:37], v[44:45], v[94:95]
	v_fmac_f64_e32 v[12:13], v[34:35], v[44:45]
	global_load_b128 v[26:29], v26, s[10:11] scale_offset
	s_clause 0x1
	global_load_b128 v[30:33], v38, s[8:9] offset:16 scale_offset
	global_load_b128 v[34:37], v38, s[8:9] scale_offset
	s_wait_xcnt 0x0
	v_add_nc_u32_e32 v38, 7, v96
	s_wait_loadcnt 0xe
	v_fmac_f64_e32 v[0:1], v[52:53], v[54:55]
	v_fmac_f64_e32 v[42:43], v[50:51], v[54:55]
	;; [unrolled: 1-line block ×4, first 2 shown]
	s_delay_alu instid0(VALU_DEP_4)
	v_fmac_f64_e32 v[0:1], v[50:51], v[56:57]
	v_add_nc_u32_e32 v50, 8, v96
	global_load_b128 v[38:41], v38, s[10:11] scale_offset
	v_fma_f64 v[54:55], -v[52:53], v[56:57], v[42:43]
	v_fma_f64 v[94:95], -v[48:49], v[56:57], v[94:95]
	v_fmac_f64_e32 v[12:13], v[46:47], v[56:57]
	s_clause 0x1
	global_load_b128 v[42:45], v20, s[8:9] offset:16 scale_offset
	global_load_b128 v[46:49], v20, s[8:9] scale_offset
	global_load_b128 v[50:53], v50, s[10:11] scale_offset
	s_wait_xcnt 0x1
	v_add_nc_u32_e32 v20, 0x120, v20
	s_wait_loadcnt 0xf
	v_fmac_f64_e32 v[0:1], v[64:65], v[66:67]
	v_fmac_f64_e32 v[54:55], v[62:63], v[66:67]
	;; [unrolled: 1-line block ×4, first 2 shown]
	s_delay_alu instid0(VALU_DEP_4) | instskip(NEXT) | instid1(VALU_DEP_4)
	v_fmac_f64_e32 v[0:1], v[62:63], v[68:69]
	v_fma_f64 v[54:55], -v[64:65], v[68:69], v[54:55]
	s_delay_alu instid0(VALU_DEP_4) | instskip(NEXT) | instid1(VALU_DEP_4)
	v_fma_f64 v[56:57], -v[60:61], v[68:69], v[94:95]
	v_fmac_f64_e32 v[12:13], v[58:59], v[68:69]
	s_wait_loadcnt 0xc
	s_delay_alu instid0(VALU_DEP_4) | instskip(NEXT) | instid1(VALU_DEP_4)
	v_fmac_f64_e32 v[0:1], v[76:77], v[78:79]
	v_fmac_f64_e32 v[54:55], v[74:75], v[78:79]
	s_delay_alu instid0(VALU_DEP_4) | instskip(NEXT) | instid1(VALU_DEP_4)
	v_fmac_f64_e32 v[56:57], v[70:71], v[78:79]
	v_fmac_f64_e32 v[12:13], v[72:73], v[78:79]
	s_delay_alu instid0(VALU_DEP_4) | instskip(NEXT) | instid1(VALU_DEP_4)
	v_fmac_f64_e32 v[0:1], v[74:75], v[80:81]
	v_fma_f64 v[54:55], -v[76:77], v[80:81], v[54:55]
	s_delay_alu instid0(VALU_DEP_4) | instskip(NEXT) | instid1(VALU_DEP_4)
	v_fma_f64 v[56:57], -v[72:73], v[80:81], v[56:57]
	v_fmac_f64_e32 v[12:13], v[70:71], v[80:81]
	s_wait_loadcnt 0x9
	s_delay_alu instid0(VALU_DEP_4) | instskip(NEXT) | instid1(VALU_DEP_4)
	v_fmac_f64_e32 v[0:1], v[88:89], v[90:91]
	v_fmac_f64_e32 v[54:55], v[86:87], v[90:91]
	s_delay_alu instid0(VALU_DEP_4) | instskip(NEXT) | instid1(VALU_DEP_4)
	v_fmac_f64_e32 v[56:57], v[82:83], v[90:91]
	v_fmac_f64_e32 v[12:13], v[84:85], v[90:91]
	s_delay_alu instid0(VALU_DEP_4) | instskip(NEXT) | instid1(VALU_DEP_4)
	v_fmac_f64_e32 v[0:1], v[86:87], v[92:93]
	v_fma_f64 v[54:55], -v[88:89], v[92:93], v[54:55]
	s_delay_alu instid0(VALU_DEP_4) | instskip(NEXT) | instid1(VALU_DEP_4)
	v_fma_f64 v[56:57], -v[84:85], v[92:93], v[56:57]
	v_fmac_f64_e32 v[12:13], v[82:83], v[92:93]
	s_wait_loadcnt 0x6
	s_delay_alu instid0(VALU_DEP_3) | instskip(SKIP_1) | instid1(VALU_DEP_4)
	v_fmac_f64_e32 v[54:55], v[22:23], v[26:27]
	v_fmac_f64_e32 v[0:1], v[24:25], v[26:27]
	;; [unrolled: 1-line block ×3, first 2 shown]
	s_delay_alu instid0(VALU_DEP_4) | instskip(NEXT) | instid1(VALU_DEP_4)
	v_fmac_f64_e32 v[12:13], v[16:17], v[26:27]
	v_fma_f64 v[24:25], -v[24:25], v[28:29], v[54:55]
	s_delay_alu instid0(VALU_DEP_4) | instskip(NEXT) | instid1(VALU_DEP_4)
	v_fmac_f64_e32 v[0:1], v[22:23], v[28:29]
	v_fma_f64 v[16:17], -v[16:17], v[28:29], v[56:57]
	s_delay_alu instid0(VALU_DEP_4) | instskip(SKIP_1) | instid1(VALU_DEP_4)
	v_fmac_f64_e32 v[12:13], v[14:15], v[28:29]
	s_wait_loadcnt 0x3
	v_fmac_f64_e32 v[24:25], v[34:35], v[38:39]
	s_delay_alu instid0(VALU_DEP_4) | instskip(NEXT) | instid1(VALU_DEP_4)
	v_fmac_f64_e32 v[0:1], v[36:37], v[38:39]
	v_fmac_f64_e32 v[16:17], v[30:31], v[38:39]
	s_delay_alu instid0(VALU_DEP_4) | instskip(NEXT) | instid1(VALU_DEP_4)
	v_fmac_f64_e32 v[12:13], v[32:33], v[38:39]
	v_fma_f64 v[14:15], -v[36:37], v[40:41], v[24:25]
	s_delay_alu instid0(VALU_DEP_4) | instskip(NEXT) | instid1(VALU_DEP_4)
	v_fmac_f64_e32 v[0:1], v[34:35], v[40:41]
	v_fma_f64 v[16:17], -v[32:33], v[40:41], v[16:17]
	s_delay_alu instid0(VALU_DEP_4) | instskip(SKIP_1) | instid1(VALU_DEP_4)
	v_fmac_f64_e32 v[12:13], v[30:31], v[40:41]
	s_wait_loadcnt 0x0
	v_fmac_f64_e32 v[14:15], v[46:47], v[50:51]
	s_delay_alu instid0(VALU_DEP_4) | instskip(NEXT) | instid1(VALU_DEP_4)
	v_fmac_f64_e32 v[0:1], v[48:49], v[50:51]
	v_fmac_f64_e32 v[16:17], v[42:43], v[50:51]
	s_delay_alu instid0(VALU_DEP_4) | instskip(NEXT) | instid1(VALU_DEP_4)
	v_fmac_f64_e32 v[12:13], v[44:45], v[50:51]
	v_fma_f64 v[14:15], -v[48:49], v[52:53], v[14:15]
	s_delay_alu instid0(VALU_DEP_4) | instskip(NEXT) | instid1(VALU_DEP_4)
	v_fmac_f64_e32 v[0:1], v[46:47], v[52:53]
	v_fma_f64 v[16:17], -v[44:45], v[52:53], v[16:17]
	s_delay_alu instid0(VALU_DEP_4)
	v_fmac_f64_e32 v[12:13], v[42:43], v[52:53]
	s_and_not1_b32 exec_lo, exec_lo, s4
	s_cbranch_execnz .LBB265_7
; %bb.8:
	s_or_b32 exec_lo, exec_lo, s4
.LBB265_9:
	s_delay_alu instid0(SALU_CYCLE_1)
	s_or_b32 exec_lo, exec_lo, s3
	s_cbranch_execz .LBB265_11
	s_branch .LBB265_16
.LBB265_10:
                                        ; implicit-def: $vgpr0_vgpr1
                                        ; implicit-def: $vgpr14_vgpr15
                                        ; implicit-def: $vgpr16_vgpr17
                                        ; implicit-def: $vgpr12_vgpr13
.LBB265_11:
	v_mov_b64_e32 v[0:1], 0
	v_mov_b64_e32 v[14:15], 0
	;; [unrolled: 1-line block ×4, first 2 shown]
	s_and_saveexec_b32 s3, s2
	s_cbranch_execz .LBB265_15
; %bb.12:
	v_mad_u32 v20, v19, 18, 17
	v_mov_b64_e32 v[0:1], 0
	v_mov_b64_e32 v[14:15], 0
	;; [unrolled: 1-line block ×4, first 2 shown]
	s_mov_b32 s2, 0
.LBB265_13:                             ; =>This Inner Loop Header: Depth=1
	global_load_b32 v21, v19, s[6:7] scale_offset
	v_subrev_nc_u32_e32 v26, 17, v20
	v_dual_add_nc_u32 v38, -8, v20 :: v_dual_add_nc_u32 v46, -7, v20
	v_dual_add_nc_u32 v90, -12, v20 :: v_dual_add_nc_u32 v91, -3, v20
	s_clause 0x1
	global_load_b128 v[22:25], v26, s[8:9] offset:16 scale_offset
	global_load_b128 v[26:29], v26, s[8:9] scale_offset
	v_dual_add_nc_u32 v70, -5, v20 :: v_dual_add_nc_u32 v19, 16, v19
	s_delay_alu instid0(VALU_DEP_1) | instskip(SKIP_3) | instid1(VALU_DEP_1)
	v_cmp_ge_i32_e32 vcc_lo, v19, v18
	s_or_b32 s2, vcc_lo, s2
	s_wait_loadcnt 0x2
	v_subrev_nc_u32_e32 v21, s12, v21
	v_lshl_add_u32 v21, v21, 3, v21
	global_load_b128 v[30:33], v38, s[8:9] scale_offset
	global_load_b128 v[34:37], v21, s[10:11] scale_offset
	v_add_nc_u32_e32 v47, 1, v21
	global_load_b128 v[38:41], v46, s[8:9] scale_offset
	global_load_b128 v[42:45], v47, s[10:11] scale_offset
	s_wait_xcnt 0x1
	v_dual_add_nc_u32 v46, -15, v20 :: v_dual_add_nc_u32 v58, -6, v20
	v_dual_add_nc_u32 v59, 2, v21 :: v_dual_add_nc_u32 v71, 3, v21
	v_dual_add_nc_u32 v82, -4, v20 :: v_dual_add_nc_u32 v83, 4, v21
	s_clause 0x1
	global_load_b128 v[46:49], v46, s[8:9] scale_offset
	global_load_b128 v[50:53], v58, s[8:9] scale_offset
	;; [unrolled: 1-line block ×3, first 2 shown]
	s_wait_xcnt 0x1
	v_add_nc_u32_e32 v58, -14, v20
	s_clause 0x1
	global_load_b128 v[58:61], v58, s[8:9] scale_offset
	global_load_b128 v[62:65], v70, s[8:9] scale_offset
	;; [unrolled: 1-line block ×3, first 2 shown]
	s_wait_xcnt 0x1
	v_add_nc_u32_e32 v70, -13, v20
	s_clause 0x1
	global_load_b128 v[70:73], v70, s[8:9] scale_offset
	global_load_b128 v[74:77], v82, s[8:9] scale_offset
	;; [unrolled: 1-line block ×3, first 2 shown]
	s_clause 0x1
	global_load_b128 v[82:85], v90, s[8:9] scale_offset
	global_load_b128 v[86:89], v91, s[8:9] scale_offset
	s_wait_xcnt 0x1
	v_add_nc_u32_e32 v90, 5, v21
	s_wait_loadcnt 0xd
	v_fmac_f64_e32 v[12:13], v[32:33], v[34:35]
	v_fmac_f64_e32 v[14:15], v[26:27], v[34:35]
	;; [unrolled: 1-line block ×4, first 2 shown]
	s_delay_alu instid0(VALU_DEP_4)
	v_fmac_f64_e32 v[12:13], v[30:31], v[36:37]
	v_add_nc_u32_e32 v30, -11, v20
	global_load_b128 v[90:93], v90, s[10:11] scale_offset
	v_fma_f64 v[34:35], -v[28:29], v[36:37], v[14:15]
	v_fmac_f64_e32 v[0:1], v[26:27], v[36:37]
	v_fma_f64 v[94:95], -v[32:33], v[36:37], v[16:17]
	v_add_nc_u32_e32 v31, -2, v20
	s_clause 0x1
	global_load_b128 v[14:17], v30, s[8:9] scale_offset
	global_load_b128 v[26:29], v31, s[8:9] scale_offset
	s_wait_xcnt 0x1
	v_add_nc_u32_e32 v30, 6, v21
	global_load_b128 v[30:33], v30, s[10:11] scale_offset
	s_wait_loadcnt 0xf
	v_fmac_f64_e32 v[12:13], v[40:41], v[42:43]
	v_fmac_f64_e32 v[34:35], v[22:23], v[42:43]
	;; [unrolled: 1-line block ×4, first 2 shown]
	s_delay_alu instid0(VALU_DEP_4)
	v_fmac_f64_e32 v[12:13], v[38:39], v[44:45]
	v_dual_add_nc_u32 v38, -10, v20 :: v_dual_add_nc_u32 v39, -1, v20
	v_fma_f64 v[42:43], -v[24:25], v[44:45], v[34:35]
	v_fmac_f64_e32 v[0:1], v[22:23], v[44:45]
	v_fma_f64 v[94:95], -v[40:41], v[44:45], v[94:95]
	s_clause 0x1
	global_load_b128 v[22:25], v38, s[8:9] scale_offset
	global_load_b128 v[34:37], v39, s[8:9] scale_offset
	s_wait_xcnt 0x1
	v_dual_add_nc_u32 v38, 7, v21 :: v_dual_add_nc_u32 v21, 8, v21
	s_wait_loadcnt 0xe
	v_fmac_f64_e32 v[12:13], v[52:53], v[54:55]
	v_fmac_f64_e32 v[42:43], v[46:47], v[54:55]
	;; [unrolled: 1-line block ×4, first 2 shown]
	s_delay_alu instid0(VALU_DEP_4)
	v_fmac_f64_e32 v[12:13], v[50:51], v[56:57]
	v_add_nc_u32_e32 v50, -9, v20
	global_load_b128 v[38:41], v38, s[10:11] scale_offset
	v_fma_f64 v[54:55], -v[48:49], v[56:57], v[42:43]
	v_fmac_f64_e32 v[0:1], v[46:47], v[56:57]
	v_fma_f64 v[94:95], -v[52:53], v[56:57], v[94:95]
	s_clause 0x1
	global_load_b128 v[42:45], v20, s[8:9] scale_offset
	global_load_b128 v[46:49], v50, s[8:9] scale_offset
	;; [unrolled: 1-line block ×3, first 2 shown]
	v_add_nc_u32_e32 v20, 0x120, v20
	s_wait_loadcnt 0xf
	v_fmac_f64_e32 v[12:13], v[64:65], v[66:67]
	v_fmac_f64_e32 v[54:55], v[58:59], v[66:67]
	;; [unrolled: 1-line block ×4, first 2 shown]
	s_delay_alu instid0(VALU_DEP_4) | instskip(NEXT) | instid1(VALU_DEP_4)
	v_fmac_f64_e32 v[12:13], v[62:63], v[68:69]
	v_fma_f64 v[54:55], -v[60:61], v[68:69], v[54:55]
	s_delay_alu instid0(VALU_DEP_4) | instskip(NEXT) | instid1(VALU_DEP_4)
	v_fmac_f64_e32 v[0:1], v[58:59], v[68:69]
	v_fma_f64 v[56:57], -v[64:65], v[68:69], v[94:95]
	s_wait_loadcnt 0xc
	s_delay_alu instid0(VALU_DEP_4) | instskip(NEXT) | instid1(VALU_DEP_4)
	v_fmac_f64_e32 v[12:13], v[76:77], v[78:79]
	v_fmac_f64_e32 v[54:55], v[70:71], v[78:79]
	s_delay_alu instid0(VALU_DEP_4) | instskip(NEXT) | instid1(VALU_DEP_4)
	v_fmac_f64_e32 v[0:1], v[72:73], v[78:79]
	v_fmac_f64_e32 v[56:57], v[74:75], v[78:79]
	s_delay_alu instid0(VALU_DEP_4) | instskip(NEXT) | instid1(VALU_DEP_4)
	v_fmac_f64_e32 v[12:13], v[74:75], v[80:81]
	v_fma_f64 v[54:55], -v[72:73], v[80:81], v[54:55]
	s_delay_alu instid0(VALU_DEP_4) | instskip(NEXT) | instid1(VALU_DEP_4)
	v_fmac_f64_e32 v[0:1], v[70:71], v[80:81]
	v_fma_f64 v[56:57], -v[76:77], v[80:81], v[56:57]
	s_wait_loadcnt 0x9
	s_delay_alu instid0(VALU_DEP_3) | instskip(NEXT) | instid1(VALU_DEP_3)
	v_fmac_f64_e32 v[54:55], v[82:83], v[90:91]
	v_fmac_f64_e32 v[0:1], v[84:85], v[90:91]
	s_delay_alu instid0(VALU_DEP_3) | instskip(SKIP_1) | instid1(VALU_DEP_4)
	v_fmac_f64_e32 v[56:57], v[86:87], v[90:91]
	v_fmac_f64_e32 v[12:13], v[88:89], v[90:91]
	v_fma_f64 v[54:55], -v[84:85], v[92:93], v[54:55]
	s_delay_alu instid0(VALU_DEP_4) | instskip(NEXT) | instid1(VALU_DEP_4)
	v_fmac_f64_e32 v[0:1], v[82:83], v[92:93]
	v_fma_f64 v[56:57], -v[88:89], v[92:93], v[56:57]
	s_delay_alu instid0(VALU_DEP_4) | instskip(SKIP_1) | instid1(VALU_DEP_4)
	v_fmac_f64_e32 v[12:13], v[86:87], v[92:93]
	s_wait_loadcnt 0x6
	v_fmac_f64_e32 v[54:55], v[14:15], v[30:31]
	s_delay_alu instid0(VALU_DEP_4) | instskip(NEXT) | instid1(VALU_DEP_4)
	v_fmac_f64_e32 v[0:1], v[16:17], v[30:31]
	v_fmac_f64_e32 v[56:57], v[26:27], v[30:31]
	s_delay_alu instid0(VALU_DEP_4) | instskip(NEXT) | instid1(VALU_DEP_4)
	v_fmac_f64_e32 v[12:13], v[28:29], v[30:31]
	v_fma_f64 v[16:17], -v[16:17], v[32:33], v[54:55]
	s_delay_alu instid0(VALU_DEP_4) | instskip(NEXT) | instid1(VALU_DEP_4)
	v_fmac_f64_e32 v[0:1], v[14:15], v[32:33]
	v_fma_f64 v[14:15], -v[28:29], v[32:33], v[56:57]
	s_delay_alu instid0(VALU_DEP_4) | instskip(SKIP_1) | instid1(VALU_DEP_4)
	v_fmac_f64_e32 v[12:13], v[26:27], v[32:33]
	s_wait_loadcnt 0x3
	v_fmac_f64_e32 v[16:17], v[22:23], v[38:39]
	s_delay_alu instid0(VALU_DEP_4) | instskip(NEXT) | instid1(VALU_DEP_4)
	v_fmac_f64_e32 v[0:1], v[24:25], v[38:39]
	v_fmac_f64_e32 v[14:15], v[34:35], v[38:39]
	s_delay_alu instid0(VALU_DEP_4) | instskip(NEXT) | instid1(VALU_DEP_4)
	;; [unrolled: 13-line block ×3, first 2 shown]
	v_fmac_f64_e32 v[12:13], v[44:45], v[50:51]
	v_fma_f64 v[14:15], -v[48:49], v[52:53], v[16:17]
	s_delay_alu instid0(VALU_DEP_4) | instskip(NEXT) | instid1(VALU_DEP_4)
	v_fmac_f64_e32 v[0:1], v[46:47], v[52:53]
	v_fma_f64 v[16:17], -v[44:45], v[52:53], v[22:23]
	s_delay_alu instid0(VALU_DEP_4)
	v_fmac_f64_e32 v[12:13], v[42:43], v[52:53]
	s_and_not1_b32 exec_lo, exec_lo, s2
	s_cbranch_execnz .LBB265_13
; %bb.14:
	s_or_b32 exec_lo, exec_lo, s2
.LBB265_15:
	s_delay_alu instid0(SALU_CYCLE_1)
	s_or_b32 exec_lo, exec_lo, s3
.LBB265_16:
	v_mbcnt_lo_u32_b32 v28, -1, 0
	s_delay_alu instid0(VALU_DEP_1) | instskip(NEXT) | instid1(VALU_DEP_1)
	v_xor_b32_e32 v18, 8, v28
	v_cmp_gt_i32_e32 vcc_lo, 32, v18
	v_cndmask_b32_e32 v18, v28, v18, vcc_lo
	s_delay_alu instid0(VALU_DEP_1)
	v_lshlrev_b32_e32 v25, 2, v18
	ds_bpermute_b32 v20, v25, v0
	ds_bpermute_b32 v21, v25, v1
	s_wait_dscnt 0x0
	v_add_f64_e32 v[0:1], v[0:1], v[20:21]
	ds_bpermute_b32 v18, v25, v14
	ds_bpermute_b32 v19, v25, v15
	;; [unrolled: 1-line block ×6, first 2 shown]
	s_wait_dscnt 0x4
	v_dual_add_f64 v[14:15], v[14:15], v[18:19] :: v_dual_bitop2_b32 v18, 4, v28 bitop3:0x14
	s_wait_dscnt 0x2
	v_add_f64_e32 v[16:17], v[16:17], v[22:23]
	s_delay_alu instid0(VALU_DEP_2) | instskip(SKIP_2) | instid1(VALU_DEP_1)
	v_cmp_gt_i32_e32 vcc_lo, 32, v18
	v_cndmask_b32_e32 v18, v28, v18, vcc_lo
	s_wait_dscnt 0x0
	v_dual_add_f64 v[12:13], v[12:13], v[24:25] :: v_dual_lshlrev_b32 v25, 2, v18
	ds_bpermute_b32 v20, v25, v0
	ds_bpermute_b32 v21, v25, v1
	;; [unrolled: 1-line block ×8, first 2 shown]
	s_wait_dscnt 0x4
	v_add_f64_e32 v[14:15], v[14:15], v[18:19]
	v_add_f64_e32 v[18:19], v[0:1], v[20:21]
	s_wait_dscnt 0x2
	v_dual_add_f64 v[20:21], v[16:17], v[22:23] :: v_dual_bitop2_b32 v0, 2, v28 bitop3:0x14
	s_delay_alu instid0(VALU_DEP_1) | instskip(SKIP_3) | instid1(VALU_DEP_1)
	v_cmp_gt_i32_e32 vcc_lo, 32, v0
	s_wait_dscnt 0x0
	v_add_f64_e32 v[22:23], v[12:13], v[24:25]
	v_cndmask_b32_e32 v0, v28, v0, vcc_lo
	v_lshlrev_b32_e32 v16, 2, v0
	ds_bpermute_b32 v0, v16, v14
	ds_bpermute_b32 v12, v16, v18
	;; [unrolled: 1-line block ×8, first 2 shown]
	s_wait_dscnt 0x5
	v_add_f64_e32 v[16:17], v[18:19], v[12:13]
	v_xor_b32_e32 v18, 1, v28
	s_wait_dscnt 0x2
	v_add_f64_e32 v[12:13], v[20:21], v[24:25]
	s_delay_alu instid0(VALU_DEP_2) | instskip(SKIP_2) | instid1(VALU_DEP_2)
	v_cmp_gt_i32_e32 vcc_lo, 32, v18
	v_dual_add_f64 v[0:1], v[14:15], v[0:1] :: v_dual_cndmask_b32 v18, v28, v18, vcc_lo
	v_cmp_eq_u32_e32 vcc_lo, 15, v11
	v_lshlrev_b32_e32 v21, 2, v18
	s_wait_dscnt 0x0
	v_add_f64_e32 v[14:15], v[22:23], v[26:27]
	ds_bpermute_b32 v22, v21, v16
	ds_bpermute_b32 v23, v21, v17
	;; [unrolled: 1-line block ×8, first 2 shown]
	s_and_b32 exec_lo, exec_lo, vcc_lo
	s_cbranch_execz .LBB265_21
; %bb.17:
	v_cmp_eq_f64_e32 vcc_lo, 0, v[6:7]
	v_cmp_eq_f64_e64 s2, 0, v[8:9]
	s_wait_dscnt 0x2
	v_add_f64_e32 v[0:1], v[0:1], v[24:25]
	v_add_f64_e32 v[16:17], v[16:17], v[22:23]
	;; [unrolled: 1-line block ×3, first 2 shown]
	s_wait_dscnt 0x0
	v_add_f64_e32 v[14:15], v[14:15], v[20:21]
	s_load_b64 s[0:1], s[0:1], 0x48
	s_and_b32 s2, vcc_lo, s2
	s_delay_alu instid0(SALU_CYCLE_1) | instskip(NEXT) | instid1(SALU_CYCLE_1)
	s_and_saveexec_b32 s3, s2
	s_xor_b32 s2, exec_lo, s3
	s_cbranch_execz .LBB265_19
; %bb.18:
	s_delay_alu instid0(VALU_DEP_3) | instskip(SKIP_1) | instid1(VALU_DEP_3)
	v_mul_f64_e64 v[6:7], v[16:17], -v[4:5]
	v_mul_f64_e32 v[8:9], v[2:3], v[16:17]
	v_mul_f64_e64 v[16:17], v[14:15], -v[4:5]
	v_mul_f64_e32 v[18:19], v[2:3], v[14:15]
                                        ; implicit-def: $vgpr14_vgpr15
	s_delay_alu instid0(VALU_DEP_4) | instskip(NEXT) | instid1(VALU_DEP_4)
	v_fmac_f64_e32 v[6:7], v[2:3], v[0:1]
	v_fmac_f64_e32 v[8:9], v[4:5], v[0:1]
	s_delay_alu instid0(VALU_DEP_4) | instskip(NEXT) | instid1(VALU_DEP_4)
	v_fmac_f64_e32 v[16:17], v[2:3], v[12:13]
	v_fmac_f64_e32 v[18:19], v[4:5], v[12:13]
	v_lshlrev_b32_e32 v0, 1, v10
                                        ; implicit-def: $vgpr10
                                        ; implicit-def: $vgpr12_vgpr13
                                        ; implicit-def: $vgpr4_vgpr5
	s_wait_kmcnt 0x0
	s_clause 0x1
	global_store_b128 v0, v[6:9], s[0:1] scale_offset
	global_store_b128 v0, v[16:19], s[0:1] offset:16 scale_offset
                                        ; implicit-def: $vgpr0_vgpr1
                                        ; implicit-def: $vgpr16_vgpr17
                                        ; implicit-def: $vgpr8_vgpr9
.LBB265_19:
	s_wait_xcnt 0x0
	s_and_not1_saveexec_b32 s2, s2
	s_cbranch_execz .LBB265_21
; %bb.20:
	s_delay_alu instid0(VALU_DEP_3) | instskip(SKIP_1) | instid1(VALU_DEP_3)
	v_dual_mul_f64 v[26:27], v[16:17], -v[4:5] :: v_dual_lshlrev_b32 v30, 1, v10
	v_mul_f64_e32 v[16:17], v[2:3], v[16:17]
	v_mul_f64_e64 v[28:29], v[14:15], -v[4:5]
	v_mul_f64_e32 v[10:11], v[2:3], v[14:15]
	s_wait_kmcnt 0x0
	s_clause 0x1
	global_load_b128 v[18:21], v30, s[0:1] scale_offset
	global_load_b128 v[22:25], v30, s[0:1] offset:16 scale_offset
	v_fmac_f64_e32 v[26:27], v[2:3], v[0:1]
	v_fmac_f64_e32 v[16:17], v[4:5], v[0:1]
	;; [unrolled: 1-line block ×4, first 2 shown]
	s_wait_loadcnt 0x1
	s_delay_alu instid0(VALU_DEP_4) | instskip(NEXT) | instid1(VALU_DEP_4)
	v_fmac_f64_e32 v[26:27], v[6:7], v[18:19]
	v_fmac_f64_e32 v[16:17], v[8:9], v[18:19]
	s_wait_loadcnt 0x0
	s_delay_alu instid0(VALU_DEP_4) | instskip(NEXT) | instid1(VALU_DEP_4)
	v_fmac_f64_e32 v[28:29], v[6:7], v[22:23]
	v_fmac_f64_e32 v[10:11], v[8:9], v[22:23]
	s_delay_alu instid0(VALU_DEP_4) | instskip(NEXT) | instid1(VALU_DEP_4)
	v_fma_f64 v[14:15], -v[8:9], v[20:21], v[26:27]
	v_fmac_f64_e32 v[16:17], v[6:7], v[20:21]
	s_delay_alu instid0(VALU_DEP_4) | instskip(NEXT) | instid1(VALU_DEP_4)
	v_fma_f64 v[8:9], -v[8:9], v[24:25], v[28:29]
	v_fmac_f64_e32 v[10:11], v[6:7], v[24:25]
	s_clause 0x1
	global_store_b128 v30, v[14:17], s[0:1] scale_offset
	global_store_b128 v30, v[8:11], s[0:1] offset:16 scale_offset
.LBB265_21:
	s_sendmsg sendmsg(MSG_DEALLOC_VGPRS)
	s_endpgm
	.section	.rodata,"a",@progbits
	.p2align	6, 0x0
	.amdhsa_kernel _ZN9rocsparseL19gebsrmvn_2xn_kernelILj128ELj9ELj16E21rocsparse_complex_numIdEEEvi20rocsparse_direction_NS_24const_host_device_scalarIT2_EEPKiS8_PKS5_SA_S6_PS5_21rocsparse_index_base_b
		.amdhsa_group_segment_fixed_size 0
		.amdhsa_private_segment_fixed_size 0
		.amdhsa_kernarg_size 88
		.amdhsa_user_sgpr_count 2
		.amdhsa_user_sgpr_dispatch_ptr 0
		.amdhsa_user_sgpr_queue_ptr 0
		.amdhsa_user_sgpr_kernarg_segment_ptr 1
		.amdhsa_user_sgpr_dispatch_id 0
		.amdhsa_user_sgpr_kernarg_preload_length 0
		.amdhsa_user_sgpr_kernarg_preload_offset 0
		.amdhsa_user_sgpr_private_segment_size 0
		.amdhsa_wavefront_size32 1
		.amdhsa_uses_dynamic_stack 0
		.amdhsa_enable_private_segment 0
		.amdhsa_system_sgpr_workgroup_id_x 1
		.amdhsa_system_sgpr_workgroup_id_y 0
		.amdhsa_system_sgpr_workgroup_id_z 0
		.amdhsa_system_sgpr_workgroup_info 0
		.amdhsa_system_vgpr_workitem_id 0
		.amdhsa_next_free_vgpr 97
		.amdhsa_next_free_sgpr 14
		.amdhsa_named_barrier_count 0
		.amdhsa_reserve_vcc 1
		.amdhsa_float_round_mode_32 0
		.amdhsa_float_round_mode_16_64 0
		.amdhsa_float_denorm_mode_32 3
		.amdhsa_float_denorm_mode_16_64 3
		.amdhsa_fp16_overflow 0
		.amdhsa_memory_ordered 1
		.amdhsa_forward_progress 1
		.amdhsa_inst_pref_size 27
		.amdhsa_round_robin_scheduling 0
		.amdhsa_exception_fp_ieee_invalid_op 0
		.amdhsa_exception_fp_denorm_src 0
		.amdhsa_exception_fp_ieee_div_zero 0
		.amdhsa_exception_fp_ieee_overflow 0
		.amdhsa_exception_fp_ieee_underflow 0
		.amdhsa_exception_fp_ieee_inexact 0
		.amdhsa_exception_int_div_zero 0
	.end_amdhsa_kernel
	.section	.text._ZN9rocsparseL19gebsrmvn_2xn_kernelILj128ELj9ELj16E21rocsparse_complex_numIdEEEvi20rocsparse_direction_NS_24const_host_device_scalarIT2_EEPKiS8_PKS5_SA_S6_PS5_21rocsparse_index_base_b,"axG",@progbits,_ZN9rocsparseL19gebsrmvn_2xn_kernelILj128ELj9ELj16E21rocsparse_complex_numIdEEEvi20rocsparse_direction_NS_24const_host_device_scalarIT2_EEPKiS8_PKS5_SA_S6_PS5_21rocsparse_index_base_b,comdat
.Lfunc_end265:
	.size	_ZN9rocsparseL19gebsrmvn_2xn_kernelILj128ELj9ELj16E21rocsparse_complex_numIdEEEvi20rocsparse_direction_NS_24const_host_device_scalarIT2_EEPKiS8_PKS5_SA_S6_PS5_21rocsparse_index_base_b, .Lfunc_end265-_ZN9rocsparseL19gebsrmvn_2xn_kernelILj128ELj9ELj16E21rocsparse_complex_numIdEEEvi20rocsparse_direction_NS_24const_host_device_scalarIT2_EEPKiS8_PKS5_SA_S6_PS5_21rocsparse_index_base_b
                                        ; -- End function
	.set _ZN9rocsparseL19gebsrmvn_2xn_kernelILj128ELj9ELj16E21rocsparse_complex_numIdEEEvi20rocsparse_direction_NS_24const_host_device_scalarIT2_EEPKiS8_PKS5_SA_S6_PS5_21rocsparse_index_base_b.num_vgpr, 97
	.set _ZN9rocsparseL19gebsrmvn_2xn_kernelILj128ELj9ELj16E21rocsparse_complex_numIdEEEvi20rocsparse_direction_NS_24const_host_device_scalarIT2_EEPKiS8_PKS5_SA_S6_PS5_21rocsparse_index_base_b.num_agpr, 0
	.set _ZN9rocsparseL19gebsrmvn_2xn_kernelILj128ELj9ELj16E21rocsparse_complex_numIdEEEvi20rocsparse_direction_NS_24const_host_device_scalarIT2_EEPKiS8_PKS5_SA_S6_PS5_21rocsparse_index_base_b.numbered_sgpr, 14
	.set _ZN9rocsparseL19gebsrmvn_2xn_kernelILj128ELj9ELj16E21rocsparse_complex_numIdEEEvi20rocsparse_direction_NS_24const_host_device_scalarIT2_EEPKiS8_PKS5_SA_S6_PS5_21rocsparse_index_base_b.num_named_barrier, 0
	.set _ZN9rocsparseL19gebsrmvn_2xn_kernelILj128ELj9ELj16E21rocsparse_complex_numIdEEEvi20rocsparse_direction_NS_24const_host_device_scalarIT2_EEPKiS8_PKS5_SA_S6_PS5_21rocsparse_index_base_b.private_seg_size, 0
	.set _ZN9rocsparseL19gebsrmvn_2xn_kernelILj128ELj9ELj16E21rocsparse_complex_numIdEEEvi20rocsparse_direction_NS_24const_host_device_scalarIT2_EEPKiS8_PKS5_SA_S6_PS5_21rocsparse_index_base_b.uses_vcc, 1
	.set _ZN9rocsparseL19gebsrmvn_2xn_kernelILj128ELj9ELj16E21rocsparse_complex_numIdEEEvi20rocsparse_direction_NS_24const_host_device_scalarIT2_EEPKiS8_PKS5_SA_S6_PS5_21rocsparse_index_base_b.uses_flat_scratch, 0
	.set _ZN9rocsparseL19gebsrmvn_2xn_kernelILj128ELj9ELj16E21rocsparse_complex_numIdEEEvi20rocsparse_direction_NS_24const_host_device_scalarIT2_EEPKiS8_PKS5_SA_S6_PS5_21rocsparse_index_base_b.has_dyn_sized_stack, 0
	.set _ZN9rocsparseL19gebsrmvn_2xn_kernelILj128ELj9ELj16E21rocsparse_complex_numIdEEEvi20rocsparse_direction_NS_24const_host_device_scalarIT2_EEPKiS8_PKS5_SA_S6_PS5_21rocsparse_index_base_b.has_recursion, 0
	.set _ZN9rocsparseL19gebsrmvn_2xn_kernelILj128ELj9ELj16E21rocsparse_complex_numIdEEEvi20rocsparse_direction_NS_24const_host_device_scalarIT2_EEPKiS8_PKS5_SA_S6_PS5_21rocsparse_index_base_b.has_indirect_call, 0
	.section	.AMDGPU.csdata,"",@progbits
; Kernel info:
; codeLenInByte = 3360
; TotalNumSgprs: 16
; NumVgprs: 97
; ScratchSize: 0
; MemoryBound: 0
; FloatMode: 240
; IeeeMode: 1
; LDSByteSize: 0 bytes/workgroup (compile time only)
; SGPRBlocks: 0
; VGPRBlocks: 6
; NumSGPRsForWavesPerEU: 16
; NumVGPRsForWavesPerEU: 97
; NamedBarCnt: 0
; Occupancy: 9
; WaveLimiterHint : 1
; COMPUTE_PGM_RSRC2:SCRATCH_EN: 0
; COMPUTE_PGM_RSRC2:USER_SGPR: 2
; COMPUTE_PGM_RSRC2:TRAP_HANDLER: 0
; COMPUTE_PGM_RSRC2:TGID_X_EN: 1
; COMPUTE_PGM_RSRC2:TGID_Y_EN: 0
; COMPUTE_PGM_RSRC2:TGID_Z_EN: 0
; COMPUTE_PGM_RSRC2:TIDIG_COMP_CNT: 0
	.section	.text._ZN9rocsparseL19gebsrmvn_2xn_kernelILj128ELj9ELj32E21rocsparse_complex_numIdEEEvi20rocsparse_direction_NS_24const_host_device_scalarIT2_EEPKiS8_PKS5_SA_S6_PS5_21rocsparse_index_base_b,"axG",@progbits,_ZN9rocsparseL19gebsrmvn_2xn_kernelILj128ELj9ELj32E21rocsparse_complex_numIdEEEvi20rocsparse_direction_NS_24const_host_device_scalarIT2_EEPKiS8_PKS5_SA_S6_PS5_21rocsparse_index_base_b,comdat
	.globl	_ZN9rocsparseL19gebsrmvn_2xn_kernelILj128ELj9ELj32E21rocsparse_complex_numIdEEEvi20rocsparse_direction_NS_24const_host_device_scalarIT2_EEPKiS8_PKS5_SA_S6_PS5_21rocsparse_index_base_b ; -- Begin function _ZN9rocsparseL19gebsrmvn_2xn_kernelILj128ELj9ELj32E21rocsparse_complex_numIdEEEvi20rocsparse_direction_NS_24const_host_device_scalarIT2_EEPKiS8_PKS5_SA_S6_PS5_21rocsparse_index_base_b
	.p2align	8
	.type	_ZN9rocsparseL19gebsrmvn_2xn_kernelILj128ELj9ELj32E21rocsparse_complex_numIdEEEvi20rocsparse_direction_NS_24const_host_device_scalarIT2_EEPKiS8_PKS5_SA_S6_PS5_21rocsparse_index_base_b,@function
_ZN9rocsparseL19gebsrmvn_2xn_kernelILj128ELj9ELj32E21rocsparse_complex_numIdEEEvi20rocsparse_direction_NS_24const_host_device_scalarIT2_EEPKiS8_PKS5_SA_S6_PS5_21rocsparse_index_base_b: ; @_ZN9rocsparseL19gebsrmvn_2xn_kernelILj128ELj9ELj32E21rocsparse_complex_numIdEEEvi20rocsparse_direction_NS_24const_host_device_scalarIT2_EEPKiS8_PKS5_SA_S6_PS5_21rocsparse_index_base_b
; %bb.0:
	s_clause 0x1
	s_load_b64 s[12:13], s[0:1], 0x50
	s_load_b64 s[2:3], s[0:1], 0x8
	v_mov_b32_e32 v1, 0
	s_add_nc_u64 s[4:5], s[0:1], 8
	s_load_b64 s[6:7], s[0:1], 0x38
	s_wait_kmcnt 0x0
	s_bitcmp1_b32 s13, 0
	s_cselect_b32 s3, s5, s3
	s_cselect_b32 s2, s4, s2
	flat_load_b128 v[2:5], v1, s[2:3]
	s_wait_xcnt 0x0
	s_add_nc_u64 s[2:3], s[0:1], 56
	s_delay_alu instid0(SALU_CYCLE_1)
	s_cselect_b32 s3, s3, s7
	s_cselect_b32 s2, s2, s6
	flat_load_b128 v[6:9], v1, s[2:3]
	s_wait_loadcnt_dscnt 0x101
	v_cmp_eq_f64_e32 vcc_lo, 0, v[2:3]
	s_wait_xcnt 0x0
	v_cmp_eq_f64_e64 s2, 0, v[4:5]
	s_and_b32 s4, vcc_lo, s2
	s_mov_b32 s2, -1
	s_and_saveexec_b32 s3, s4
	s_cbranch_execz .LBB266_2
; %bb.1:
	s_wait_loadcnt_dscnt 0x0
	v_cmp_neq_f64_e32 vcc_lo, 1.0, v[6:7]
	v_cmp_neq_f64_e64 s2, 0, v[8:9]
	s_or_b32 s2, vcc_lo, s2
	s_delay_alu instid0(SALU_CYCLE_1)
	s_or_not1_b32 s2, s2, exec_lo
.LBB266_2:
	s_or_b32 exec_lo, exec_lo, s3
	s_and_saveexec_b32 s3, s2
	s_cbranch_execz .LBB266_21
; %bb.3:
	s_load_b64 s[2:3], s[0:1], 0x0
	s_bfe_u32 s4, ttmp6, 0x4000c
	s_and_b32 s5, ttmp6, 15
	s_add_co_i32 s4, s4, 1
	s_getreg_b32 s6, hwreg(HW_REG_IB_STS2, 6, 4)
	s_mul_i32 s4, ttmp9, s4
	v_lshrrev_b32_e32 v1, 5, v0
	s_add_co_i32 s5, s5, s4
	s_cmp_eq_u32 s6, 0
	s_cselect_b32 s4, ttmp9, s5
	s_delay_alu instid0(VALU_DEP_1) | instid1(SALU_CYCLE_1)
	v_lshl_or_b32 v10, s4, 2, v1
	s_wait_kmcnt 0x0
	s_delay_alu instid0(VALU_DEP_1)
	v_cmp_gt_i32_e32 vcc_lo, s2, v10
	s_and_b32 exec_lo, exec_lo, vcc_lo
	s_cbranch_execz .LBB266_21
; %bb.4:
	s_load_b256 s[4:11], s[0:1], 0x18
	v_ashrrev_i32_e32 v11, 31, v10
	s_cmp_lg_u32 s3, 0
	s_wait_kmcnt 0x0
	s_delay_alu instid0(VALU_DEP_1)
	v_lshl_add_u64 v[12:13], v[10:11], 2, s[4:5]
	v_and_b32_e32 v11, 31, v0
	global_load_b64 v[12:13], v[12:13], off
	s_wait_loadcnt 0x0
	v_subrev_nc_u32_e32 v0, s12, v12
	v_subrev_nc_u32_e32 v18, s12, v13
	s_delay_alu instid0(VALU_DEP_2) | instskip(NEXT) | instid1(VALU_DEP_1)
	v_add_nc_u32_e32 v19, v0, v11
	v_cmp_lt_i32_e64 s2, v19, v18
	s_cbranch_scc0 .LBB266_10
; %bb.5:
	v_mov_b64_e32 v[0:1], 0
	v_mov_b64_e32 v[14:15], 0
	;; [unrolled: 1-line block ×4, first 2 shown]
	s_and_saveexec_b32 s3, s2
	s_cbranch_execz .LBB266_9
; %bb.6:
	v_mad_u32 v20, v19, 18, 16
	v_mov_b64_e32 v[0:1], 0
	v_mov_b64_e32 v[14:15], 0
	;; [unrolled: 1-line block ×4, first 2 shown]
	v_mov_b32_e32 v21, v19
	s_mov_b32 s4, 0
.LBB266_7:                              ; =>This Inner Loop Header: Depth=1
	global_load_b32 v22, v21, s[6:7] scale_offset
	v_dual_add_nc_u32 v34, -16, v20 :: v_dual_add_nc_u32 v46, -14, v20
	v_dual_add_nc_u32 v58, -12, v20 :: v_dual_add_nc_u32 v70, -10, v20
	;; [unrolled: 1-line block ×3, first 2 shown]
	s_wait_xcnt 0x0
	v_add_nc_u32_e32 v21, 32, v21
	s_delay_alu instid0(VALU_DEP_1)
	v_cmp_ge_i32_e32 vcc_lo, v21, v18
	s_or_b32 s4, vcc_lo, s4
	s_wait_loadcnt 0x0
	v_subrev_nc_u32_e32 v26, s12, v22
	global_load_b128 v[22:25], v34, s[8:9] offset:16 scale_offset
	v_lshl_add_u32 v96, v26, 3, v26
	global_load_b128 v[26:29], v34, s[8:9] scale_offset
	global_load_b128 v[30:33], v96, s[10:11] scale_offset
	v_dual_add_nc_u32 v47, 1, v96 :: v_dual_add_nc_u32 v59, 2, v96
	global_load_b128 v[34:37], v46, s[8:9] offset:16 scale_offset
	v_dual_add_nc_u32 v71, 3, v96 :: v_dual_add_nc_u32 v83, 4, v96
	global_load_b128 v[38:41], v46, s[8:9] scale_offset
	global_load_b128 v[42:45], v47, s[10:11] scale_offset
	s_clause 0x1
	global_load_b128 v[46:49], v58, s[8:9] offset:16 scale_offset
	global_load_b128 v[50:53], v58, s[8:9] scale_offset
	global_load_b128 v[54:57], v59, s[10:11] scale_offset
	s_clause 0x1
	global_load_b128 v[58:61], v70, s[8:9] offset:16 scale_offset
	;; [unrolled: 4-line block ×4, first 2 shown]
	global_load_b128 v[86:89], v90, s[8:9] scale_offset
	s_wait_xcnt 0x0
	v_add_nc_u32_e32 v90, 5, v96
	global_load_b128 v[90:93], v90, s[10:11] scale_offset
	s_wait_loadcnt 0xf
	v_fmac_f64_e32 v[0:1], v[28:29], v[30:31]
	v_fmac_f64_e32 v[14:15], v[26:27], v[30:31]
	;; [unrolled: 1-line block ×4, first 2 shown]
	s_delay_alu instid0(VALU_DEP_4) | instskip(NEXT) | instid1(VALU_DEP_4)
	v_fmac_f64_e32 v[0:1], v[26:27], v[32:33]
	v_fma_f64 v[30:31], -v[28:29], v[32:33], v[14:15]
	s_delay_alu instid0(VALU_DEP_4) | instskip(NEXT) | instid1(VALU_DEP_4)
	v_fma_f64 v[94:95], -v[24:25], v[32:33], v[16:17]
	v_fmac_f64_e32 v[12:13], v[22:23], v[32:33]
	v_add_nc_u32_e32 v26, -4, v20
	s_wait_loadcnt 0xc
	v_fmac_f64_e32 v[0:1], v[40:41], v[42:43]
	v_fmac_f64_e32 v[30:31], v[38:39], v[42:43]
	v_fmac_f64_e32 v[94:95], v[34:35], v[42:43]
	v_fmac_f64_e32 v[12:13], v[36:37], v[42:43]
	s_delay_alu instid0(VALU_DEP_4)
	v_fmac_f64_e32 v[0:1], v[38:39], v[44:45]
	v_add_nc_u32_e32 v38, -2, v20
	s_clause 0x1
	global_load_b128 v[14:17], v26, s[8:9] offset:16 scale_offset
	global_load_b128 v[22:25], v26, s[8:9] scale_offset
	s_wait_xcnt 0x0
	v_add_nc_u32_e32 v26, 6, v96
	v_fma_f64 v[42:43], -v[40:41], v[44:45], v[30:31]
	v_fma_f64 v[94:95], -v[36:37], v[44:45], v[94:95]
	v_fmac_f64_e32 v[12:13], v[34:35], v[44:45]
	global_load_b128 v[26:29], v26, s[10:11] scale_offset
	s_clause 0x1
	global_load_b128 v[30:33], v38, s[8:9] offset:16 scale_offset
	global_load_b128 v[34:37], v38, s[8:9] scale_offset
	s_wait_xcnt 0x0
	v_add_nc_u32_e32 v38, 7, v96
	s_wait_loadcnt 0xe
	v_fmac_f64_e32 v[0:1], v[52:53], v[54:55]
	v_fmac_f64_e32 v[42:43], v[50:51], v[54:55]
	;; [unrolled: 1-line block ×4, first 2 shown]
	s_delay_alu instid0(VALU_DEP_4)
	v_fmac_f64_e32 v[0:1], v[50:51], v[56:57]
	v_add_nc_u32_e32 v50, 8, v96
	global_load_b128 v[38:41], v38, s[10:11] scale_offset
	v_fma_f64 v[54:55], -v[52:53], v[56:57], v[42:43]
	v_fma_f64 v[94:95], -v[48:49], v[56:57], v[94:95]
	v_fmac_f64_e32 v[12:13], v[46:47], v[56:57]
	s_clause 0x1
	global_load_b128 v[42:45], v20, s[8:9] offset:16 scale_offset
	global_load_b128 v[46:49], v20, s[8:9] scale_offset
	global_load_b128 v[50:53], v50, s[10:11] scale_offset
	s_wait_xcnt 0x1
	v_add_nc_u32_e32 v20, 0x240, v20
	s_wait_loadcnt 0xf
	v_fmac_f64_e32 v[0:1], v[64:65], v[66:67]
	v_fmac_f64_e32 v[54:55], v[62:63], v[66:67]
	;; [unrolled: 1-line block ×4, first 2 shown]
	s_delay_alu instid0(VALU_DEP_4) | instskip(NEXT) | instid1(VALU_DEP_4)
	v_fmac_f64_e32 v[0:1], v[62:63], v[68:69]
	v_fma_f64 v[54:55], -v[64:65], v[68:69], v[54:55]
	s_delay_alu instid0(VALU_DEP_4) | instskip(NEXT) | instid1(VALU_DEP_4)
	v_fma_f64 v[56:57], -v[60:61], v[68:69], v[94:95]
	v_fmac_f64_e32 v[12:13], v[58:59], v[68:69]
	s_wait_loadcnt 0xc
	s_delay_alu instid0(VALU_DEP_4) | instskip(NEXT) | instid1(VALU_DEP_4)
	v_fmac_f64_e32 v[0:1], v[76:77], v[78:79]
	v_fmac_f64_e32 v[54:55], v[74:75], v[78:79]
	s_delay_alu instid0(VALU_DEP_4) | instskip(NEXT) | instid1(VALU_DEP_4)
	v_fmac_f64_e32 v[56:57], v[70:71], v[78:79]
	v_fmac_f64_e32 v[12:13], v[72:73], v[78:79]
	s_delay_alu instid0(VALU_DEP_4) | instskip(NEXT) | instid1(VALU_DEP_4)
	v_fmac_f64_e32 v[0:1], v[74:75], v[80:81]
	v_fma_f64 v[54:55], -v[76:77], v[80:81], v[54:55]
	s_delay_alu instid0(VALU_DEP_4) | instskip(NEXT) | instid1(VALU_DEP_4)
	v_fma_f64 v[56:57], -v[72:73], v[80:81], v[56:57]
	v_fmac_f64_e32 v[12:13], v[70:71], v[80:81]
	s_wait_loadcnt 0x9
	s_delay_alu instid0(VALU_DEP_4) | instskip(NEXT) | instid1(VALU_DEP_4)
	v_fmac_f64_e32 v[0:1], v[88:89], v[90:91]
	v_fmac_f64_e32 v[54:55], v[86:87], v[90:91]
	s_delay_alu instid0(VALU_DEP_4) | instskip(NEXT) | instid1(VALU_DEP_4)
	v_fmac_f64_e32 v[56:57], v[82:83], v[90:91]
	v_fmac_f64_e32 v[12:13], v[84:85], v[90:91]
	s_delay_alu instid0(VALU_DEP_4) | instskip(NEXT) | instid1(VALU_DEP_4)
	v_fmac_f64_e32 v[0:1], v[86:87], v[92:93]
	v_fma_f64 v[54:55], -v[88:89], v[92:93], v[54:55]
	s_delay_alu instid0(VALU_DEP_4) | instskip(NEXT) | instid1(VALU_DEP_4)
	v_fma_f64 v[56:57], -v[84:85], v[92:93], v[56:57]
	v_fmac_f64_e32 v[12:13], v[82:83], v[92:93]
	s_wait_loadcnt 0x6
	s_delay_alu instid0(VALU_DEP_3) | instskip(SKIP_1) | instid1(VALU_DEP_4)
	v_fmac_f64_e32 v[54:55], v[22:23], v[26:27]
	v_fmac_f64_e32 v[0:1], v[24:25], v[26:27]
	;; [unrolled: 1-line block ×3, first 2 shown]
	s_delay_alu instid0(VALU_DEP_4) | instskip(NEXT) | instid1(VALU_DEP_4)
	v_fmac_f64_e32 v[12:13], v[16:17], v[26:27]
	v_fma_f64 v[24:25], -v[24:25], v[28:29], v[54:55]
	s_delay_alu instid0(VALU_DEP_4) | instskip(NEXT) | instid1(VALU_DEP_4)
	v_fmac_f64_e32 v[0:1], v[22:23], v[28:29]
	v_fma_f64 v[16:17], -v[16:17], v[28:29], v[56:57]
	s_delay_alu instid0(VALU_DEP_4) | instskip(SKIP_1) | instid1(VALU_DEP_4)
	v_fmac_f64_e32 v[12:13], v[14:15], v[28:29]
	s_wait_loadcnt 0x3
	v_fmac_f64_e32 v[24:25], v[34:35], v[38:39]
	s_delay_alu instid0(VALU_DEP_4) | instskip(NEXT) | instid1(VALU_DEP_4)
	v_fmac_f64_e32 v[0:1], v[36:37], v[38:39]
	v_fmac_f64_e32 v[16:17], v[30:31], v[38:39]
	s_delay_alu instid0(VALU_DEP_4) | instskip(NEXT) | instid1(VALU_DEP_4)
	v_fmac_f64_e32 v[12:13], v[32:33], v[38:39]
	v_fma_f64 v[14:15], -v[36:37], v[40:41], v[24:25]
	s_delay_alu instid0(VALU_DEP_4) | instskip(NEXT) | instid1(VALU_DEP_4)
	v_fmac_f64_e32 v[0:1], v[34:35], v[40:41]
	v_fma_f64 v[16:17], -v[32:33], v[40:41], v[16:17]
	s_delay_alu instid0(VALU_DEP_4) | instskip(SKIP_1) | instid1(VALU_DEP_4)
	v_fmac_f64_e32 v[12:13], v[30:31], v[40:41]
	s_wait_loadcnt 0x0
	v_fmac_f64_e32 v[14:15], v[46:47], v[50:51]
	s_delay_alu instid0(VALU_DEP_4) | instskip(NEXT) | instid1(VALU_DEP_4)
	v_fmac_f64_e32 v[0:1], v[48:49], v[50:51]
	v_fmac_f64_e32 v[16:17], v[42:43], v[50:51]
	s_delay_alu instid0(VALU_DEP_4) | instskip(NEXT) | instid1(VALU_DEP_4)
	v_fmac_f64_e32 v[12:13], v[44:45], v[50:51]
	v_fma_f64 v[14:15], -v[48:49], v[52:53], v[14:15]
	s_delay_alu instid0(VALU_DEP_4) | instskip(NEXT) | instid1(VALU_DEP_4)
	v_fmac_f64_e32 v[0:1], v[46:47], v[52:53]
	v_fma_f64 v[16:17], -v[44:45], v[52:53], v[16:17]
	s_delay_alu instid0(VALU_DEP_4)
	v_fmac_f64_e32 v[12:13], v[42:43], v[52:53]
	s_and_not1_b32 exec_lo, exec_lo, s4
	s_cbranch_execnz .LBB266_7
; %bb.8:
	s_or_b32 exec_lo, exec_lo, s4
.LBB266_9:
	s_delay_alu instid0(SALU_CYCLE_1)
	s_or_b32 exec_lo, exec_lo, s3
	s_cbranch_execz .LBB266_11
	s_branch .LBB266_16
.LBB266_10:
                                        ; implicit-def: $vgpr0_vgpr1
                                        ; implicit-def: $vgpr14_vgpr15
                                        ; implicit-def: $vgpr16_vgpr17
                                        ; implicit-def: $vgpr12_vgpr13
.LBB266_11:
	v_mov_b64_e32 v[0:1], 0
	v_mov_b64_e32 v[14:15], 0
	v_mov_b64_e32 v[16:17], 0
	v_mov_b64_e32 v[12:13], 0
	s_and_saveexec_b32 s3, s2
	s_cbranch_execz .LBB266_15
; %bb.12:
	v_mad_u32 v20, v19, 18, 17
	v_mov_b64_e32 v[0:1], 0
	v_mov_b64_e32 v[14:15], 0
	;; [unrolled: 1-line block ×4, first 2 shown]
	s_mov_b32 s2, 0
.LBB266_13:                             ; =>This Inner Loop Header: Depth=1
	global_load_b32 v21, v19, s[6:7] scale_offset
	v_subrev_nc_u32_e32 v26, 17, v20
	v_dual_add_nc_u32 v38, -8, v20 :: v_dual_add_nc_u32 v46, -7, v20
	v_dual_add_nc_u32 v90, -12, v20 :: v_dual_add_nc_u32 v91, -3, v20
	s_clause 0x1
	global_load_b128 v[22:25], v26, s[8:9] offset:16 scale_offset
	global_load_b128 v[26:29], v26, s[8:9] scale_offset
	v_dual_add_nc_u32 v70, -5, v20 :: v_dual_add_nc_u32 v19, 32, v19
	s_delay_alu instid0(VALU_DEP_1) | instskip(SKIP_3) | instid1(VALU_DEP_1)
	v_cmp_ge_i32_e32 vcc_lo, v19, v18
	s_or_b32 s2, vcc_lo, s2
	s_wait_loadcnt 0x2
	v_subrev_nc_u32_e32 v21, s12, v21
	v_lshl_add_u32 v21, v21, 3, v21
	global_load_b128 v[30:33], v38, s[8:9] scale_offset
	global_load_b128 v[34:37], v21, s[10:11] scale_offset
	v_add_nc_u32_e32 v47, 1, v21
	global_load_b128 v[38:41], v46, s[8:9] scale_offset
	global_load_b128 v[42:45], v47, s[10:11] scale_offset
	s_wait_xcnt 0x1
	v_dual_add_nc_u32 v46, -15, v20 :: v_dual_add_nc_u32 v58, -6, v20
	v_dual_add_nc_u32 v59, 2, v21 :: v_dual_add_nc_u32 v71, 3, v21
	v_dual_add_nc_u32 v82, -4, v20 :: v_dual_add_nc_u32 v83, 4, v21
	s_clause 0x1
	global_load_b128 v[46:49], v46, s[8:9] scale_offset
	global_load_b128 v[50:53], v58, s[8:9] scale_offset
	;; [unrolled: 1-line block ×3, first 2 shown]
	s_wait_xcnt 0x1
	v_add_nc_u32_e32 v58, -14, v20
	s_clause 0x1
	global_load_b128 v[58:61], v58, s[8:9] scale_offset
	global_load_b128 v[62:65], v70, s[8:9] scale_offset
	;; [unrolled: 1-line block ×3, first 2 shown]
	s_wait_xcnt 0x1
	v_add_nc_u32_e32 v70, -13, v20
	s_clause 0x1
	global_load_b128 v[70:73], v70, s[8:9] scale_offset
	global_load_b128 v[74:77], v82, s[8:9] scale_offset
	;; [unrolled: 1-line block ×3, first 2 shown]
	s_clause 0x1
	global_load_b128 v[82:85], v90, s[8:9] scale_offset
	global_load_b128 v[86:89], v91, s[8:9] scale_offset
	s_wait_xcnt 0x1
	v_add_nc_u32_e32 v90, 5, v21
	s_wait_loadcnt 0xd
	v_fmac_f64_e32 v[12:13], v[32:33], v[34:35]
	v_fmac_f64_e32 v[14:15], v[26:27], v[34:35]
	;; [unrolled: 1-line block ×4, first 2 shown]
	s_delay_alu instid0(VALU_DEP_4)
	v_fmac_f64_e32 v[12:13], v[30:31], v[36:37]
	v_add_nc_u32_e32 v30, -11, v20
	global_load_b128 v[90:93], v90, s[10:11] scale_offset
	v_fma_f64 v[34:35], -v[28:29], v[36:37], v[14:15]
	v_fmac_f64_e32 v[0:1], v[26:27], v[36:37]
	v_fma_f64 v[94:95], -v[32:33], v[36:37], v[16:17]
	v_add_nc_u32_e32 v31, -2, v20
	s_clause 0x1
	global_load_b128 v[14:17], v30, s[8:9] scale_offset
	global_load_b128 v[26:29], v31, s[8:9] scale_offset
	s_wait_xcnt 0x1
	v_add_nc_u32_e32 v30, 6, v21
	global_load_b128 v[30:33], v30, s[10:11] scale_offset
	s_wait_loadcnt 0xf
	v_fmac_f64_e32 v[12:13], v[40:41], v[42:43]
	v_fmac_f64_e32 v[34:35], v[22:23], v[42:43]
	;; [unrolled: 1-line block ×4, first 2 shown]
	s_delay_alu instid0(VALU_DEP_4)
	v_fmac_f64_e32 v[12:13], v[38:39], v[44:45]
	v_dual_add_nc_u32 v38, -10, v20 :: v_dual_add_nc_u32 v39, -1, v20
	v_fma_f64 v[42:43], -v[24:25], v[44:45], v[34:35]
	v_fmac_f64_e32 v[0:1], v[22:23], v[44:45]
	v_fma_f64 v[94:95], -v[40:41], v[44:45], v[94:95]
	s_clause 0x1
	global_load_b128 v[22:25], v38, s[8:9] scale_offset
	global_load_b128 v[34:37], v39, s[8:9] scale_offset
	s_wait_xcnt 0x1
	v_dual_add_nc_u32 v38, 7, v21 :: v_dual_add_nc_u32 v21, 8, v21
	s_wait_loadcnt 0xe
	v_fmac_f64_e32 v[12:13], v[52:53], v[54:55]
	v_fmac_f64_e32 v[42:43], v[46:47], v[54:55]
	;; [unrolled: 1-line block ×4, first 2 shown]
	s_delay_alu instid0(VALU_DEP_4)
	v_fmac_f64_e32 v[12:13], v[50:51], v[56:57]
	v_add_nc_u32_e32 v50, -9, v20
	global_load_b128 v[38:41], v38, s[10:11] scale_offset
	v_fma_f64 v[54:55], -v[48:49], v[56:57], v[42:43]
	v_fmac_f64_e32 v[0:1], v[46:47], v[56:57]
	v_fma_f64 v[94:95], -v[52:53], v[56:57], v[94:95]
	s_clause 0x1
	global_load_b128 v[42:45], v20, s[8:9] scale_offset
	global_load_b128 v[46:49], v50, s[8:9] scale_offset
	global_load_b128 v[50:53], v21, s[10:11] scale_offset
	v_add_nc_u32_e32 v20, 0x240, v20
	s_wait_loadcnt 0xf
	v_fmac_f64_e32 v[12:13], v[64:65], v[66:67]
	v_fmac_f64_e32 v[54:55], v[58:59], v[66:67]
	;; [unrolled: 1-line block ×4, first 2 shown]
	s_delay_alu instid0(VALU_DEP_4) | instskip(NEXT) | instid1(VALU_DEP_4)
	v_fmac_f64_e32 v[12:13], v[62:63], v[68:69]
	v_fma_f64 v[54:55], -v[60:61], v[68:69], v[54:55]
	s_delay_alu instid0(VALU_DEP_4) | instskip(NEXT) | instid1(VALU_DEP_4)
	v_fmac_f64_e32 v[0:1], v[58:59], v[68:69]
	v_fma_f64 v[56:57], -v[64:65], v[68:69], v[94:95]
	s_wait_loadcnt 0xc
	s_delay_alu instid0(VALU_DEP_4) | instskip(NEXT) | instid1(VALU_DEP_4)
	v_fmac_f64_e32 v[12:13], v[76:77], v[78:79]
	v_fmac_f64_e32 v[54:55], v[70:71], v[78:79]
	s_delay_alu instid0(VALU_DEP_4) | instskip(NEXT) | instid1(VALU_DEP_4)
	v_fmac_f64_e32 v[0:1], v[72:73], v[78:79]
	v_fmac_f64_e32 v[56:57], v[74:75], v[78:79]
	s_delay_alu instid0(VALU_DEP_4) | instskip(NEXT) | instid1(VALU_DEP_4)
	v_fmac_f64_e32 v[12:13], v[74:75], v[80:81]
	v_fma_f64 v[54:55], -v[72:73], v[80:81], v[54:55]
	s_delay_alu instid0(VALU_DEP_4) | instskip(NEXT) | instid1(VALU_DEP_4)
	v_fmac_f64_e32 v[0:1], v[70:71], v[80:81]
	v_fma_f64 v[56:57], -v[76:77], v[80:81], v[56:57]
	s_wait_loadcnt 0x9
	s_delay_alu instid0(VALU_DEP_3) | instskip(NEXT) | instid1(VALU_DEP_3)
	v_fmac_f64_e32 v[54:55], v[82:83], v[90:91]
	v_fmac_f64_e32 v[0:1], v[84:85], v[90:91]
	s_delay_alu instid0(VALU_DEP_3) | instskip(SKIP_1) | instid1(VALU_DEP_4)
	v_fmac_f64_e32 v[56:57], v[86:87], v[90:91]
	v_fmac_f64_e32 v[12:13], v[88:89], v[90:91]
	v_fma_f64 v[54:55], -v[84:85], v[92:93], v[54:55]
	s_delay_alu instid0(VALU_DEP_4) | instskip(NEXT) | instid1(VALU_DEP_4)
	v_fmac_f64_e32 v[0:1], v[82:83], v[92:93]
	v_fma_f64 v[56:57], -v[88:89], v[92:93], v[56:57]
	s_delay_alu instid0(VALU_DEP_4) | instskip(SKIP_1) | instid1(VALU_DEP_4)
	v_fmac_f64_e32 v[12:13], v[86:87], v[92:93]
	s_wait_loadcnt 0x6
	v_fmac_f64_e32 v[54:55], v[14:15], v[30:31]
	s_delay_alu instid0(VALU_DEP_4) | instskip(NEXT) | instid1(VALU_DEP_4)
	v_fmac_f64_e32 v[0:1], v[16:17], v[30:31]
	v_fmac_f64_e32 v[56:57], v[26:27], v[30:31]
	s_delay_alu instid0(VALU_DEP_4) | instskip(NEXT) | instid1(VALU_DEP_4)
	v_fmac_f64_e32 v[12:13], v[28:29], v[30:31]
	v_fma_f64 v[16:17], -v[16:17], v[32:33], v[54:55]
	s_delay_alu instid0(VALU_DEP_4) | instskip(NEXT) | instid1(VALU_DEP_4)
	v_fmac_f64_e32 v[0:1], v[14:15], v[32:33]
	v_fma_f64 v[14:15], -v[28:29], v[32:33], v[56:57]
	s_delay_alu instid0(VALU_DEP_4) | instskip(SKIP_1) | instid1(VALU_DEP_4)
	v_fmac_f64_e32 v[12:13], v[26:27], v[32:33]
	s_wait_loadcnt 0x3
	v_fmac_f64_e32 v[16:17], v[22:23], v[38:39]
	s_delay_alu instid0(VALU_DEP_4) | instskip(NEXT) | instid1(VALU_DEP_4)
	v_fmac_f64_e32 v[0:1], v[24:25], v[38:39]
	v_fmac_f64_e32 v[14:15], v[34:35], v[38:39]
	s_delay_alu instid0(VALU_DEP_4) | instskip(NEXT) | instid1(VALU_DEP_4)
	;; [unrolled: 13-line block ×3, first 2 shown]
	v_fmac_f64_e32 v[12:13], v[44:45], v[50:51]
	v_fma_f64 v[14:15], -v[48:49], v[52:53], v[16:17]
	s_delay_alu instid0(VALU_DEP_4) | instskip(NEXT) | instid1(VALU_DEP_4)
	v_fmac_f64_e32 v[0:1], v[46:47], v[52:53]
	v_fma_f64 v[16:17], -v[44:45], v[52:53], v[22:23]
	s_delay_alu instid0(VALU_DEP_4)
	v_fmac_f64_e32 v[12:13], v[42:43], v[52:53]
	s_and_not1_b32 exec_lo, exec_lo, s2
	s_cbranch_execnz .LBB266_13
; %bb.14:
	s_or_b32 exec_lo, exec_lo, s2
.LBB266_15:
	s_delay_alu instid0(SALU_CYCLE_1)
	s_or_b32 exec_lo, exec_lo, s3
.LBB266_16:
	v_mbcnt_lo_u32_b32 v28, -1, 0
	s_delay_alu instid0(VALU_DEP_1) | instskip(NEXT) | instid1(VALU_DEP_1)
	v_xor_b32_e32 v18, 16, v28
	v_cmp_gt_i32_e32 vcc_lo, 32, v18
	v_cndmask_b32_e32 v18, v28, v18, vcc_lo
	s_delay_alu instid0(VALU_DEP_1)
	v_lshlrev_b32_e32 v25, 2, v18
	ds_bpermute_b32 v20, v25, v0
	ds_bpermute_b32 v21, v25, v1
	s_wait_dscnt 0x0
	v_add_f64_e32 v[0:1], v[0:1], v[20:21]
	ds_bpermute_b32 v18, v25, v14
	ds_bpermute_b32 v19, v25, v15
	;; [unrolled: 1-line block ×6, first 2 shown]
	s_wait_dscnt 0x4
	v_dual_add_f64 v[14:15], v[14:15], v[18:19] :: v_dual_bitop2_b32 v18, 8, v28 bitop3:0x14
	s_wait_dscnt 0x2
	v_add_f64_e32 v[16:17], v[16:17], v[22:23]
	s_delay_alu instid0(VALU_DEP_2) | instskip(SKIP_2) | instid1(VALU_DEP_1)
	v_cmp_gt_i32_e32 vcc_lo, 32, v18
	v_cndmask_b32_e32 v18, v28, v18, vcc_lo
	s_wait_dscnt 0x0
	v_dual_add_f64 v[12:13], v[12:13], v[24:25] :: v_dual_lshlrev_b32 v25, 2, v18
	ds_bpermute_b32 v20, v25, v0
	ds_bpermute_b32 v21, v25, v1
	;; [unrolled: 1-line block ×8, first 2 shown]
	s_wait_dscnt 0x4
	v_dual_add_f64 v[14:15], v[14:15], v[18:19] :: v_dual_bitop2_b32 v18, 4, v28 bitop3:0x14
	s_wait_dscnt 0x2
	v_add_f64_e32 v[16:17], v[16:17], v[22:23]
	s_delay_alu instid0(VALU_DEP_2) | instskip(SKIP_3) | instid1(VALU_DEP_2)
	v_cmp_gt_i32_e32 vcc_lo, 32, v18
	v_cndmask_b32_e32 v18, v28, v18, vcc_lo
	v_add_f64_e32 v[0:1], v[0:1], v[20:21]
	s_wait_dscnt 0x0
	v_dual_add_f64 v[12:13], v[12:13], v[24:25] :: v_dual_lshlrev_b32 v25, 2, v18
	ds_bpermute_b32 v18, v25, v14
	ds_bpermute_b32 v19, v25, v15
	;; [unrolled: 1-line block ×8, first 2 shown]
	s_wait_dscnt 0x6
	v_add_f64_e32 v[14:15], v[14:15], v[18:19]
	s_wait_dscnt 0x2
	v_add_f64_e32 v[18:19], v[0:1], v[20:21]
	v_add_f64_e32 v[20:21], v[16:17], v[22:23]
	s_wait_dscnt 0x0
	v_add_f64_e32 v[22:23], v[12:13], v[24:25]
	v_xor_b32_e32 v0, 2, v28
	s_delay_alu instid0(VALU_DEP_1) | instskip(SKIP_1) | instid1(VALU_DEP_1)
	v_cmp_gt_i32_e32 vcc_lo, 32, v0
	v_cndmask_b32_e32 v0, v28, v0, vcc_lo
	v_lshlrev_b32_e32 v16, 2, v0
	ds_bpermute_b32 v0, v16, v14
	ds_bpermute_b32 v1, v16, v15
	;; [unrolled: 1-line block ×8, first 2 shown]
	s_wait_dscnt 0x4
	v_add_f64_e32 v[16:17], v[18:19], v[12:13]
	v_xor_b32_e32 v18, 1, v28
	s_wait_dscnt 0x2
	v_add_f64_e32 v[12:13], v[20:21], v[24:25]
	s_delay_alu instid0(VALU_DEP_2)
	v_cmp_gt_i32_e32 vcc_lo, 32, v18
	v_add_f64_e32 v[0:1], v[14:15], v[0:1]
	s_wait_dscnt 0x0
	v_add_f64_e32 v[14:15], v[22:23], v[26:27]
	v_cndmask_b32_e32 v18, v28, v18, vcc_lo
	v_cmp_eq_u32_e32 vcc_lo, 31, v11
	s_delay_alu instid0(VALU_DEP_2)
	v_lshlrev_b32_e32 v21, 2, v18
	ds_bpermute_b32 v22, v21, v16
	ds_bpermute_b32 v23, v21, v17
	ds_bpermute_b32 v18, v21, v12
	ds_bpermute_b32 v19, v21, v13
	ds_bpermute_b32 v24, v21, v0
	ds_bpermute_b32 v25, v21, v1
	ds_bpermute_b32 v20, v21, v14
	ds_bpermute_b32 v21, v21, v15
	s_and_b32 exec_lo, exec_lo, vcc_lo
	s_cbranch_execz .LBB266_21
; %bb.17:
	v_cmp_eq_f64_e32 vcc_lo, 0, v[6:7]
	v_cmp_eq_f64_e64 s2, 0, v[8:9]
	s_wait_dscnt 0x2
	v_add_f64_e32 v[0:1], v[0:1], v[24:25]
	v_add_f64_e32 v[16:17], v[16:17], v[22:23]
	;; [unrolled: 1-line block ×3, first 2 shown]
	s_wait_dscnt 0x0
	v_add_f64_e32 v[14:15], v[14:15], v[20:21]
	s_load_b64 s[0:1], s[0:1], 0x48
	s_and_b32 s2, vcc_lo, s2
	s_delay_alu instid0(SALU_CYCLE_1) | instskip(NEXT) | instid1(SALU_CYCLE_1)
	s_and_saveexec_b32 s3, s2
	s_xor_b32 s2, exec_lo, s3
	s_cbranch_execz .LBB266_19
; %bb.18:
	s_delay_alu instid0(VALU_DEP_3) | instskip(SKIP_1) | instid1(VALU_DEP_3)
	v_mul_f64_e64 v[6:7], v[16:17], -v[4:5]
	v_mul_f64_e32 v[8:9], v[2:3], v[16:17]
	v_mul_f64_e64 v[16:17], v[14:15], -v[4:5]
	v_mul_f64_e32 v[18:19], v[2:3], v[14:15]
                                        ; implicit-def: $vgpr14_vgpr15
	s_delay_alu instid0(VALU_DEP_4) | instskip(NEXT) | instid1(VALU_DEP_4)
	v_fmac_f64_e32 v[6:7], v[2:3], v[0:1]
	v_fmac_f64_e32 v[8:9], v[4:5], v[0:1]
	s_delay_alu instid0(VALU_DEP_4) | instskip(NEXT) | instid1(VALU_DEP_4)
	v_fmac_f64_e32 v[16:17], v[2:3], v[12:13]
	v_fmac_f64_e32 v[18:19], v[4:5], v[12:13]
	v_lshlrev_b32_e32 v0, 1, v10
                                        ; implicit-def: $vgpr10
                                        ; implicit-def: $vgpr12_vgpr13
                                        ; implicit-def: $vgpr4_vgpr5
	s_wait_kmcnt 0x0
	s_clause 0x1
	global_store_b128 v0, v[6:9], s[0:1] scale_offset
	global_store_b128 v0, v[16:19], s[0:1] offset:16 scale_offset
                                        ; implicit-def: $vgpr0_vgpr1
                                        ; implicit-def: $vgpr16_vgpr17
                                        ; implicit-def: $vgpr8_vgpr9
.LBB266_19:
	s_wait_xcnt 0x0
	s_and_not1_saveexec_b32 s2, s2
	s_cbranch_execz .LBB266_21
; %bb.20:
	s_delay_alu instid0(VALU_DEP_3) | instskip(SKIP_1) | instid1(VALU_DEP_3)
	v_dual_mul_f64 v[26:27], v[16:17], -v[4:5] :: v_dual_lshlrev_b32 v30, 1, v10
	v_mul_f64_e32 v[16:17], v[2:3], v[16:17]
	v_mul_f64_e64 v[28:29], v[14:15], -v[4:5]
	v_mul_f64_e32 v[10:11], v[2:3], v[14:15]
	s_wait_kmcnt 0x0
	s_clause 0x1
	global_load_b128 v[18:21], v30, s[0:1] scale_offset
	global_load_b128 v[22:25], v30, s[0:1] offset:16 scale_offset
	v_fmac_f64_e32 v[26:27], v[2:3], v[0:1]
	v_fmac_f64_e32 v[16:17], v[4:5], v[0:1]
	;; [unrolled: 1-line block ×4, first 2 shown]
	s_wait_loadcnt 0x1
	s_delay_alu instid0(VALU_DEP_4) | instskip(NEXT) | instid1(VALU_DEP_4)
	v_fmac_f64_e32 v[26:27], v[6:7], v[18:19]
	v_fmac_f64_e32 v[16:17], v[8:9], v[18:19]
	s_wait_loadcnt 0x0
	s_delay_alu instid0(VALU_DEP_4) | instskip(NEXT) | instid1(VALU_DEP_4)
	v_fmac_f64_e32 v[28:29], v[6:7], v[22:23]
	v_fmac_f64_e32 v[10:11], v[8:9], v[22:23]
	s_delay_alu instid0(VALU_DEP_4) | instskip(NEXT) | instid1(VALU_DEP_4)
	v_fma_f64 v[14:15], -v[8:9], v[20:21], v[26:27]
	v_fmac_f64_e32 v[16:17], v[6:7], v[20:21]
	s_delay_alu instid0(VALU_DEP_4) | instskip(NEXT) | instid1(VALU_DEP_4)
	v_fma_f64 v[8:9], -v[8:9], v[24:25], v[28:29]
	v_fmac_f64_e32 v[10:11], v[6:7], v[24:25]
	s_clause 0x1
	global_store_b128 v30, v[14:17], s[0:1] scale_offset
	global_store_b128 v30, v[8:11], s[0:1] offset:16 scale_offset
.LBB266_21:
	s_sendmsg sendmsg(MSG_DEALLOC_VGPRS)
	s_endpgm
	.section	.rodata,"a",@progbits
	.p2align	6, 0x0
	.amdhsa_kernel _ZN9rocsparseL19gebsrmvn_2xn_kernelILj128ELj9ELj32E21rocsparse_complex_numIdEEEvi20rocsparse_direction_NS_24const_host_device_scalarIT2_EEPKiS8_PKS5_SA_S6_PS5_21rocsparse_index_base_b
		.amdhsa_group_segment_fixed_size 0
		.amdhsa_private_segment_fixed_size 0
		.amdhsa_kernarg_size 88
		.amdhsa_user_sgpr_count 2
		.amdhsa_user_sgpr_dispatch_ptr 0
		.amdhsa_user_sgpr_queue_ptr 0
		.amdhsa_user_sgpr_kernarg_segment_ptr 1
		.amdhsa_user_sgpr_dispatch_id 0
		.amdhsa_user_sgpr_kernarg_preload_length 0
		.amdhsa_user_sgpr_kernarg_preload_offset 0
		.amdhsa_user_sgpr_private_segment_size 0
		.amdhsa_wavefront_size32 1
		.amdhsa_uses_dynamic_stack 0
		.amdhsa_enable_private_segment 0
		.amdhsa_system_sgpr_workgroup_id_x 1
		.amdhsa_system_sgpr_workgroup_id_y 0
		.amdhsa_system_sgpr_workgroup_id_z 0
		.amdhsa_system_sgpr_workgroup_info 0
		.amdhsa_system_vgpr_workitem_id 0
		.amdhsa_next_free_vgpr 97
		.amdhsa_next_free_sgpr 14
		.amdhsa_named_barrier_count 0
		.amdhsa_reserve_vcc 1
		.amdhsa_float_round_mode_32 0
		.amdhsa_float_round_mode_16_64 0
		.amdhsa_float_denorm_mode_32 3
		.amdhsa_float_denorm_mode_16_64 3
		.amdhsa_fp16_overflow 0
		.amdhsa_memory_ordered 1
		.amdhsa_forward_progress 1
		.amdhsa_inst_pref_size 28
		.amdhsa_round_robin_scheduling 0
		.amdhsa_exception_fp_ieee_invalid_op 0
		.amdhsa_exception_fp_denorm_src 0
		.amdhsa_exception_fp_ieee_div_zero 0
		.amdhsa_exception_fp_ieee_overflow 0
		.amdhsa_exception_fp_ieee_underflow 0
		.amdhsa_exception_fp_ieee_inexact 0
		.amdhsa_exception_int_div_zero 0
	.end_amdhsa_kernel
	.section	.text._ZN9rocsparseL19gebsrmvn_2xn_kernelILj128ELj9ELj32E21rocsparse_complex_numIdEEEvi20rocsparse_direction_NS_24const_host_device_scalarIT2_EEPKiS8_PKS5_SA_S6_PS5_21rocsparse_index_base_b,"axG",@progbits,_ZN9rocsparseL19gebsrmvn_2xn_kernelILj128ELj9ELj32E21rocsparse_complex_numIdEEEvi20rocsparse_direction_NS_24const_host_device_scalarIT2_EEPKiS8_PKS5_SA_S6_PS5_21rocsparse_index_base_b,comdat
.Lfunc_end266:
	.size	_ZN9rocsparseL19gebsrmvn_2xn_kernelILj128ELj9ELj32E21rocsparse_complex_numIdEEEvi20rocsparse_direction_NS_24const_host_device_scalarIT2_EEPKiS8_PKS5_SA_S6_PS5_21rocsparse_index_base_b, .Lfunc_end266-_ZN9rocsparseL19gebsrmvn_2xn_kernelILj128ELj9ELj32E21rocsparse_complex_numIdEEEvi20rocsparse_direction_NS_24const_host_device_scalarIT2_EEPKiS8_PKS5_SA_S6_PS5_21rocsparse_index_base_b
                                        ; -- End function
	.set _ZN9rocsparseL19gebsrmvn_2xn_kernelILj128ELj9ELj32E21rocsparse_complex_numIdEEEvi20rocsparse_direction_NS_24const_host_device_scalarIT2_EEPKiS8_PKS5_SA_S6_PS5_21rocsparse_index_base_b.num_vgpr, 97
	.set _ZN9rocsparseL19gebsrmvn_2xn_kernelILj128ELj9ELj32E21rocsparse_complex_numIdEEEvi20rocsparse_direction_NS_24const_host_device_scalarIT2_EEPKiS8_PKS5_SA_S6_PS5_21rocsparse_index_base_b.num_agpr, 0
	.set _ZN9rocsparseL19gebsrmvn_2xn_kernelILj128ELj9ELj32E21rocsparse_complex_numIdEEEvi20rocsparse_direction_NS_24const_host_device_scalarIT2_EEPKiS8_PKS5_SA_S6_PS5_21rocsparse_index_base_b.numbered_sgpr, 14
	.set _ZN9rocsparseL19gebsrmvn_2xn_kernelILj128ELj9ELj32E21rocsparse_complex_numIdEEEvi20rocsparse_direction_NS_24const_host_device_scalarIT2_EEPKiS8_PKS5_SA_S6_PS5_21rocsparse_index_base_b.num_named_barrier, 0
	.set _ZN9rocsparseL19gebsrmvn_2xn_kernelILj128ELj9ELj32E21rocsparse_complex_numIdEEEvi20rocsparse_direction_NS_24const_host_device_scalarIT2_EEPKiS8_PKS5_SA_S6_PS5_21rocsparse_index_base_b.private_seg_size, 0
	.set _ZN9rocsparseL19gebsrmvn_2xn_kernelILj128ELj9ELj32E21rocsparse_complex_numIdEEEvi20rocsparse_direction_NS_24const_host_device_scalarIT2_EEPKiS8_PKS5_SA_S6_PS5_21rocsparse_index_base_b.uses_vcc, 1
	.set _ZN9rocsparseL19gebsrmvn_2xn_kernelILj128ELj9ELj32E21rocsparse_complex_numIdEEEvi20rocsparse_direction_NS_24const_host_device_scalarIT2_EEPKiS8_PKS5_SA_S6_PS5_21rocsparse_index_base_b.uses_flat_scratch, 0
	.set _ZN9rocsparseL19gebsrmvn_2xn_kernelILj128ELj9ELj32E21rocsparse_complex_numIdEEEvi20rocsparse_direction_NS_24const_host_device_scalarIT2_EEPKiS8_PKS5_SA_S6_PS5_21rocsparse_index_base_b.has_dyn_sized_stack, 0
	.set _ZN9rocsparseL19gebsrmvn_2xn_kernelILj128ELj9ELj32E21rocsparse_complex_numIdEEEvi20rocsparse_direction_NS_24const_host_device_scalarIT2_EEPKiS8_PKS5_SA_S6_PS5_21rocsparse_index_base_b.has_recursion, 0
	.set _ZN9rocsparseL19gebsrmvn_2xn_kernelILj128ELj9ELj32E21rocsparse_complex_numIdEEEvi20rocsparse_direction_NS_24const_host_device_scalarIT2_EEPKiS8_PKS5_SA_S6_PS5_21rocsparse_index_base_b.has_indirect_call, 0
	.section	.AMDGPU.csdata,"",@progbits
; Kernel info:
; codeLenInByte = 3476
; TotalNumSgprs: 16
; NumVgprs: 97
; ScratchSize: 0
; MemoryBound: 0
; FloatMode: 240
; IeeeMode: 1
; LDSByteSize: 0 bytes/workgroup (compile time only)
; SGPRBlocks: 0
; VGPRBlocks: 6
; NumSGPRsForWavesPerEU: 16
; NumVGPRsForWavesPerEU: 97
; NamedBarCnt: 0
; Occupancy: 9
; WaveLimiterHint : 1
; COMPUTE_PGM_RSRC2:SCRATCH_EN: 0
; COMPUTE_PGM_RSRC2:USER_SGPR: 2
; COMPUTE_PGM_RSRC2:TRAP_HANDLER: 0
; COMPUTE_PGM_RSRC2:TGID_X_EN: 1
; COMPUTE_PGM_RSRC2:TGID_Y_EN: 0
; COMPUTE_PGM_RSRC2:TGID_Z_EN: 0
; COMPUTE_PGM_RSRC2:TIDIG_COMP_CNT: 0
	.section	.text._ZN9rocsparseL19gebsrmvn_2xn_kernelILj128ELj9ELj64E21rocsparse_complex_numIdEEEvi20rocsparse_direction_NS_24const_host_device_scalarIT2_EEPKiS8_PKS5_SA_S6_PS5_21rocsparse_index_base_b,"axG",@progbits,_ZN9rocsparseL19gebsrmvn_2xn_kernelILj128ELj9ELj64E21rocsparse_complex_numIdEEEvi20rocsparse_direction_NS_24const_host_device_scalarIT2_EEPKiS8_PKS5_SA_S6_PS5_21rocsparse_index_base_b,comdat
	.globl	_ZN9rocsparseL19gebsrmvn_2xn_kernelILj128ELj9ELj64E21rocsparse_complex_numIdEEEvi20rocsparse_direction_NS_24const_host_device_scalarIT2_EEPKiS8_PKS5_SA_S6_PS5_21rocsparse_index_base_b ; -- Begin function _ZN9rocsparseL19gebsrmvn_2xn_kernelILj128ELj9ELj64E21rocsparse_complex_numIdEEEvi20rocsparse_direction_NS_24const_host_device_scalarIT2_EEPKiS8_PKS5_SA_S6_PS5_21rocsparse_index_base_b
	.p2align	8
	.type	_ZN9rocsparseL19gebsrmvn_2xn_kernelILj128ELj9ELj64E21rocsparse_complex_numIdEEEvi20rocsparse_direction_NS_24const_host_device_scalarIT2_EEPKiS8_PKS5_SA_S6_PS5_21rocsparse_index_base_b,@function
_ZN9rocsparseL19gebsrmvn_2xn_kernelILj128ELj9ELj64E21rocsparse_complex_numIdEEEvi20rocsparse_direction_NS_24const_host_device_scalarIT2_EEPKiS8_PKS5_SA_S6_PS5_21rocsparse_index_base_b: ; @_ZN9rocsparseL19gebsrmvn_2xn_kernelILj128ELj9ELj64E21rocsparse_complex_numIdEEEvi20rocsparse_direction_NS_24const_host_device_scalarIT2_EEPKiS8_PKS5_SA_S6_PS5_21rocsparse_index_base_b
; %bb.0:
	s_clause 0x1
	s_load_b64 s[12:13], s[0:1], 0x50
	s_load_b64 s[2:3], s[0:1], 0x8
	v_mov_b32_e32 v1, 0
	s_add_nc_u64 s[4:5], s[0:1], 8
	s_load_b64 s[6:7], s[0:1], 0x38
	s_wait_kmcnt 0x0
	s_bitcmp1_b32 s13, 0
	s_cselect_b32 s3, s5, s3
	s_cselect_b32 s2, s4, s2
	flat_load_b128 v[2:5], v1, s[2:3]
	s_wait_xcnt 0x0
	s_add_nc_u64 s[2:3], s[0:1], 56
	s_delay_alu instid0(SALU_CYCLE_1)
	s_cselect_b32 s3, s3, s7
	s_cselect_b32 s2, s2, s6
	flat_load_b128 v[6:9], v1, s[2:3]
	s_wait_loadcnt_dscnt 0x101
	v_cmp_eq_f64_e32 vcc_lo, 0, v[2:3]
	s_wait_xcnt 0x0
	v_cmp_eq_f64_e64 s2, 0, v[4:5]
	s_and_b32 s4, vcc_lo, s2
	s_mov_b32 s2, -1
	s_and_saveexec_b32 s3, s4
	s_cbranch_execz .LBB267_2
; %bb.1:
	s_wait_loadcnt_dscnt 0x0
	v_cmp_neq_f64_e32 vcc_lo, 1.0, v[6:7]
	v_cmp_neq_f64_e64 s2, 0, v[8:9]
	s_or_b32 s2, vcc_lo, s2
	s_delay_alu instid0(SALU_CYCLE_1)
	s_or_not1_b32 s2, s2, exec_lo
.LBB267_2:
	s_or_b32 exec_lo, exec_lo, s3
	s_and_saveexec_b32 s3, s2
	s_cbranch_execz .LBB267_21
; %bb.3:
	s_load_b64 s[2:3], s[0:1], 0x0
	s_bfe_u32 s4, ttmp6, 0x4000c
	s_and_b32 s5, ttmp6, 15
	s_add_co_i32 s4, s4, 1
	s_getreg_b32 s6, hwreg(HW_REG_IB_STS2, 6, 4)
	s_mul_i32 s4, ttmp9, s4
	v_lshrrev_b32_e32 v1, 6, v0
	s_add_co_i32 s5, s5, s4
	s_cmp_eq_u32 s6, 0
	s_cselect_b32 s4, ttmp9, s5
	s_delay_alu instid0(VALU_DEP_1) | instid1(SALU_CYCLE_1)
	v_lshl_or_b32 v10, s4, 1, v1
	s_wait_kmcnt 0x0
	s_delay_alu instid0(VALU_DEP_1)
	v_cmp_gt_i32_e32 vcc_lo, s2, v10
	s_and_b32 exec_lo, exec_lo, vcc_lo
	s_cbranch_execz .LBB267_21
; %bb.4:
	s_load_b256 s[4:11], s[0:1], 0x18
	v_ashrrev_i32_e32 v11, 31, v10
	s_cmp_lg_u32 s3, 0
	s_wait_kmcnt 0x0
	s_delay_alu instid0(VALU_DEP_1)
	v_lshl_add_u64 v[12:13], v[10:11], 2, s[4:5]
	v_and_b32_e32 v11, 63, v0
	global_load_b64 v[12:13], v[12:13], off
	s_wait_loadcnt 0x0
	v_subrev_nc_u32_e32 v0, s12, v12
	v_subrev_nc_u32_e32 v18, s12, v13
	s_delay_alu instid0(VALU_DEP_2) | instskip(NEXT) | instid1(VALU_DEP_1)
	v_add_nc_u32_e32 v19, v0, v11
	v_cmp_lt_i32_e64 s2, v19, v18
	s_cbranch_scc0 .LBB267_10
; %bb.5:
	v_mov_b64_e32 v[0:1], 0
	v_mov_b64_e32 v[14:15], 0
	;; [unrolled: 1-line block ×4, first 2 shown]
	s_and_saveexec_b32 s3, s2
	s_cbranch_execz .LBB267_9
; %bb.6:
	v_mad_u32 v20, v19, 18, 16
	v_mov_b64_e32 v[0:1], 0
	v_mov_b64_e32 v[14:15], 0
	;; [unrolled: 1-line block ×4, first 2 shown]
	v_mov_b32_e32 v21, v19
	s_mov_b32 s4, 0
.LBB267_7:                              ; =>This Inner Loop Header: Depth=1
	global_load_b32 v22, v21, s[6:7] scale_offset
	v_dual_add_nc_u32 v34, -16, v20 :: v_dual_add_nc_u32 v46, -14, v20
	v_dual_add_nc_u32 v58, -12, v20 :: v_dual_add_nc_u32 v70, -10, v20
	;; [unrolled: 1-line block ×3, first 2 shown]
	s_wait_xcnt 0x0
	v_add_nc_u32_e32 v21, 64, v21
	s_delay_alu instid0(VALU_DEP_1)
	v_cmp_ge_i32_e32 vcc_lo, v21, v18
	s_or_b32 s4, vcc_lo, s4
	s_wait_loadcnt 0x0
	v_subrev_nc_u32_e32 v26, s12, v22
	global_load_b128 v[22:25], v34, s[8:9] offset:16 scale_offset
	v_lshl_add_u32 v96, v26, 3, v26
	global_load_b128 v[26:29], v34, s[8:9] scale_offset
	global_load_b128 v[30:33], v96, s[10:11] scale_offset
	v_dual_add_nc_u32 v47, 1, v96 :: v_dual_add_nc_u32 v59, 2, v96
	global_load_b128 v[34:37], v46, s[8:9] offset:16 scale_offset
	v_dual_add_nc_u32 v71, 3, v96 :: v_dual_add_nc_u32 v83, 4, v96
	global_load_b128 v[38:41], v46, s[8:9] scale_offset
	global_load_b128 v[42:45], v47, s[10:11] scale_offset
	s_clause 0x1
	global_load_b128 v[46:49], v58, s[8:9] offset:16 scale_offset
	global_load_b128 v[50:53], v58, s[8:9] scale_offset
	global_load_b128 v[54:57], v59, s[10:11] scale_offset
	s_clause 0x1
	global_load_b128 v[58:61], v70, s[8:9] offset:16 scale_offset
	;; [unrolled: 4-line block ×4, first 2 shown]
	global_load_b128 v[86:89], v90, s[8:9] scale_offset
	s_wait_xcnt 0x0
	v_add_nc_u32_e32 v90, 5, v96
	global_load_b128 v[90:93], v90, s[10:11] scale_offset
	s_wait_loadcnt 0xf
	v_fmac_f64_e32 v[0:1], v[28:29], v[30:31]
	v_fmac_f64_e32 v[14:15], v[26:27], v[30:31]
	v_fmac_f64_e32 v[16:17], v[22:23], v[30:31]
	v_fmac_f64_e32 v[12:13], v[24:25], v[30:31]
	s_delay_alu instid0(VALU_DEP_4) | instskip(NEXT) | instid1(VALU_DEP_4)
	v_fmac_f64_e32 v[0:1], v[26:27], v[32:33]
	v_fma_f64 v[30:31], -v[28:29], v[32:33], v[14:15]
	s_delay_alu instid0(VALU_DEP_4) | instskip(NEXT) | instid1(VALU_DEP_4)
	v_fma_f64 v[94:95], -v[24:25], v[32:33], v[16:17]
	v_fmac_f64_e32 v[12:13], v[22:23], v[32:33]
	v_add_nc_u32_e32 v26, -4, v20
	s_wait_loadcnt 0xc
	v_fmac_f64_e32 v[0:1], v[40:41], v[42:43]
	v_fmac_f64_e32 v[30:31], v[38:39], v[42:43]
	;; [unrolled: 1-line block ×4, first 2 shown]
	s_delay_alu instid0(VALU_DEP_4)
	v_fmac_f64_e32 v[0:1], v[38:39], v[44:45]
	v_add_nc_u32_e32 v38, -2, v20
	s_clause 0x1
	global_load_b128 v[14:17], v26, s[8:9] offset:16 scale_offset
	global_load_b128 v[22:25], v26, s[8:9] scale_offset
	s_wait_xcnt 0x0
	v_add_nc_u32_e32 v26, 6, v96
	v_fma_f64 v[42:43], -v[40:41], v[44:45], v[30:31]
	v_fma_f64 v[94:95], -v[36:37], v[44:45], v[94:95]
	v_fmac_f64_e32 v[12:13], v[34:35], v[44:45]
	global_load_b128 v[26:29], v26, s[10:11] scale_offset
	s_clause 0x1
	global_load_b128 v[30:33], v38, s[8:9] offset:16 scale_offset
	global_load_b128 v[34:37], v38, s[8:9] scale_offset
	s_wait_xcnt 0x0
	v_add_nc_u32_e32 v38, 7, v96
	s_wait_loadcnt 0xe
	v_fmac_f64_e32 v[0:1], v[52:53], v[54:55]
	v_fmac_f64_e32 v[42:43], v[50:51], v[54:55]
	;; [unrolled: 1-line block ×4, first 2 shown]
	s_delay_alu instid0(VALU_DEP_4)
	v_fmac_f64_e32 v[0:1], v[50:51], v[56:57]
	v_add_nc_u32_e32 v50, 8, v96
	global_load_b128 v[38:41], v38, s[10:11] scale_offset
	v_fma_f64 v[54:55], -v[52:53], v[56:57], v[42:43]
	v_fma_f64 v[94:95], -v[48:49], v[56:57], v[94:95]
	v_fmac_f64_e32 v[12:13], v[46:47], v[56:57]
	s_clause 0x1
	global_load_b128 v[42:45], v20, s[8:9] offset:16 scale_offset
	global_load_b128 v[46:49], v20, s[8:9] scale_offset
	global_load_b128 v[50:53], v50, s[10:11] scale_offset
	s_wait_xcnt 0x1
	v_add_nc_u32_e32 v20, 0x480, v20
	s_wait_loadcnt 0xf
	v_fmac_f64_e32 v[0:1], v[64:65], v[66:67]
	v_fmac_f64_e32 v[54:55], v[62:63], v[66:67]
	;; [unrolled: 1-line block ×4, first 2 shown]
	s_delay_alu instid0(VALU_DEP_4) | instskip(NEXT) | instid1(VALU_DEP_4)
	v_fmac_f64_e32 v[0:1], v[62:63], v[68:69]
	v_fma_f64 v[54:55], -v[64:65], v[68:69], v[54:55]
	s_delay_alu instid0(VALU_DEP_4) | instskip(NEXT) | instid1(VALU_DEP_4)
	v_fma_f64 v[56:57], -v[60:61], v[68:69], v[94:95]
	v_fmac_f64_e32 v[12:13], v[58:59], v[68:69]
	s_wait_loadcnt 0xc
	s_delay_alu instid0(VALU_DEP_4) | instskip(NEXT) | instid1(VALU_DEP_4)
	v_fmac_f64_e32 v[0:1], v[76:77], v[78:79]
	v_fmac_f64_e32 v[54:55], v[74:75], v[78:79]
	s_delay_alu instid0(VALU_DEP_4) | instskip(NEXT) | instid1(VALU_DEP_4)
	v_fmac_f64_e32 v[56:57], v[70:71], v[78:79]
	v_fmac_f64_e32 v[12:13], v[72:73], v[78:79]
	s_delay_alu instid0(VALU_DEP_4) | instskip(NEXT) | instid1(VALU_DEP_4)
	v_fmac_f64_e32 v[0:1], v[74:75], v[80:81]
	v_fma_f64 v[54:55], -v[76:77], v[80:81], v[54:55]
	s_delay_alu instid0(VALU_DEP_4) | instskip(NEXT) | instid1(VALU_DEP_4)
	v_fma_f64 v[56:57], -v[72:73], v[80:81], v[56:57]
	v_fmac_f64_e32 v[12:13], v[70:71], v[80:81]
	s_wait_loadcnt 0x9
	s_delay_alu instid0(VALU_DEP_4) | instskip(NEXT) | instid1(VALU_DEP_4)
	v_fmac_f64_e32 v[0:1], v[88:89], v[90:91]
	v_fmac_f64_e32 v[54:55], v[86:87], v[90:91]
	s_delay_alu instid0(VALU_DEP_4) | instskip(NEXT) | instid1(VALU_DEP_4)
	v_fmac_f64_e32 v[56:57], v[82:83], v[90:91]
	v_fmac_f64_e32 v[12:13], v[84:85], v[90:91]
	s_delay_alu instid0(VALU_DEP_4) | instskip(NEXT) | instid1(VALU_DEP_4)
	v_fmac_f64_e32 v[0:1], v[86:87], v[92:93]
	v_fma_f64 v[54:55], -v[88:89], v[92:93], v[54:55]
	s_delay_alu instid0(VALU_DEP_4) | instskip(NEXT) | instid1(VALU_DEP_4)
	v_fma_f64 v[56:57], -v[84:85], v[92:93], v[56:57]
	v_fmac_f64_e32 v[12:13], v[82:83], v[92:93]
	s_wait_loadcnt 0x6
	s_delay_alu instid0(VALU_DEP_3) | instskip(SKIP_1) | instid1(VALU_DEP_4)
	v_fmac_f64_e32 v[54:55], v[22:23], v[26:27]
	v_fmac_f64_e32 v[0:1], v[24:25], v[26:27]
	;; [unrolled: 1-line block ×3, first 2 shown]
	s_delay_alu instid0(VALU_DEP_4) | instskip(NEXT) | instid1(VALU_DEP_4)
	v_fmac_f64_e32 v[12:13], v[16:17], v[26:27]
	v_fma_f64 v[24:25], -v[24:25], v[28:29], v[54:55]
	s_delay_alu instid0(VALU_DEP_4) | instskip(NEXT) | instid1(VALU_DEP_4)
	v_fmac_f64_e32 v[0:1], v[22:23], v[28:29]
	v_fma_f64 v[16:17], -v[16:17], v[28:29], v[56:57]
	s_delay_alu instid0(VALU_DEP_4) | instskip(SKIP_1) | instid1(VALU_DEP_4)
	v_fmac_f64_e32 v[12:13], v[14:15], v[28:29]
	s_wait_loadcnt 0x3
	v_fmac_f64_e32 v[24:25], v[34:35], v[38:39]
	s_delay_alu instid0(VALU_DEP_4) | instskip(NEXT) | instid1(VALU_DEP_4)
	v_fmac_f64_e32 v[0:1], v[36:37], v[38:39]
	v_fmac_f64_e32 v[16:17], v[30:31], v[38:39]
	s_delay_alu instid0(VALU_DEP_4) | instskip(NEXT) | instid1(VALU_DEP_4)
	v_fmac_f64_e32 v[12:13], v[32:33], v[38:39]
	v_fma_f64 v[14:15], -v[36:37], v[40:41], v[24:25]
	s_delay_alu instid0(VALU_DEP_4) | instskip(NEXT) | instid1(VALU_DEP_4)
	v_fmac_f64_e32 v[0:1], v[34:35], v[40:41]
	v_fma_f64 v[16:17], -v[32:33], v[40:41], v[16:17]
	s_delay_alu instid0(VALU_DEP_4) | instskip(SKIP_1) | instid1(VALU_DEP_4)
	v_fmac_f64_e32 v[12:13], v[30:31], v[40:41]
	s_wait_loadcnt 0x0
	v_fmac_f64_e32 v[14:15], v[46:47], v[50:51]
	s_delay_alu instid0(VALU_DEP_4) | instskip(NEXT) | instid1(VALU_DEP_4)
	v_fmac_f64_e32 v[0:1], v[48:49], v[50:51]
	v_fmac_f64_e32 v[16:17], v[42:43], v[50:51]
	s_delay_alu instid0(VALU_DEP_4) | instskip(NEXT) | instid1(VALU_DEP_4)
	v_fmac_f64_e32 v[12:13], v[44:45], v[50:51]
	v_fma_f64 v[14:15], -v[48:49], v[52:53], v[14:15]
	s_delay_alu instid0(VALU_DEP_4) | instskip(NEXT) | instid1(VALU_DEP_4)
	v_fmac_f64_e32 v[0:1], v[46:47], v[52:53]
	v_fma_f64 v[16:17], -v[44:45], v[52:53], v[16:17]
	s_delay_alu instid0(VALU_DEP_4)
	v_fmac_f64_e32 v[12:13], v[42:43], v[52:53]
	s_and_not1_b32 exec_lo, exec_lo, s4
	s_cbranch_execnz .LBB267_7
; %bb.8:
	s_or_b32 exec_lo, exec_lo, s4
.LBB267_9:
	s_delay_alu instid0(SALU_CYCLE_1)
	s_or_b32 exec_lo, exec_lo, s3
	s_cbranch_execz .LBB267_11
	s_branch .LBB267_16
.LBB267_10:
                                        ; implicit-def: $vgpr0_vgpr1
                                        ; implicit-def: $vgpr14_vgpr15
                                        ; implicit-def: $vgpr16_vgpr17
                                        ; implicit-def: $vgpr12_vgpr13
.LBB267_11:
	v_mov_b64_e32 v[0:1], 0
	v_mov_b64_e32 v[14:15], 0
	;; [unrolled: 1-line block ×4, first 2 shown]
	s_and_saveexec_b32 s3, s2
	s_cbranch_execz .LBB267_15
; %bb.12:
	v_mad_u32 v20, v19, 18, 17
	v_mov_b64_e32 v[0:1], 0
	v_mov_b64_e32 v[14:15], 0
	;; [unrolled: 1-line block ×4, first 2 shown]
	s_mov_b32 s2, 0
.LBB267_13:                             ; =>This Inner Loop Header: Depth=1
	global_load_b32 v21, v19, s[6:7] scale_offset
	v_subrev_nc_u32_e32 v26, 17, v20
	v_dual_add_nc_u32 v38, -8, v20 :: v_dual_add_nc_u32 v46, -7, v20
	v_dual_add_nc_u32 v90, -12, v20 :: v_dual_add_nc_u32 v91, -3, v20
	s_clause 0x1
	global_load_b128 v[22:25], v26, s[8:9] offset:16 scale_offset
	global_load_b128 v[26:29], v26, s[8:9] scale_offset
	v_dual_add_nc_u32 v70, -5, v20 :: v_dual_add_nc_u32 v19, 64, v19
	s_delay_alu instid0(VALU_DEP_1) | instskip(SKIP_3) | instid1(VALU_DEP_1)
	v_cmp_ge_i32_e32 vcc_lo, v19, v18
	s_or_b32 s2, vcc_lo, s2
	s_wait_loadcnt 0x2
	v_subrev_nc_u32_e32 v21, s12, v21
	v_lshl_add_u32 v21, v21, 3, v21
	global_load_b128 v[30:33], v38, s[8:9] scale_offset
	global_load_b128 v[34:37], v21, s[10:11] scale_offset
	v_add_nc_u32_e32 v47, 1, v21
	global_load_b128 v[38:41], v46, s[8:9] scale_offset
	global_load_b128 v[42:45], v47, s[10:11] scale_offset
	s_wait_xcnt 0x1
	v_dual_add_nc_u32 v46, -15, v20 :: v_dual_add_nc_u32 v58, -6, v20
	v_dual_add_nc_u32 v59, 2, v21 :: v_dual_add_nc_u32 v71, 3, v21
	v_dual_add_nc_u32 v82, -4, v20 :: v_dual_add_nc_u32 v83, 4, v21
	s_clause 0x1
	global_load_b128 v[46:49], v46, s[8:9] scale_offset
	global_load_b128 v[50:53], v58, s[8:9] scale_offset
	global_load_b128 v[54:57], v59, s[10:11] scale_offset
	s_wait_xcnt 0x1
	v_add_nc_u32_e32 v58, -14, v20
	s_clause 0x1
	global_load_b128 v[58:61], v58, s[8:9] scale_offset
	global_load_b128 v[62:65], v70, s[8:9] scale_offset
	;; [unrolled: 1-line block ×3, first 2 shown]
	s_wait_xcnt 0x1
	v_add_nc_u32_e32 v70, -13, v20
	s_clause 0x1
	global_load_b128 v[70:73], v70, s[8:9] scale_offset
	global_load_b128 v[74:77], v82, s[8:9] scale_offset
	;; [unrolled: 1-line block ×3, first 2 shown]
	s_clause 0x1
	global_load_b128 v[82:85], v90, s[8:9] scale_offset
	global_load_b128 v[86:89], v91, s[8:9] scale_offset
	s_wait_xcnt 0x1
	v_add_nc_u32_e32 v90, 5, v21
	s_wait_loadcnt 0xd
	v_fmac_f64_e32 v[12:13], v[32:33], v[34:35]
	v_fmac_f64_e32 v[14:15], v[26:27], v[34:35]
	;; [unrolled: 1-line block ×4, first 2 shown]
	s_delay_alu instid0(VALU_DEP_4)
	v_fmac_f64_e32 v[12:13], v[30:31], v[36:37]
	v_add_nc_u32_e32 v30, -11, v20
	global_load_b128 v[90:93], v90, s[10:11] scale_offset
	v_fma_f64 v[34:35], -v[28:29], v[36:37], v[14:15]
	v_fmac_f64_e32 v[0:1], v[26:27], v[36:37]
	v_fma_f64 v[94:95], -v[32:33], v[36:37], v[16:17]
	v_add_nc_u32_e32 v31, -2, v20
	s_clause 0x1
	global_load_b128 v[14:17], v30, s[8:9] scale_offset
	global_load_b128 v[26:29], v31, s[8:9] scale_offset
	s_wait_xcnt 0x1
	v_add_nc_u32_e32 v30, 6, v21
	global_load_b128 v[30:33], v30, s[10:11] scale_offset
	s_wait_loadcnt 0xf
	v_fmac_f64_e32 v[12:13], v[40:41], v[42:43]
	v_fmac_f64_e32 v[34:35], v[22:23], v[42:43]
	;; [unrolled: 1-line block ×4, first 2 shown]
	s_delay_alu instid0(VALU_DEP_4)
	v_fmac_f64_e32 v[12:13], v[38:39], v[44:45]
	v_dual_add_nc_u32 v38, -10, v20 :: v_dual_add_nc_u32 v39, -1, v20
	v_fma_f64 v[42:43], -v[24:25], v[44:45], v[34:35]
	v_fmac_f64_e32 v[0:1], v[22:23], v[44:45]
	v_fma_f64 v[94:95], -v[40:41], v[44:45], v[94:95]
	s_clause 0x1
	global_load_b128 v[22:25], v38, s[8:9] scale_offset
	global_load_b128 v[34:37], v39, s[8:9] scale_offset
	s_wait_xcnt 0x1
	v_dual_add_nc_u32 v38, 7, v21 :: v_dual_add_nc_u32 v21, 8, v21
	s_wait_loadcnt 0xe
	v_fmac_f64_e32 v[12:13], v[52:53], v[54:55]
	v_fmac_f64_e32 v[42:43], v[46:47], v[54:55]
	;; [unrolled: 1-line block ×4, first 2 shown]
	s_delay_alu instid0(VALU_DEP_4)
	v_fmac_f64_e32 v[12:13], v[50:51], v[56:57]
	v_add_nc_u32_e32 v50, -9, v20
	global_load_b128 v[38:41], v38, s[10:11] scale_offset
	v_fma_f64 v[54:55], -v[48:49], v[56:57], v[42:43]
	v_fmac_f64_e32 v[0:1], v[46:47], v[56:57]
	v_fma_f64 v[94:95], -v[52:53], v[56:57], v[94:95]
	s_clause 0x1
	global_load_b128 v[42:45], v20, s[8:9] scale_offset
	global_load_b128 v[46:49], v50, s[8:9] scale_offset
	;; [unrolled: 1-line block ×3, first 2 shown]
	v_add_nc_u32_e32 v20, 0x480, v20
	s_wait_loadcnt 0xf
	v_fmac_f64_e32 v[12:13], v[64:65], v[66:67]
	v_fmac_f64_e32 v[54:55], v[58:59], v[66:67]
	;; [unrolled: 1-line block ×4, first 2 shown]
	s_delay_alu instid0(VALU_DEP_4) | instskip(NEXT) | instid1(VALU_DEP_4)
	v_fmac_f64_e32 v[12:13], v[62:63], v[68:69]
	v_fma_f64 v[54:55], -v[60:61], v[68:69], v[54:55]
	s_delay_alu instid0(VALU_DEP_4) | instskip(NEXT) | instid1(VALU_DEP_4)
	v_fmac_f64_e32 v[0:1], v[58:59], v[68:69]
	v_fma_f64 v[56:57], -v[64:65], v[68:69], v[94:95]
	s_wait_loadcnt 0xc
	s_delay_alu instid0(VALU_DEP_4) | instskip(NEXT) | instid1(VALU_DEP_4)
	v_fmac_f64_e32 v[12:13], v[76:77], v[78:79]
	v_fmac_f64_e32 v[54:55], v[70:71], v[78:79]
	s_delay_alu instid0(VALU_DEP_4) | instskip(NEXT) | instid1(VALU_DEP_4)
	v_fmac_f64_e32 v[0:1], v[72:73], v[78:79]
	v_fmac_f64_e32 v[56:57], v[74:75], v[78:79]
	s_delay_alu instid0(VALU_DEP_4) | instskip(NEXT) | instid1(VALU_DEP_4)
	v_fmac_f64_e32 v[12:13], v[74:75], v[80:81]
	v_fma_f64 v[54:55], -v[72:73], v[80:81], v[54:55]
	s_delay_alu instid0(VALU_DEP_4) | instskip(NEXT) | instid1(VALU_DEP_4)
	v_fmac_f64_e32 v[0:1], v[70:71], v[80:81]
	v_fma_f64 v[56:57], -v[76:77], v[80:81], v[56:57]
	s_wait_loadcnt 0x9
	s_delay_alu instid0(VALU_DEP_3) | instskip(NEXT) | instid1(VALU_DEP_3)
	v_fmac_f64_e32 v[54:55], v[82:83], v[90:91]
	v_fmac_f64_e32 v[0:1], v[84:85], v[90:91]
	s_delay_alu instid0(VALU_DEP_3) | instskip(SKIP_1) | instid1(VALU_DEP_4)
	v_fmac_f64_e32 v[56:57], v[86:87], v[90:91]
	v_fmac_f64_e32 v[12:13], v[88:89], v[90:91]
	v_fma_f64 v[54:55], -v[84:85], v[92:93], v[54:55]
	s_delay_alu instid0(VALU_DEP_4) | instskip(NEXT) | instid1(VALU_DEP_4)
	v_fmac_f64_e32 v[0:1], v[82:83], v[92:93]
	v_fma_f64 v[56:57], -v[88:89], v[92:93], v[56:57]
	s_delay_alu instid0(VALU_DEP_4) | instskip(SKIP_1) | instid1(VALU_DEP_4)
	v_fmac_f64_e32 v[12:13], v[86:87], v[92:93]
	s_wait_loadcnt 0x6
	v_fmac_f64_e32 v[54:55], v[14:15], v[30:31]
	s_delay_alu instid0(VALU_DEP_4) | instskip(NEXT) | instid1(VALU_DEP_4)
	v_fmac_f64_e32 v[0:1], v[16:17], v[30:31]
	v_fmac_f64_e32 v[56:57], v[26:27], v[30:31]
	s_delay_alu instid0(VALU_DEP_4) | instskip(NEXT) | instid1(VALU_DEP_4)
	v_fmac_f64_e32 v[12:13], v[28:29], v[30:31]
	v_fma_f64 v[16:17], -v[16:17], v[32:33], v[54:55]
	s_delay_alu instid0(VALU_DEP_4) | instskip(NEXT) | instid1(VALU_DEP_4)
	v_fmac_f64_e32 v[0:1], v[14:15], v[32:33]
	v_fma_f64 v[14:15], -v[28:29], v[32:33], v[56:57]
	s_delay_alu instid0(VALU_DEP_4) | instskip(SKIP_1) | instid1(VALU_DEP_4)
	v_fmac_f64_e32 v[12:13], v[26:27], v[32:33]
	s_wait_loadcnt 0x3
	v_fmac_f64_e32 v[16:17], v[22:23], v[38:39]
	s_delay_alu instid0(VALU_DEP_4) | instskip(NEXT) | instid1(VALU_DEP_4)
	v_fmac_f64_e32 v[0:1], v[24:25], v[38:39]
	v_fmac_f64_e32 v[14:15], v[34:35], v[38:39]
	s_delay_alu instid0(VALU_DEP_4) | instskip(NEXT) | instid1(VALU_DEP_4)
	;; [unrolled: 13-line block ×3, first 2 shown]
	v_fmac_f64_e32 v[12:13], v[44:45], v[50:51]
	v_fma_f64 v[14:15], -v[48:49], v[52:53], v[16:17]
	s_delay_alu instid0(VALU_DEP_4) | instskip(NEXT) | instid1(VALU_DEP_4)
	v_fmac_f64_e32 v[0:1], v[46:47], v[52:53]
	v_fma_f64 v[16:17], -v[44:45], v[52:53], v[22:23]
	s_delay_alu instid0(VALU_DEP_4)
	v_fmac_f64_e32 v[12:13], v[42:43], v[52:53]
	s_and_not1_b32 exec_lo, exec_lo, s2
	s_cbranch_execnz .LBB267_13
; %bb.14:
	s_or_b32 exec_lo, exec_lo, s2
.LBB267_15:
	s_delay_alu instid0(SALU_CYCLE_1)
	s_or_b32 exec_lo, exec_lo, s3
.LBB267_16:
	v_mbcnt_lo_u32_b32 v28, -1, 0
	s_delay_alu instid0(VALU_DEP_1) | instskip(NEXT) | instid1(VALU_DEP_1)
	v_or_b32_e32 v18, 32, v28
	v_cmp_gt_i32_e32 vcc_lo, 32, v18
	v_cndmask_b32_e32 v18, v28, v18, vcc_lo
	s_delay_alu instid0(VALU_DEP_1)
	v_lshlrev_b32_e32 v25, 2, v18
	ds_bpermute_b32 v20, v25, v0
	ds_bpermute_b32 v21, v25, v1
	s_wait_dscnt 0x0
	v_add_f64_e32 v[0:1], v[0:1], v[20:21]
	ds_bpermute_b32 v18, v25, v14
	ds_bpermute_b32 v19, v25, v15
	;; [unrolled: 1-line block ×6, first 2 shown]
	s_wait_dscnt 0x4
	v_dual_add_f64 v[14:15], v[14:15], v[18:19] :: v_dual_bitop2_b32 v18, 16, v28 bitop3:0x14
	s_wait_dscnt 0x2
	v_add_f64_e32 v[16:17], v[16:17], v[22:23]
	s_delay_alu instid0(VALU_DEP_2) | instskip(SKIP_2) | instid1(VALU_DEP_1)
	v_cmp_gt_i32_e32 vcc_lo, 32, v18
	v_cndmask_b32_e32 v18, v28, v18, vcc_lo
	s_wait_dscnt 0x0
	v_dual_add_f64 v[12:13], v[12:13], v[24:25] :: v_dual_lshlrev_b32 v25, 2, v18
	ds_bpermute_b32 v20, v25, v0
	ds_bpermute_b32 v21, v25, v1
	;; [unrolled: 1-line block ×8, first 2 shown]
	s_wait_dscnt 0x4
	v_dual_add_f64 v[14:15], v[14:15], v[18:19] :: v_dual_bitop2_b32 v18, 8, v28 bitop3:0x14
	s_wait_dscnt 0x2
	v_add_f64_e32 v[16:17], v[16:17], v[22:23]
	s_delay_alu instid0(VALU_DEP_2) | instskip(SKIP_3) | instid1(VALU_DEP_2)
	v_cmp_gt_i32_e32 vcc_lo, 32, v18
	v_cndmask_b32_e32 v18, v28, v18, vcc_lo
	v_add_f64_e32 v[0:1], v[0:1], v[20:21]
	s_wait_dscnt 0x0
	v_dual_add_f64 v[12:13], v[12:13], v[24:25] :: v_dual_lshlrev_b32 v25, 2, v18
	ds_bpermute_b32 v18, v25, v14
	ds_bpermute_b32 v19, v25, v15
	;; [unrolled: 1-line block ×5, first 2 shown]
	s_wait_dscnt 0x3
	v_dual_add_f64 v[14:15], v[14:15], v[18:19] :: v_dual_bitop2_b32 v18, 4, v28 bitop3:0x14
	ds_bpermute_b32 v22, v25, v16
	ds_bpermute_b32 v23, v25, v17
	;; [unrolled: 1-line block ×3, first 2 shown]
	v_cmp_gt_i32_e32 vcc_lo, 32, v18
	v_cndmask_b32_e32 v18, v28, v18, vcc_lo
	s_wait_dscnt 0x4
	v_add_f64_e32 v[0:1], v[0:1], v[20:21]
	s_wait_dscnt 0x1
	v_add_f64_e32 v[16:17], v[16:17], v[22:23]
	s_wait_dscnt 0x0
	v_dual_add_f64 v[12:13], v[12:13], v[24:25] :: v_dual_lshlrev_b32 v25, 2, v18
	ds_bpermute_b32 v18, v25, v14
	ds_bpermute_b32 v19, v25, v15
	;; [unrolled: 1-line block ×4, first 2 shown]
	s_wait_dscnt 0x2
	v_add_f64_e32 v[14:15], v[14:15], v[18:19]
	ds_bpermute_b32 v22, v25, v16
	ds_bpermute_b32 v23, v25, v17
	;; [unrolled: 1-line block ×4, first 2 shown]
	s_wait_dscnt 0x4
	v_add_f64_e32 v[18:19], v[0:1], v[20:21]
	v_xor_b32_e32 v0, 2, v28
	s_delay_alu instid0(VALU_DEP_1)
	v_cmp_gt_i32_e32 vcc_lo, 32, v0
	s_wait_dscnt 0x2
	v_add_f64_e32 v[20:21], v[16:17], v[22:23]
	v_cndmask_b32_e32 v0, v28, v0, vcc_lo
	s_wait_dscnt 0x0
	v_add_f64_e32 v[22:23], v[12:13], v[24:25]
	s_delay_alu instid0(VALU_DEP_2)
	v_lshlrev_b32_e32 v16, 2, v0
	ds_bpermute_b32 v0, v16, v14
	ds_bpermute_b32 v1, v16, v15
	;; [unrolled: 1-line block ×8, first 2 shown]
	s_wait_dscnt 0x6
	v_add_f64_e32 v[0:1], v[14:15], v[0:1]
	s_wait_dscnt 0x4
	v_add_f64_e32 v[16:17], v[18:19], v[12:13]
	v_xor_b32_e32 v18, 1, v28
	s_delay_alu instid0(VALU_DEP_1)
	v_cmp_gt_i32_e32 vcc_lo, 32, v18
	s_wait_dscnt 0x2
	v_add_f64_e32 v[12:13], v[20:21], v[24:25]
	v_cndmask_b32_e32 v18, v28, v18, vcc_lo
	s_wait_dscnt 0x0
	v_add_f64_e32 v[14:15], v[22:23], v[26:27]
	v_cmp_eq_u32_e32 vcc_lo, 63, v11
	s_delay_alu instid0(VALU_DEP_3)
	v_lshlrev_b32_e32 v21, 2, v18
	ds_bpermute_b32 v24, v21, v0
	ds_bpermute_b32 v25, v21, v1
	;; [unrolled: 1-line block ×8, first 2 shown]
	s_and_b32 exec_lo, exec_lo, vcc_lo
	s_cbranch_execz .LBB267_21
; %bb.17:
	v_cmp_eq_f64_e32 vcc_lo, 0, v[6:7]
	v_cmp_eq_f64_e64 s2, 0, v[8:9]
	s_wait_dscnt 0x6
	v_add_f64_e32 v[0:1], v[0:1], v[24:25]
	s_wait_dscnt 0x4
	v_add_f64_e32 v[16:17], v[16:17], v[22:23]
	;; [unrolled: 2-line block ×4, first 2 shown]
	s_load_b64 s[0:1], s[0:1], 0x48
	s_and_b32 s2, vcc_lo, s2
	s_delay_alu instid0(SALU_CYCLE_1) | instskip(NEXT) | instid1(SALU_CYCLE_1)
	s_and_saveexec_b32 s3, s2
	s_xor_b32 s2, exec_lo, s3
	s_cbranch_execz .LBB267_19
; %bb.18:
	s_delay_alu instid0(VALU_DEP_3) | instskip(SKIP_1) | instid1(VALU_DEP_3)
	v_mul_f64_e64 v[6:7], v[16:17], -v[4:5]
	v_mul_f64_e32 v[8:9], v[2:3], v[16:17]
	v_mul_f64_e64 v[16:17], v[14:15], -v[4:5]
	v_mul_f64_e32 v[18:19], v[2:3], v[14:15]
                                        ; implicit-def: $vgpr14_vgpr15
	s_delay_alu instid0(VALU_DEP_4) | instskip(NEXT) | instid1(VALU_DEP_4)
	v_fmac_f64_e32 v[6:7], v[2:3], v[0:1]
	v_fmac_f64_e32 v[8:9], v[4:5], v[0:1]
	s_delay_alu instid0(VALU_DEP_4) | instskip(NEXT) | instid1(VALU_DEP_4)
	v_fmac_f64_e32 v[16:17], v[2:3], v[12:13]
	v_fmac_f64_e32 v[18:19], v[4:5], v[12:13]
	v_lshlrev_b32_e32 v0, 1, v10
                                        ; implicit-def: $vgpr10
                                        ; implicit-def: $vgpr12_vgpr13
                                        ; implicit-def: $vgpr4_vgpr5
	s_wait_kmcnt 0x0
	s_clause 0x1
	global_store_b128 v0, v[6:9], s[0:1] scale_offset
	global_store_b128 v0, v[16:19], s[0:1] offset:16 scale_offset
                                        ; implicit-def: $vgpr0_vgpr1
                                        ; implicit-def: $vgpr16_vgpr17
                                        ; implicit-def: $vgpr8_vgpr9
.LBB267_19:
	s_wait_xcnt 0x0
	s_and_not1_saveexec_b32 s2, s2
	s_cbranch_execz .LBB267_21
; %bb.20:
	s_delay_alu instid0(VALU_DEP_3) | instskip(SKIP_1) | instid1(VALU_DEP_3)
	v_dual_mul_f64 v[26:27], v[16:17], -v[4:5] :: v_dual_lshlrev_b32 v30, 1, v10
	v_mul_f64_e32 v[16:17], v[2:3], v[16:17]
	v_mul_f64_e64 v[28:29], v[14:15], -v[4:5]
	v_mul_f64_e32 v[10:11], v[2:3], v[14:15]
	s_wait_kmcnt 0x0
	s_clause 0x1
	global_load_b128 v[18:21], v30, s[0:1] scale_offset
	global_load_b128 v[22:25], v30, s[0:1] offset:16 scale_offset
	v_fmac_f64_e32 v[26:27], v[2:3], v[0:1]
	v_fmac_f64_e32 v[16:17], v[4:5], v[0:1]
	;; [unrolled: 1-line block ×4, first 2 shown]
	s_wait_loadcnt 0x1
	s_delay_alu instid0(VALU_DEP_4) | instskip(NEXT) | instid1(VALU_DEP_4)
	v_fmac_f64_e32 v[26:27], v[6:7], v[18:19]
	v_fmac_f64_e32 v[16:17], v[8:9], v[18:19]
	s_wait_loadcnt 0x0
	s_delay_alu instid0(VALU_DEP_4) | instskip(NEXT) | instid1(VALU_DEP_4)
	v_fmac_f64_e32 v[28:29], v[6:7], v[22:23]
	v_fmac_f64_e32 v[10:11], v[8:9], v[22:23]
	s_delay_alu instid0(VALU_DEP_4) | instskip(NEXT) | instid1(VALU_DEP_4)
	v_fma_f64 v[14:15], -v[8:9], v[20:21], v[26:27]
	v_fmac_f64_e32 v[16:17], v[6:7], v[20:21]
	s_delay_alu instid0(VALU_DEP_4) | instskip(NEXT) | instid1(VALU_DEP_4)
	v_fma_f64 v[8:9], -v[8:9], v[24:25], v[28:29]
	v_fmac_f64_e32 v[10:11], v[6:7], v[24:25]
	s_clause 0x1
	global_store_b128 v30, v[14:17], s[0:1] scale_offset
	global_store_b128 v30, v[8:11], s[0:1] offset:16 scale_offset
.LBB267_21:
	s_sendmsg sendmsg(MSG_DEALLOC_VGPRS)
	s_endpgm
	.section	.rodata,"a",@progbits
	.p2align	6, 0x0
	.amdhsa_kernel _ZN9rocsparseL19gebsrmvn_2xn_kernelILj128ELj9ELj64E21rocsparse_complex_numIdEEEvi20rocsparse_direction_NS_24const_host_device_scalarIT2_EEPKiS8_PKS5_SA_S6_PS5_21rocsparse_index_base_b
		.amdhsa_group_segment_fixed_size 0
		.amdhsa_private_segment_fixed_size 0
		.amdhsa_kernarg_size 88
		.amdhsa_user_sgpr_count 2
		.amdhsa_user_sgpr_dispatch_ptr 0
		.amdhsa_user_sgpr_queue_ptr 0
		.amdhsa_user_sgpr_kernarg_segment_ptr 1
		.amdhsa_user_sgpr_dispatch_id 0
		.amdhsa_user_sgpr_kernarg_preload_length 0
		.amdhsa_user_sgpr_kernarg_preload_offset 0
		.amdhsa_user_sgpr_private_segment_size 0
		.amdhsa_wavefront_size32 1
		.amdhsa_uses_dynamic_stack 0
		.amdhsa_enable_private_segment 0
		.amdhsa_system_sgpr_workgroup_id_x 1
		.amdhsa_system_sgpr_workgroup_id_y 0
		.amdhsa_system_sgpr_workgroup_id_z 0
		.amdhsa_system_sgpr_workgroup_info 0
		.amdhsa_system_vgpr_workitem_id 0
		.amdhsa_next_free_vgpr 97
		.amdhsa_next_free_sgpr 14
		.amdhsa_named_barrier_count 0
		.amdhsa_reserve_vcc 1
		.amdhsa_float_round_mode_32 0
		.amdhsa_float_round_mode_16_64 0
		.amdhsa_float_denorm_mode_32 3
		.amdhsa_float_denorm_mode_16_64 3
		.amdhsa_fp16_overflow 0
		.amdhsa_memory_ordered 1
		.amdhsa_forward_progress 1
		.amdhsa_inst_pref_size 29
		.amdhsa_round_robin_scheduling 0
		.amdhsa_exception_fp_ieee_invalid_op 0
		.amdhsa_exception_fp_denorm_src 0
		.amdhsa_exception_fp_ieee_div_zero 0
		.amdhsa_exception_fp_ieee_overflow 0
		.amdhsa_exception_fp_ieee_underflow 0
		.amdhsa_exception_fp_ieee_inexact 0
		.amdhsa_exception_int_div_zero 0
	.end_amdhsa_kernel
	.section	.text._ZN9rocsparseL19gebsrmvn_2xn_kernelILj128ELj9ELj64E21rocsparse_complex_numIdEEEvi20rocsparse_direction_NS_24const_host_device_scalarIT2_EEPKiS8_PKS5_SA_S6_PS5_21rocsparse_index_base_b,"axG",@progbits,_ZN9rocsparseL19gebsrmvn_2xn_kernelILj128ELj9ELj64E21rocsparse_complex_numIdEEEvi20rocsparse_direction_NS_24const_host_device_scalarIT2_EEPKiS8_PKS5_SA_S6_PS5_21rocsparse_index_base_b,comdat
.Lfunc_end267:
	.size	_ZN9rocsparseL19gebsrmvn_2xn_kernelILj128ELj9ELj64E21rocsparse_complex_numIdEEEvi20rocsparse_direction_NS_24const_host_device_scalarIT2_EEPKiS8_PKS5_SA_S6_PS5_21rocsparse_index_base_b, .Lfunc_end267-_ZN9rocsparseL19gebsrmvn_2xn_kernelILj128ELj9ELj64E21rocsparse_complex_numIdEEEvi20rocsparse_direction_NS_24const_host_device_scalarIT2_EEPKiS8_PKS5_SA_S6_PS5_21rocsparse_index_base_b
                                        ; -- End function
	.set _ZN9rocsparseL19gebsrmvn_2xn_kernelILj128ELj9ELj64E21rocsparse_complex_numIdEEEvi20rocsparse_direction_NS_24const_host_device_scalarIT2_EEPKiS8_PKS5_SA_S6_PS5_21rocsparse_index_base_b.num_vgpr, 97
	.set _ZN9rocsparseL19gebsrmvn_2xn_kernelILj128ELj9ELj64E21rocsparse_complex_numIdEEEvi20rocsparse_direction_NS_24const_host_device_scalarIT2_EEPKiS8_PKS5_SA_S6_PS5_21rocsparse_index_base_b.num_agpr, 0
	.set _ZN9rocsparseL19gebsrmvn_2xn_kernelILj128ELj9ELj64E21rocsparse_complex_numIdEEEvi20rocsparse_direction_NS_24const_host_device_scalarIT2_EEPKiS8_PKS5_SA_S6_PS5_21rocsparse_index_base_b.numbered_sgpr, 14
	.set _ZN9rocsparseL19gebsrmvn_2xn_kernelILj128ELj9ELj64E21rocsparse_complex_numIdEEEvi20rocsparse_direction_NS_24const_host_device_scalarIT2_EEPKiS8_PKS5_SA_S6_PS5_21rocsparse_index_base_b.num_named_barrier, 0
	.set _ZN9rocsparseL19gebsrmvn_2xn_kernelILj128ELj9ELj64E21rocsparse_complex_numIdEEEvi20rocsparse_direction_NS_24const_host_device_scalarIT2_EEPKiS8_PKS5_SA_S6_PS5_21rocsparse_index_base_b.private_seg_size, 0
	.set _ZN9rocsparseL19gebsrmvn_2xn_kernelILj128ELj9ELj64E21rocsparse_complex_numIdEEEvi20rocsparse_direction_NS_24const_host_device_scalarIT2_EEPKiS8_PKS5_SA_S6_PS5_21rocsparse_index_base_b.uses_vcc, 1
	.set _ZN9rocsparseL19gebsrmvn_2xn_kernelILj128ELj9ELj64E21rocsparse_complex_numIdEEEvi20rocsparse_direction_NS_24const_host_device_scalarIT2_EEPKiS8_PKS5_SA_S6_PS5_21rocsparse_index_base_b.uses_flat_scratch, 0
	.set _ZN9rocsparseL19gebsrmvn_2xn_kernelILj128ELj9ELj64E21rocsparse_complex_numIdEEEvi20rocsparse_direction_NS_24const_host_device_scalarIT2_EEPKiS8_PKS5_SA_S6_PS5_21rocsparse_index_base_b.has_dyn_sized_stack, 0
	.set _ZN9rocsparseL19gebsrmvn_2xn_kernelILj128ELj9ELj64E21rocsparse_complex_numIdEEEvi20rocsparse_direction_NS_24const_host_device_scalarIT2_EEPKiS8_PKS5_SA_S6_PS5_21rocsparse_index_base_b.has_recursion, 0
	.set _ZN9rocsparseL19gebsrmvn_2xn_kernelILj128ELj9ELj64E21rocsparse_complex_numIdEEEvi20rocsparse_direction_NS_24const_host_device_scalarIT2_EEPKiS8_PKS5_SA_S6_PS5_21rocsparse_index_base_b.has_indirect_call, 0
	.section	.AMDGPU.csdata,"",@progbits
; Kernel info:
; codeLenInByte = 3616
; TotalNumSgprs: 16
; NumVgprs: 97
; ScratchSize: 0
; MemoryBound: 0
; FloatMode: 240
; IeeeMode: 1
; LDSByteSize: 0 bytes/workgroup (compile time only)
; SGPRBlocks: 0
; VGPRBlocks: 6
; NumSGPRsForWavesPerEU: 16
; NumVGPRsForWavesPerEU: 97
; NamedBarCnt: 0
; Occupancy: 9
; WaveLimiterHint : 1
; COMPUTE_PGM_RSRC2:SCRATCH_EN: 0
; COMPUTE_PGM_RSRC2:USER_SGPR: 2
; COMPUTE_PGM_RSRC2:TRAP_HANDLER: 0
; COMPUTE_PGM_RSRC2:TGID_X_EN: 1
; COMPUTE_PGM_RSRC2:TGID_Y_EN: 0
; COMPUTE_PGM_RSRC2:TGID_Z_EN: 0
; COMPUTE_PGM_RSRC2:TIDIG_COMP_CNT: 0
	.section	.text._ZN9rocsparseL19gebsrmvn_2xn_kernelILj128ELj10ELj4E21rocsparse_complex_numIdEEEvi20rocsparse_direction_NS_24const_host_device_scalarIT2_EEPKiS8_PKS5_SA_S6_PS5_21rocsparse_index_base_b,"axG",@progbits,_ZN9rocsparseL19gebsrmvn_2xn_kernelILj128ELj10ELj4E21rocsparse_complex_numIdEEEvi20rocsparse_direction_NS_24const_host_device_scalarIT2_EEPKiS8_PKS5_SA_S6_PS5_21rocsparse_index_base_b,comdat
	.globl	_ZN9rocsparseL19gebsrmvn_2xn_kernelILj128ELj10ELj4E21rocsparse_complex_numIdEEEvi20rocsparse_direction_NS_24const_host_device_scalarIT2_EEPKiS8_PKS5_SA_S6_PS5_21rocsparse_index_base_b ; -- Begin function _ZN9rocsparseL19gebsrmvn_2xn_kernelILj128ELj10ELj4E21rocsparse_complex_numIdEEEvi20rocsparse_direction_NS_24const_host_device_scalarIT2_EEPKiS8_PKS5_SA_S6_PS5_21rocsparse_index_base_b
	.p2align	8
	.type	_ZN9rocsparseL19gebsrmvn_2xn_kernelILj128ELj10ELj4E21rocsparse_complex_numIdEEEvi20rocsparse_direction_NS_24const_host_device_scalarIT2_EEPKiS8_PKS5_SA_S6_PS5_21rocsparse_index_base_b,@function
_ZN9rocsparseL19gebsrmvn_2xn_kernelILj128ELj10ELj4E21rocsparse_complex_numIdEEEvi20rocsparse_direction_NS_24const_host_device_scalarIT2_EEPKiS8_PKS5_SA_S6_PS5_21rocsparse_index_base_b: ; @_ZN9rocsparseL19gebsrmvn_2xn_kernelILj128ELj10ELj4E21rocsparse_complex_numIdEEEvi20rocsparse_direction_NS_24const_host_device_scalarIT2_EEPKiS8_PKS5_SA_S6_PS5_21rocsparse_index_base_b
; %bb.0:
	s_clause 0x1
	s_load_b64 s[12:13], s[0:1], 0x50
	s_load_b64 s[2:3], s[0:1], 0x8
	v_mov_b32_e32 v1, 0
	s_add_nc_u64 s[4:5], s[0:1], 8
	s_load_b64 s[6:7], s[0:1], 0x38
	s_wait_kmcnt 0x0
	s_bitcmp1_b32 s13, 0
	s_cselect_b32 s3, s5, s3
	s_cselect_b32 s2, s4, s2
	flat_load_b128 v[2:5], v1, s[2:3]
	s_wait_xcnt 0x0
	s_add_nc_u64 s[2:3], s[0:1], 56
	s_delay_alu instid0(SALU_CYCLE_1)
	s_cselect_b32 s3, s3, s7
	s_cselect_b32 s2, s2, s6
	flat_load_b128 v[6:9], v1, s[2:3]
	s_wait_loadcnt_dscnt 0x101
	v_cmp_eq_f64_e32 vcc_lo, 0, v[2:3]
	s_wait_xcnt 0x0
	v_cmp_eq_f64_e64 s2, 0, v[4:5]
	s_and_b32 s4, vcc_lo, s2
	s_mov_b32 s2, -1
	s_and_saveexec_b32 s3, s4
	s_cbranch_execz .LBB268_2
; %bb.1:
	s_wait_loadcnt_dscnt 0x0
	v_cmp_neq_f64_e32 vcc_lo, 1.0, v[6:7]
	v_cmp_neq_f64_e64 s2, 0, v[8:9]
	s_or_b32 s2, vcc_lo, s2
	s_delay_alu instid0(SALU_CYCLE_1)
	s_or_not1_b32 s2, s2, exec_lo
.LBB268_2:
	s_or_b32 exec_lo, exec_lo, s3
	s_and_saveexec_b32 s3, s2
	s_cbranch_execz .LBB268_25
; %bb.3:
	s_load_b64 s[2:3], s[0:1], 0x0
	s_bfe_u32 s4, ttmp6, 0x4000c
	s_and_b32 s5, ttmp6, 15
	s_add_co_i32 s4, s4, 1
	s_getreg_b32 s6, hwreg(HW_REG_IB_STS2, 6, 4)
	s_mul_i32 s4, ttmp9, s4
	v_lshrrev_b32_e32 v1, 2, v0
	s_add_co_i32 s5, s5, s4
	s_cmp_eq_u32 s6, 0
	s_cselect_b32 s4, ttmp9, s5
	s_delay_alu instid0(VALU_DEP_1) | instid1(SALU_CYCLE_1)
	v_lshl_or_b32 v10, s4, 5, v1
	s_wait_kmcnt 0x0
	s_delay_alu instid0(VALU_DEP_1)
	v_cmp_gt_i32_e32 vcc_lo, s2, v10
	s_and_b32 exec_lo, exec_lo, vcc_lo
	s_cbranch_execz .LBB268_25
; %bb.4:
	s_load_b256 s[4:11], s[0:1], 0x18
	v_ashrrev_i32_e32 v11, 31, v10
	s_cmp_lg_u32 s3, 0
	s_wait_kmcnt 0x0
	s_delay_alu instid0(VALU_DEP_1)
	v_lshl_add_u64 v[12:13], v[10:11], 2, s[4:5]
	v_and_b32_e32 v11, 3, v0
	global_load_b64 v[18:19], v[12:13], off
	s_wait_loadcnt 0x0
	v_subrev_nc_u32_e32 v0, s12, v18
	v_subrev_nc_u32_e32 v19, s12, v19
	s_delay_alu instid0(VALU_DEP_2) | instskip(NEXT) | instid1(VALU_DEP_1)
	v_add_nc_u32_e32 v20, v0, v11
	v_cmp_lt_i32_e64 s2, v20, v19
	s_cbranch_scc0 .LBB268_12
; %bb.5:
	v_mov_b64_e32 v[0:1], 0
	v_mov_b64_e32 v[14:15], 0
	;; [unrolled: 1-line block ×4, first 2 shown]
	s_and_saveexec_b32 s3, s2
	s_cbranch_execz .LBB268_11
; %bb.6:
	v_mul_lo_u32 v21, v20, 20
	v_mov_b64_e32 v[0:1], 0
	v_mov_b64_e32 v[14:15], 0
	;; [unrolled: 1-line block ×4, first 2 shown]
	v_mov_b32_e32 v22, v20
	s_mov_b32 s4, 0
.LBB268_7:                              ; =>This Loop Header: Depth=1
                                        ;     Child Loop BB268_8 Depth 2
	global_load_b32 v23, v22, s[6:7] scale_offset
	v_mov_b32_e32 v24, v21
	s_mov_b32 s5, 0
	s_wait_loadcnt 0x0
	v_subrev_nc_u32_e32 v23, s12, v23
	s_delay_alu instid0(VALU_DEP_1)
	v_mul_lo_u32 v23, v23, 10
.LBB268_8:                              ;   Parent Loop BB268_7 Depth=1
                                        ; =>  This Inner Loop Header: Depth=2
	s_delay_alu instid0(VALU_DEP_1)
	v_add_nc_u32_e32 v25, s5, v23
	s_add_co_i32 s5, s5, 2
	s_clause 0x1
	global_load_b128 v[26:29], v24, s[8:9] offset:16 scale_offset
	global_load_b128 v[30:33], v24, s[8:9] scale_offset
	s_clause 0x1
	global_load_b128 v[34:37], v25, s[10:11] scale_offset
	global_load_b128 v[38:41], v25, s[10:11] offset:16 scale_offset
	s_clause 0x1
	global_load_b128 v[42:45], v24, s[8:9] offset:32 scale_offset
	global_load_b128 v[46:49], v24, s[8:9] offset:48 scale_offset
	s_wait_xcnt 0x0
	v_add_nc_u32_e32 v24, 4, v24
	s_cmp_eq_u32 s5, 10
	s_wait_loadcnt 0x3
	v_fmac_f64_e32 v[14:15], v[30:31], v[34:35]
	v_fmac_f64_e32 v[0:1], v[32:33], v[34:35]
	;; [unrolled: 1-line block ×4, first 2 shown]
	s_delay_alu instid0(VALU_DEP_4) | instskip(NEXT) | instid1(VALU_DEP_4)
	v_fma_f64 v[14:15], -v[32:33], v[36:37], v[14:15]
	v_fmac_f64_e32 v[0:1], v[30:31], v[36:37]
	s_delay_alu instid0(VALU_DEP_4) | instskip(NEXT) | instid1(VALU_DEP_4)
	v_fma_f64 v[16:17], -v[28:29], v[36:37], v[16:17]
	v_fmac_f64_e32 v[12:13], v[26:27], v[36:37]
	s_wait_loadcnt 0x1
	s_delay_alu instid0(VALU_DEP_4) | instskip(NEXT) | instid1(VALU_DEP_4)
	v_fmac_f64_e32 v[14:15], v[42:43], v[38:39]
	v_fmac_f64_e32 v[0:1], v[44:45], v[38:39]
	s_wait_loadcnt 0x0
	s_delay_alu instid0(VALU_DEP_4) | instskip(NEXT) | instid1(VALU_DEP_4)
	v_fmac_f64_e32 v[16:17], v[46:47], v[38:39]
	v_fmac_f64_e32 v[12:13], v[48:49], v[38:39]
	s_delay_alu instid0(VALU_DEP_4) | instskip(NEXT) | instid1(VALU_DEP_4)
	v_fma_f64 v[14:15], -v[44:45], v[40:41], v[14:15]
	v_fmac_f64_e32 v[0:1], v[42:43], v[40:41]
	s_delay_alu instid0(VALU_DEP_4) | instskip(NEXT) | instid1(VALU_DEP_4)
	v_fma_f64 v[16:17], -v[48:49], v[40:41], v[16:17]
	v_fmac_f64_e32 v[12:13], v[46:47], v[40:41]
	s_cbranch_scc0 .LBB268_8
; %bb.9:                                ;   in Loop: Header=BB268_7 Depth=1
	v_add_nc_u32_e32 v22, 4, v22
	v_add_nc_u32_e32 v21, 0x50, v21
	s_delay_alu instid0(VALU_DEP_2) | instskip(SKIP_1) | instid1(SALU_CYCLE_1)
	v_cmp_ge_i32_e32 vcc_lo, v22, v19
	s_or_b32 s4, vcc_lo, s4
	s_and_not1_b32 exec_lo, exec_lo, s4
	s_cbranch_execnz .LBB268_7
; %bb.10:
	s_or_b32 exec_lo, exec_lo, s4
.LBB268_11:
	s_delay_alu instid0(SALU_CYCLE_1)
	s_or_b32 exec_lo, exec_lo, s3
	s_cbranch_execz .LBB268_13
	s_branch .LBB268_20
.LBB268_12:
                                        ; implicit-def: $vgpr0_vgpr1
                                        ; implicit-def: $vgpr14_vgpr15
                                        ; implicit-def: $vgpr16_vgpr17
                                        ; implicit-def: $vgpr12_vgpr13
.LBB268_13:
	v_mov_b64_e32 v[0:1], 0
	v_mov_b64_e32 v[14:15], 0
	;; [unrolled: 1-line block ×4, first 2 shown]
	s_and_saveexec_b32 s3, s2
	s_cbranch_execz .LBB268_19
; %bb.14:
	v_mul_u32_u24_e32 v0, 20, v11
	s_mul_i32 s2, s12, 20
	v_mov_b64_e32 v[14:15], 0
	v_mov_b64_e32 v[16:17], 0
	;; [unrolled: 1-line block ×3, first 2 shown]
	v_mad_u32 v21, v18, 20, v0
	v_mul_lo_u32 v18, v20, 20
	v_mov_b64_e32 v[0:1], 0
	s_delay_alu instid0(VALU_DEP_3)
	v_subrev_nc_u32_e32 v21, s2, v21
	s_mov_b32 s2, 0
.LBB268_15:                             ; =>This Loop Header: Depth=1
                                        ;     Child Loop BB268_16 Depth 2
	global_load_b32 v22, v20, s[6:7] scale_offset
	s_mov_b32 s4, 0
	s_wait_loadcnt 0x0
	v_subrev_nc_u32_e32 v22, s12, v22
	s_delay_alu instid0(VALU_DEP_1)
	v_mul_lo_u32 v22, v22, 10
.LBB268_16:                             ;   Parent Loop BB268_15 Depth=1
                                        ; =>  This Inner Loop Header: Depth=2
	s_delay_alu instid0(VALU_DEP_1)
	v_dual_add_nc_u32 v23, s4, v21 :: v_dual_add_nc_u32 v48, s4, v22
	v_add3_u32 v49, v18, s4, 10
	s_add_co_i32 s4, s4, 2
	global_load_b128 v[24:27], v23, s[8:9] scale_offset
	global_load_b128 v[28:31], v48, s[10:11] scale_offset
	s_clause 0x1
	global_load_b128 v[32:35], v49, s[8:9] scale_offset
	global_load_b128 v[36:39], v23, s[8:9] offset:16 scale_offset
	global_load_b128 v[40:43], v48, s[10:11] offset:16 scale_offset
	;; [unrolled: 1-line block ×3, first 2 shown]
	s_cmp_eq_u32 s4, 10
	s_wait_loadcnt 0x4
	v_fmac_f64_e32 v[14:15], v[24:25], v[28:29]
	v_fmac_f64_e32 v[0:1], v[26:27], v[28:29]
	s_wait_loadcnt 0x3
	v_fmac_f64_e32 v[16:17], v[32:33], v[28:29]
	v_fmac_f64_e32 v[12:13], v[34:35], v[28:29]
	s_delay_alu instid0(VALU_DEP_4) | instskip(NEXT) | instid1(VALU_DEP_4)
	v_fma_f64 v[14:15], -v[26:27], v[30:31], v[14:15]
	v_fmac_f64_e32 v[0:1], v[24:25], v[30:31]
	s_delay_alu instid0(VALU_DEP_4) | instskip(NEXT) | instid1(VALU_DEP_4)
	v_fma_f64 v[16:17], -v[34:35], v[30:31], v[16:17]
	v_fmac_f64_e32 v[12:13], v[32:33], v[30:31]
	s_wait_loadcnt 0x1
	s_delay_alu instid0(VALU_DEP_4) | instskip(NEXT) | instid1(VALU_DEP_4)
	v_fmac_f64_e32 v[14:15], v[36:37], v[40:41]
	v_fmac_f64_e32 v[0:1], v[38:39], v[40:41]
	s_wait_loadcnt 0x0
	s_delay_alu instid0(VALU_DEP_4) | instskip(NEXT) | instid1(VALU_DEP_4)
	v_fmac_f64_e32 v[16:17], v[44:45], v[40:41]
	v_fmac_f64_e32 v[12:13], v[46:47], v[40:41]
	s_delay_alu instid0(VALU_DEP_4) | instskip(NEXT) | instid1(VALU_DEP_4)
	v_fma_f64 v[14:15], -v[38:39], v[42:43], v[14:15]
	v_fmac_f64_e32 v[0:1], v[36:37], v[42:43]
	s_delay_alu instid0(VALU_DEP_4) | instskip(NEXT) | instid1(VALU_DEP_4)
	v_fma_f64 v[16:17], -v[46:47], v[42:43], v[16:17]
	v_fmac_f64_e32 v[12:13], v[44:45], v[42:43]
	s_cbranch_scc0 .LBB268_16
; %bb.17:                               ;   in Loop: Header=BB268_15 Depth=1
	v_add_nc_u32_e32 v20, 4, v20
	v_add_nc_u32_e32 v18, 0x50, v18
	;; [unrolled: 1-line block ×3, first 2 shown]
	s_delay_alu instid0(VALU_DEP_3) | instskip(SKIP_1) | instid1(SALU_CYCLE_1)
	v_cmp_ge_i32_e32 vcc_lo, v20, v19
	s_or_b32 s2, vcc_lo, s2
	s_and_not1_b32 exec_lo, exec_lo, s2
	s_cbranch_execnz .LBB268_15
; %bb.18:
	s_or_b32 exec_lo, exec_lo, s2
.LBB268_19:
	s_delay_alu instid0(SALU_CYCLE_1)
	s_or_b32 exec_lo, exec_lo, s3
.LBB268_20:
	v_mbcnt_lo_u32_b32 v28, -1, 0
	s_delay_alu instid0(VALU_DEP_1) | instskip(NEXT) | instid1(VALU_DEP_1)
	v_xor_b32_e32 v18, 2, v28
	v_cmp_gt_i32_e32 vcc_lo, 32, v18
	v_cndmask_b32_e32 v18, v28, v18, vcc_lo
	s_delay_alu instid0(VALU_DEP_1)
	v_lshlrev_b32_e32 v22, 2, v18
	ds_bpermute_b32 v20, v22, v0
	ds_bpermute_b32 v21, v22, v1
	s_wait_dscnt 0x0
	v_add_f64_e32 v[20:21], v[0:1], v[20:21]
	ds_bpermute_b32 v18, v22, v14
	ds_bpermute_b32 v19, v22, v15
	;; [unrolled: 1-line block ×6, first 2 shown]
	v_xor_b32_e32 v0, 1, v28
	s_delay_alu instid0(VALU_DEP_1)
	v_cmp_gt_i32_e32 vcc_lo, 32, v0
	v_cndmask_b32_e32 v0, v28, v0, vcc_lo
	v_cmp_eq_u32_e32 vcc_lo, 3, v11
	s_wait_dscnt 0x4
	v_add_f64_e32 v[22:23], v[14:15], v[18:19]
	s_wait_dscnt 0x2
	v_add_f64_e32 v[14:15], v[16:17], v[24:25]
	s_wait_dscnt 0x0
	v_dual_add_f64 v[18:19], v[12:13], v[26:27] :: v_dual_lshlrev_b32 v25, 2, v0
	ds_bpermute_b32 v16, v25, v20
	ds_bpermute_b32 v17, v25, v21
	;; [unrolled: 1-line block ×8, first 2 shown]
	s_and_b32 exec_lo, exec_lo, vcc_lo
	s_cbranch_execz .LBB268_25
; %bb.21:
	v_cmp_eq_f64_e32 vcc_lo, 0, v[6:7]
	v_cmp_eq_f64_e64 s2, 0, v[8:9]
	s_wait_dscnt 0x4
	v_add_f64_e32 v[0:1], v[22:23], v[0:1]
	v_add_f64_e32 v[16:17], v[20:21], v[16:17]
	s_wait_dscnt 0x2
	v_add_f64_e32 v[12:13], v[14:15], v[12:13]
	s_wait_dscnt 0x0
	v_add_f64_e32 v[14:15], v[18:19], v[24:25]
	s_load_b64 s[0:1], s[0:1], 0x48
	s_and_b32 s2, vcc_lo, s2
	s_delay_alu instid0(SALU_CYCLE_1) | instskip(NEXT) | instid1(SALU_CYCLE_1)
	s_and_saveexec_b32 s3, s2
	s_xor_b32 s2, exec_lo, s3
	s_cbranch_execz .LBB268_23
; %bb.22:
	s_delay_alu instid0(VALU_DEP_3) | instskip(SKIP_1) | instid1(VALU_DEP_3)
	v_mul_f64_e64 v[6:7], v[16:17], -v[4:5]
	v_mul_f64_e32 v[8:9], v[2:3], v[16:17]
	v_mul_f64_e64 v[16:17], v[14:15], -v[4:5]
	v_mul_f64_e32 v[18:19], v[2:3], v[14:15]
                                        ; implicit-def: $vgpr14_vgpr15
	s_delay_alu instid0(VALU_DEP_4) | instskip(NEXT) | instid1(VALU_DEP_4)
	v_fmac_f64_e32 v[6:7], v[2:3], v[0:1]
	v_fmac_f64_e32 v[8:9], v[4:5], v[0:1]
	s_delay_alu instid0(VALU_DEP_4) | instskip(NEXT) | instid1(VALU_DEP_4)
	v_fmac_f64_e32 v[16:17], v[2:3], v[12:13]
	v_fmac_f64_e32 v[18:19], v[4:5], v[12:13]
	v_lshlrev_b32_e32 v0, 1, v10
                                        ; implicit-def: $vgpr10
                                        ; implicit-def: $vgpr12_vgpr13
                                        ; implicit-def: $vgpr4_vgpr5
	s_wait_kmcnt 0x0
	s_clause 0x1
	global_store_b128 v0, v[6:9], s[0:1] scale_offset
	global_store_b128 v0, v[16:19], s[0:1] offset:16 scale_offset
                                        ; implicit-def: $vgpr0_vgpr1
                                        ; implicit-def: $vgpr16_vgpr17
                                        ; implicit-def: $vgpr8_vgpr9
.LBB268_23:
	s_wait_xcnt 0x0
	s_and_not1_saveexec_b32 s2, s2
	s_cbranch_execz .LBB268_25
; %bb.24:
	s_delay_alu instid0(VALU_DEP_3) | instskip(SKIP_1) | instid1(VALU_DEP_3)
	v_dual_mul_f64 v[26:27], v[16:17], -v[4:5] :: v_dual_lshlrev_b32 v30, 1, v10
	v_mul_f64_e32 v[16:17], v[2:3], v[16:17]
	v_mul_f64_e64 v[28:29], v[14:15], -v[4:5]
	v_mul_f64_e32 v[10:11], v[2:3], v[14:15]
	s_wait_kmcnt 0x0
	s_clause 0x1
	global_load_b128 v[18:21], v30, s[0:1] scale_offset
	global_load_b128 v[22:25], v30, s[0:1] offset:16 scale_offset
	v_fmac_f64_e32 v[26:27], v[2:3], v[0:1]
	v_fmac_f64_e32 v[16:17], v[4:5], v[0:1]
	;; [unrolled: 1-line block ×4, first 2 shown]
	s_wait_loadcnt 0x1
	s_delay_alu instid0(VALU_DEP_4) | instskip(NEXT) | instid1(VALU_DEP_4)
	v_fmac_f64_e32 v[26:27], v[6:7], v[18:19]
	v_fmac_f64_e32 v[16:17], v[8:9], v[18:19]
	s_wait_loadcnt 0x0
	s_delay_alu instid0(VALU_DEP_4) | instskip(NEXT) | instid1(VALU_DEP_4)
	v_fmac_f64_e32 v[28:29], v[6:7], v[22:23]
	v_fmac_f64_e32 v[10:11], v[8:9], v[22:23]
	s_delay_alu instid0(VALU_DEP_4) | instskip(NEXT) | instid1(VALU_DEP_4)
	v_fma_f64 v[14:15], -v[8:9], v[20:21], v[26:27]
	v_fmac_f64_e32 v[16:17], v[6:7], v[20:21]
	s_delay_alu instid0(VALU_DEP_4) | instskip(NEXT) | instid1(VALU_DEP_4)
	v_fma_f64 v[8:9], -v[8:9], v[24:25], v[28:29]
	v_fmac_f64_e32 v[10:11], v[6:7], v[24:25]
	s_clause 0x1
	global_store_b128 v30, v[14:17], s[0:1] scale_offset
	global_store_b128 v30, v[8:11], s[0:1] offset:16 scale_offset
.LBB268_25:
	s_endpgm
	.section	.rodata,"a",@progbits
	.p2align	6, 0x0
	.amdhsa_kernel _ZN9rocsparseL19gebsrmvn_2xn_kernelILj128ELj10ELj4E21rocsparse_complex_numIdEEEvi20rocsparse_direction_NS_24const_host_device_scalarIT2_EEPKiS8_PKS5_SA_S6_PS5_21rocsparse_index_base_b
		.amdhsa_group_segment_fixed_size 0
		.amdhsa_private_segment_fixed_size 0
		.amdhsa_kernarg_size 88
		.amdhsa_user_sgpr_count 2
		.amdhsa_user_sgpr_dispatch_ptr 0
		.amdhsa_user_sgpr_queue_ptr 0
		.amdhsa_user_sgpr_kernarg_segment_ptr 1
		.amdhsa_user_sgpr_dispatch_id 0
		.amdhsa_user_sgpr_kernarg_preload_length 0
		.amdhsa_user_sgpr_kernarg_preload_offset 0
		.amdhsa_user_sgpr_private_segment_size 0
		.amdhsa_wavefront_size32 1
		.amdhsa_uses_dynamic_stack 0
		.amdhsa_enable_private_segment 0
		.amdhsa_system_sgpr_workgroup_id_x 1
		.amdhsa_system_sgpr_workgroup_id_y 0
		.amdhsa_system_sgpr_workgroup_id_z 0
		.amdhsa_system_sgpr_workgroup_info 0
		.amdhsa_system_vgpr_workitem_id 0
		.amdhsa_next_free_vgpr 50
		.amdhsa_next_free_sgpr 14
		.amdhsa_named_barrier_count 0
		.amdhsa_reserve_vcc 1
		.amdhsa_float_round_mode_32 0
		.amdhsa_float_round_mode_16_64 0
		.amdhsa_float_denorm_mode_32 3
		.amdhsa_float_denorm_mode_16_64 3
		.amdhsa_fp16_overflow 0
		.amdhsa_memory_ordered 1
		.amdhsa_forward_progress 1
		.amdhsa_inst_pref_size 14
		.amdhsa_round_robin_scheduling 0
		.amdhsa_exception_fp_ieee_invalid_op 0
		.amdhsa_exception_fp_denorm_src 0
		.amdhsa_exception_fp_ieee_div_zero 0
		.amdhsa_exception_fp_ieee_overflow 0
		.amdhsa_exception_fp_ieee_underflow 0
		.amdhsa_exception_fp_ieee_inexact 0
		.amdhsa_exception_int_div_zero 0
	.end_amdhsa_kernel
	.section	.text._ZN9rocsparseL19gebsrmvn_2xn_kernelILj128ELj10ELj4E21rocsparse_complex_numIdEEEvi20rocsparse_direction_NS_24const_host_device_scalarIT2_EEPKiS8_PKS5_SA_S6_PS5_21rocsparse_index_base_b,"axG",@progbits,_ZN9rocsparseL19gebsrmvn_2xn_kernelILj128ELj10ELj4E21rocsparse_complex_numIdEEEvi20rocsparse_direction_NS_24const_host_device_scalarIT2_EEPKiS8_PKS5_SA_S6_PS5_21rocsparse_index_base_b,comdat
.Lfunc_end268:
	.size	_ZN9rocsparseL19gebsrmvn_2xn_kernelILj128ELj10ELj4E21rocsparse_complex_numIdEEEvi20rocsparse_direction_NS_24const_host_device_scalarIT2_EEPKiS8_PKS5_SA_S6_PS5_21rocsparse_index_base_b, .Lfunc_end268-_ZN9rocsparseL19gebsrmvn_2xn_kernelILj128ELj10ELj4E21rocsparse_complex_numIdEEEvi20rocsparse_direction_NS_24const_host_device_scalarIT2_EEPKiS8_PKS5_SA_S6_PS5_21rocsparse_index_base_b
                                        ; -- End function
	.set _ZN9rocsparseL19gebsrmvn_2xn_kernelILj128ELj10ELj4E21rocsparse_complex_numIdEEEvi20rocsparse_direction_NS_24const_host_device_scalarIT2_EEPKiS8_PKS5_SA_S6_PS5_21rocsparse_index_base_b.num_vgpr, 50
	.set _ZN9rocsparseL19gebsrmvn_2xn_kernelILj128ELj10ELj4E21rocsparse_complex_numIdEEEvi20rocsparse_direction_NS_24const_host_device_scalarIT2_EEPKiS8_PKS5_SA_S6_PS5_21rocsparse_index_base_b.num_agpr, 0
	.set _ZN9rocsparseL19gebsrmvn_2xn_kernelILj128ELj10ELj4E21rocsparse_complex_numIdEEEvi20rocsparse_direction_NS_24const_host_device_scalarIT2_EEPKiS8_PKS5_SA_S6_PS5_21rocsparse_index_base_b.numbered_sgpr, 14
	.set _ZN9rocsparseL19gebsrmvn_2xn_kernelILj128ELj10ELj4E21rocsparse_complex_numIdEEEvi20rocsparse_direction_NS_24const_host_device_scalarIT2_EEPKiS8_PKS5_SA_S6_PS5_21rocsparse_index_base_b.num_named_barrier, 0
	.set _ZN9rocsparseL19gebsrmvn_2xn_kernelILj128ELj10ELj4E21rocsparse_complex_numIdEEEvi20rocsparse_direction_NS_24const_host_device_scalarIT2_EEPKiS8_PKS5_SA_S6_PS5_21rocsparse_index_base_b.private_seg_size, 0
	.set _ZN9rocsparseL19gebsrmvn_2xn_kernelILj128ELj10ELj4E21rocsparse_complex_numIdEEEvi20rocsparse_direction_NS_24const_host_device_scalarIT2_EEPKiS8_PKS5_SA_S6_PS5_21rocsparse_index_base_b.uses_vcc, 1
	.set _ZN9rocsparseL19gebsrmvn_2xn_kernelILj128ELj10ELj4E21rocsparse_complex_numIdEEEvi20rocsparse_direction_NS_24const_host_device_scalarIT2_EEPKiS8_PKS5_SA_S6_PS5_21rocsparse_index_base_b.uses_flat_scratch, 0
	.set _ZN9rocsparseL19gebsrmvn_2xn_kernelILj128ELj10ELj4E21rocsparse_complex_numIdEEEvi20rocsparse_direction_NS_24const_host_device_scalarIT2_EEPKiS8_PKS5_SA_S6_PS5_21rocsparse_index_base_b.has_dyn_sized_stack, 0
	.set _ZN9rocsparseL19gebsrmvn_2xn_kernelILj128ELj10ELj4E21rocsparse_complex_numIdEEEvi20rocsparse_direction_NS_24const_host_device_scalarIT2_EEPKiS8_PKS5_SA_S6_PS5_21rocsparse_index_base_b.has_recursion, 0
	.set _ZN9rocsparseL19gebsrmvn_2xn_kernelILj128ELj10ELj4E21rocsparse_complex_numIdEEEvi20rocsparse_direction_NS_24const_host_device_scalarIT2_EEPKiS8_PKS5_SA_S6_PS5_21rocsparse_index_base_b.has_indirect_call, 0
	.section	.AMDGPU.csdata,"",@progbits
; Kernel info:
; codeLenInByte = 1676
; TotalNumSgprs: 16
; NumVgprs: 50
; ScratchSize: 0
; MemoryBound: 0
; FloatMode: 240
; IeeeMode: 1
; LDSByteSize: 0 bytes/workgroup (compile time only)
; SGPRBlocks: 0
; VGPRBlocks: 3
; NumSGPRsForWavesPerEU: 16
; NumVGPRsForWavesPerEU: 50
; NamedBarCnt: 0
; Occupancy: 16
; WaveLimiterHint : 1
; COMPUTE_PGM_RSRC2:SCRATCH_EN: 0
; COMPUTE_PGM_RSRC2:USER_SGPR: 2
; COMPUTE_PGM_RSRC2:TRAP_HANDLER: 0
; COMPUTE_PGM_RSRC2:TGID_X_EN: 1
; COMPUTE_PGM_RSRC2:TGID_Y_EN: 0
; COMPUTE_PGM_RSRC2:TGID_Z_EN: 0
; COMPUTE_PGM_RSRC2:TIDIG_COMP_CNT: 0
	.section	.text._ZN9rocsparseL19gebsrmvn_2xn_kernelILj128ELj10ELj8E21rocsparse_complex_numIdEEEvi20rocsparse_direction_NS_24const_host_device_scalarIT2_EEPKiS8_PKS5_SA_S6_PS5_21rocsparse_index_base_b,"axG",@progbits,_ZN9rocsparseL19gebsrmvn_2xn_kernelILj128ELj10ELj8E21rocsparse_complex_numIdEEEvi20rocsparse_direction_NS_24const_host_device_scalarIT2_EEPKiS8_PKS5_SA_S6_PS5_21rocsparse_index_base_b,comdat
	.globl	_ZN9rocsparseL19gebsrmvn_2xn_kernelILj128ELj10ELj8E21rocsparse_complex_numIdEEEvi20rocsparse_direction_NS_24const_host_device_scalarIT2_EEPKiS8_PKS5_SA_S6_PS5_21rocsparse_index_base_b ; -- Begin function _ZN9rocsparseL19gebsrmvn_2xn_kernelILj128ELj10ELj8E21rocsparse_complex_numIdEEEvi20rocsparse_direction_NS_24const_host_device_scalarIT2_EEPKiS8_PKS5_SA_S6_PS5_21rocsparse_index_base_b
	.p2align	8
	.type	_ZN9rocsparseL19gebsrmvn_2xn_kernelILj128ELj10ELj8E21rocsparse_complex_numIdEEEvi20rocsparse_direction_NS_24const_host_device_scalarIT2_EEPKiS8_PKS5_SA_S6_PS5_21rocsparse_index_base_b,@function
_ZN9rocsparseL19gebsrmvn_2xn_kernelILj128ELj10ELj8E21rocsparse_complex_numIdEEEvi20rocsparse_direction_NS_24const_host_device_scalarIT2_EEPKiS8_PKS5_SA_S6_PS5_21rocsparse_index_base_b: ; @_ZN9rocsparseL19gebsrmvn_2xn_kernelILj128ELj10ELj8E21rocsparse_complex_numIdEEEvi20rocsparse_direction_NS_24const_host_device_scalarIT2_EEPKiS8_PKS5_SA_S6_PS5_21rocsparse_index_base_b
; %bb.0:
	s_clause 0x1
	s_load_b64 s[12:13], s[0:1], 0x50
	s_load_b64 s[2:3], s[0:1], 0x8
	v_mov_b32_e32 v1, 0
	s_add_nc_u64 s[4:5], s[0:1], 8
	s_load_b64 s[6:7], s[0:1], 0x38
	s_wait_kmcnt 0x0
	s_bitcmp1_b32 s13, 0
	s_cselect_b32 s3, s5, s3
	s_cselect_b32 s2, s4, s2
	flat_load_b128 v[2:5], v1, s[2:3]
	s_wait_xcnt 0x0
	s_add_nc_u64 s[2:3], s[0:1], 56
	s_delay_alu instid0(SALU_CYCLE_1)
	s_cselect_b32 s3, s3, s7
	s_cselect_b32 s2, s2, s6
	flat_load_b128 v[6:9], v1, s[2:3]
	s_wait_loadcnt_dscnt 0x101
	v_cmp_eq_f64_e32 vcc_lo, 0, v[2:3]
	s_wait_xcnt 0x0
	v_cmp_eq_f64_e64 s2, 0, v[4:5]
	s_and_b32 s4, vcc_lo, s2
	s_mov_b32 s2, -1
	s_and_saveexec_b32 s3, s4
	s_cbranch_execz .LBB269_2
; %bb.1:
	s_wait_loadcnt_dscnt 0x0
	v_cmp_neq_f64_e32 vcc_lo, 1.0, v[6:7]
	v_cmp_neq_f64_e64 s2, 0, v[8:9]
	s_or_b32 s2, vcc_lo, s2
	s_delay_alu instid0(SALU_CYCLE_1)
	s_or_not1_b32 s2, s2, exec_lo
.LBB269_2:
	s_or_b32 exec_lo, exec_lo, s3
	s_and_saveexec_b32 s3, s2
	s_cbranch_execz .LBB269_25
; %bb.3:
	s_load_b64 s[2:3], s[0:1], 0x0
	s_bfe_u32 s4, ttmp6, 0x4000c
	s_and_b32 s5, ttmp6, 15
	s_add_co_i32 s4, s4, 1
	s_getreg_b32 s6, hwreg(HW_REG_IB_STS2, 6, 4)
	s_mul_i32 s4, ttmp9, s4
	v_lshrrev_b32_e32 v1, 3, v0
	s_add_co_i32 s5, s5, s4
	s_cmp_eq_u32 s6, 0
	s_cselect_b32 s4, ttmp9, s5
	s_delay_alu instid0(VALU_DEP_1) | instid1(SALU_CYCLE_1)
	v_lshl_or_b32 v10, s4, 4, v1
	s_wait_kmcnt 0x0
	s_delay_alu instid0(VALU_DEP_1)
	v_cmp_gt_i32_e32 vcc_lo, s2, v10
	s_and_b32 exec_lo, exec_lo, vcc_lo
	s_cbranch_execz .LBB269_25
; %bb.4:
	s_load_b256 s[4:11], s[0:1], 0x18
	v_ashrrev_i32_e32 v11, 31, v10
	s_cmp_lg_u32 s3, 0
	s_wait_kmcnt 0x0
	s_delay_alu instid0(VALU_DEP_1)
	v_lshl_add_u64 v[12:13], v[10:11], 2, s[4:5]
	v_and_b32_e32 v11, 7, v0
	global_load_b64 v[18:19], v[12:13], off
	s_wait_loadcnt 0x0
	v_subrev_nc_u32_e32 v0, s12, v18
	v_subrev_nc_u32_e32 v19, s12, v19
	s_delay_alu instid0(VALU_DEP_2) | instskip(NEXT) | instid1(VALU_DEP_1)
	v_add_nc_u32_e32 v20, v0, v11
	v_cmp_lt_i32_e64 s2, v20, v19
	s_cbranch_scc0 .LBB269_12
; %bb.5:
	v_mov_b64_e32 v[0:1], 0
	v_mov_b64_e32 v[14:15], 0
	;; [unrolled: 1-line block ×4, first 2 shown]
	s_and_saveexec_b32 s3, s2
	s_cbranch_execz .LBB269_11
; %bb.6:
	v_mul_lo_u32 v21, v20, 20
	v_mov_b64_e32 v[0:1], 0
	v_mov_b64_e32 v[14:15], 0
	;; [unrolled: 1-line block ×4, first 2 shown]
	v_mov_b32_e32 v22, v20
	s_mov_b32 s4, 0
.LBB269_7:                              ; =>This Loop Header: Depth=1
                                        ;     Child Loop BB269_8 Depth 2
	global_load_b32 v23, v22, s[6:7] scale_offset
	v_mov_b32_e32 v24, v21
	s_mov_b32 s5, 0
	s_wait_loadcnt 0x0
	v_subrev_nc_u32_e32 v23, s12, v23
	s_delay_alu instid0(VALU_DEP_1)
	v_mul_lo_u32 v23, v23, 10
.LBB269_8:                              ;   Parent Loop BB269_7 Depth=1
                                        ; =>  This Inner Loop Header: Depth=2
	s_delay_alu instid0(VALU_DEP_1)
	v_add_nc_u32_e32 v25, s5, v23
	s_add_co_i32 s5, s5, 2
	s_clause 0x1
	global_load_b128 v[26:29], v24, s[8:9] offset:16 scale_offset
	global_load_b128 v[30:33], v24, s[8:9] scale_offset
	s_clause 0x1
	global_load_b128 v[34:37], v25, s[10:11] scale_offset
	global_load_b128 v[38:41], v25, s[10:11] offset:16 scale_offset
	s_clause 0x1
	global_load_b128 v[42:45], v24, s[8:9] offset:32 scale_offset
	global_load_b128 v[46:49], v24, s[8:9] offset:48 scale_offset
	s_wait_xcnt 0x0
	v_add_nc_u32_e32 v24, 4, v24
	s_cmp_eq_u32 s5, 10
	s_wait_loadcnt 0x3
	v_fmac_f64_e32 v[14:15], v[30:31], v[34:35]
	v_fmac_f64_e32 v[0:1], v[32:33], v[34:35]
	;; [unrolled: 1-line block ×4, first 2 shown]
	s_delay_alu instid0(VALU_DEP_4) | instskip(NEXT) | instid1(VALU_DEP_4)
	v_fma_f64 v[14:15], -v[32:33], v[36:37], v[14:15]
	v_fmac_f64_e32 v[0:1], v[30:31], v[36:37]
	s_delay_alu instid0(VALU_DEP_4) | instskip(NEXT) | instid1(VALU_DEP_4)
	v_fma_f64 v[16:17], -v[28:29], v[36:37], v[16:17]
	v_fmac_f64_e32 v[12:13], v[26:27], v[36:37]
	s_wait_loadcnt 0x1
	s_delay_alu instid0(VALU_DEP_4) | instskip(NEXT) | instid1(VALU_DEP_4)
	v_fmac_f64_e32 v[14:15], v[42:43], v[38:39]
	v_fmac_f64_e32 v[0:1], v[44:45], v[38:39]
	s_wait_loadcnt 0x0
	s_delay_alu instid0(VALU_DEP_4) | instskip(NEXT) | instid1(VALU_DEP_4)
	v_fmac_f64_e32 v[16:17], v[46:47], v[38:39]
	v_fmac_f64_e32 v[12:13], v[48:49], v[38:39]
	s_delay_alu instid0(VALU_DEP_4) | instskip(NEXT) | instid1(VALU_DEP_4)
	v_fma_f64 v[14:15], -v[44:45], v[40:41], v[14:15]
	v_fmac_f64_e32 v[0:1], v[42:43], v[40:41]
	s_delay_alu instid0(VALU_DEP_4) | instskip(NEXT) | instid1(VALU_DEP_4)
	v_fma_f64 v[16:17], -v[48:49], v[40:41], v[16:17]
	v_fmac_f64_e32 v[12:13], v[46:47], v[40:41]
	s_cbranch_scc0 .LBB269_8
; %bb.9:                                ;   in Loop: Header=BB269_7 Depth=1
	v_add_nc_u32_e32 v22, 8, v22
	v_add_nc_u32_e32 v21, 0xa0, v21
	s_delay_alu instid0(VALU_DEP_2) | instskip(SKIP_1) | instid1(SALU_CYCLE_1)
	v_cmp_ge_i32_e32 vcc_lo, v22, v19
	s_or_b32 s4, vcc_lo, s4
	s_and_not1_b32 exec_lo, exec_lo, s4
	s_cbranch_execnz .LBB269_7
; %bb.10:
	s_or_b32 exec_lo, exec_lo, s4
.LBB269_11:
	s_delay_alu instid0(SALU_CYCLE_1)
	s_or_b32 exec_lo, exec_lo, s3
	s_cbranch_execz .LBB269_13
	s_branch .LBB269_20
.LBB269_12:
                                        ; implicit-def: $vgpr0_vgpr1
                                        ; implicit-def: $vgpr14_vgpr15
                                        ; implicit-def: $vgpr16_vgpr17
                                        ; implicit-def: $vgpr12_vgpr13
.LBB269_13:
	v_mov_b64_e32 v[0:1], 0
	v_mov_b64_e32 v[14:15], 0
	v_mov_b64_e32 v[16:17], 0
	v_mov_b64_e32 v[12:13], 0
	s_and_saveexec_b32 s3, s2
	s_cbranch_execz .LBB269_19
; %bb.14:
	v_mul_u32_u24_e32 v0, 20, v11
	s_mul_i32 s2, s12, 20
	v_mov_b64_e32 v[14:15], 0
	v_mov_b64_e32 v[16:17], 0
	;; [unrolled: 1-line block ×3, first 2 shown]
	v_mad_u32 v21, v18, 20, v0
	v_mul_lo_u32 v18, v20, 20
	v_mov_b64_e32 v[0:1], 0
	s_delay_alu instid0(VALU_DEP_3)
	v_subrev_nc_u32_e32 v21, s2, v21
	s_mov_b32 s2, 0
.LBB269_15:                             ; =>This Loop Header: Depth=1
                                        ;     Child Loop BB269_16 Depth 2
	global_load_b32 v22, v20, s[6:7] scale_offset
	s_mov_b32 s4, 0
	s_wait_loadcnt 0x0
	v_subrev_nc_u32_e32 v22, s12, v22
	s_delay_alu instid0(VALU_DEP_1)
	v_mul_lo_u32 v22, v22, 10
.LBB269_16:                             ;   Parent Loop BB269_15 Depth=1
                                        ; =>  This Inner Loop Header: Depth=2
	s_delay_alu instid0(VALU_DEP_1)
	v_dual_add_nc_u32 v23, s4, v21 :: v_dual_add_nc_u32 v48, s4, v22
	v_add3_u32 v49, v18, s4, 10
	s_add_co_i32 s4, s4, 2
	global_load_b128 v[24:27], v23, s[8:9] scale_offset
	global_load_b128 v[28:31], v48, s[10:11] scale_offset
	s_clause 0x1
	global_load_b128 v[32:35], v49, s[8:9] scale_offset
	global_load_b128 v[36:39], v23, s[8:9] offset:16 scale_offset
	global_load_b128 v[40:43], v48, s[10:11] offset:16 scale_offset
	;; [unrolled: 1-line block ×3, first 2 shown]
	s_cmp_eq_u32 s4, 10
	s_wait_loadcnt 0x4
	v_fmac_f64_e32 v[14:15], v[24:25], v[28:29]
	v_fmac_f64_e32 v[0:1], v[26:27], v[28:29]
	s_wait_loadcnt 0x3
	v_fmac_f64_e32 v[16:17], v[32:33], v[28:29]
	v_fmac_f64_e32 v[12:13], v[34:35], v[28:29]
	s_delay_alu instid0(VALU_DEP_4) | instskip(NEXT) | instid1(VALU_DEP_4)
	v_fma_f64 v[14:15], -v[26:27], v[30:31], v[14:15]
	v_fmac_f64_e32 v[0:1], v[24:25], v[30:31]
	s_delay_alu instid0(VALU_DEP_4) | instskip(NEXT) | instid1(VALU_DEP_4)
	v_fma_f64 v[16:17], -v[34:35], v[30:31], v[16:17]
	v_fmac_f64_e32 v[12:13], v[32:33], v[30:31]
	s_wait_loadcnt 0x1
	s_delay_alu instid0(VALU_DEP_4) | instskip(NEXT) | instid1(VALU_DEP_4)
	v_fmac_f64_e32 v[14:15], v[36:37], v[40:41]
	v_fmac_f64_e32 v[0:1], v[38:39], v[40:41]
	s_wait_loadcnt 0x0
	s_delay_alu instid0(VALU_DEP_4) | instskip(NEXT) | instid1(VALU_DEP_4)
	v_fmac_f64_e32 v[16:17], v[44:45], v[40:41]
	v_fmac_f64_e32 v[12:13], v[46:47], v[40:41]
	s_delay_alu instid0(VALU_DEP_4) | instskip(NEXT) | instid1(VALU_DEP_4)
	v_fma_f64 v[14:15], -v[38:39], v[42:43], v[14:15]
	v_fmac_f64_e32 v[0:1], v[36:37], v[42:43]
	s_delay_alu instid0(VALU_DEP_4) | instskip(NEXT) | instid1(VALU_DEP_4)
	v_fma_f64 v[16:17], -v[46:47], v[42:43], v[16:17]
	v_fmac_f64_e32 v[12:13], v[44:45], v[42:43]
	s_cbranch_scc0 .LBB269_16
; %bb.17:                               ;   in Loop: Header=BB269_15 Depth=1
	v_add_nc_u32_e32 v20, 8, v20
	v_add_nc_u32_e32 v18, 0xa0, v18
	;; [unrolled: 1-line block ×3, first 2 shown]
	s_delay_alu instid0(VALU_DEP_3) | instskip(SKIP_1) | instid1(SALU_CYCLE_1)
	v_cmp_ge_i32_e32 vcc_lo, v20, v19
	s_or_b32 s2, vcc_lo, s2
	s_and_not1_b32 exec_lo, exec_lo, s2
	s_cbranch_execnz .LBB269_15
; %bb.18:
	s_or_b32 exec_lo, exec_lo, s2
.LBB269_19:
	s_delay_alu instid0(SALU_CYCLE_1)
	s_or_b32 exec_lo, exec_lo, s3
.LBB269_20:
	v_mbcnt_lo_u32_b32 v28, -1, 0
	s_delay_alu instid0(VALU_DEP_1) | instskip(NEXT) | instid1(VALU_DEP_1)
	v_xor_b32_e32 v18, 4, v28
	v_cmp_gt_i32_e32 vcc_lo, 32, v18
	v_cndmask_b32_e32 v18, v28, v18, vcc_lo
	s_delay_alu instid0(VALU_DEP_1)
	v_lshlrev_b32_e32 v25, 2, v18
	ds_bpermute_b32 v18, v25, v14
	ds_bpermute_b32 v19, v25, v15
	;; [unrolled: 1-line block ×4, first 2 shown]
	s_wait_dscnt 0x2
	v_add_f64_e32 v[14:15], v[14:15], v[18:19]
	s_wait_dscnt 0x0
	v_add_f64_e32 v[18:19], v[0:1], v[20:21]
	ds_bpermute_b32 v22, v25, v16
	ds_bpermute_b32 v23, v25, v17
	;; [unrolled: 1-line block ×4, first 2 shown]
	v_xor_b32_e32 v0, 2, v28
	s_delay_alu instid0(VALU_DEP_1)
	v_cmp_gt_i32_e32 vcc_lo, 32, v0
	v_cndmask_b32_e32 v0, v28, v0, vcc_lo
	s_wait_dscnt 0x2
	v_add_f64_e32 v[20:21], v[16:17], v[22:23]
	s_wait_dscnt 0x0
	v_add_f64_e32 v[22:23], v[12:13], v[24:25]
	v_lshlrev_b32_e32 v16, 2, v0
	ds_bpermute_b32 v0, v16, v14
	ds_bpermute_b32 v1, v16, v15
	;; [unrolled: 1-line block ×8, first 2 shown]
	s_wait_dscnt 0x4
	v_add_f64_e32 v[16:17], v[18:19], v[12:13]
	v_xor_b32_e32 v18, 1, v28
	s_delay_alu instid0(VALU_DEP_1) | instskip(SKIP_3) | instid1(VALU_DEP_2)
	v_cmp_gt_i32_e32 vcc_lo, 32, v18
	v_dual_add_f64 v[0:1], v[14:15], v[0:1] :: v_dual_cndmask_b32 v18, v28, v18, vcc_lo
	v_cmp_eq_u32_e32 vcc_lo, 7, v11
	s_wait_dscnt 0x2
	v_dual_add_f64 v[12:13], v[20:21], v[24:25] :: v_dual_lshlrev_b32 v21, 2, v18
	s_wait_dscnt 0x0
	v_add_f64_e32 v[14:15], v[22:23], v[26:27]
	ds_bpermute_b32 v22, v21, v16
	ds_bpermute_b32 v23, v21, v17
	;; [unrolled: 1-line block ×8, first 2 shown]
	s_and_b32 exec_lo, exec_lo, vcc_lo
	s_cbranch_execz .LBB269_25
; %bb.21:
	v_cmp_eq_f64_e32 vcc_lo, 0, v[6:7]
	v_cmp_eq_f64_e64 s2, 0, v[8:9]
	s_wait_dscnt 0x4
	v_add_f64_e32 v[0:1], v[0:1], v[24:25]
	v_add_f64_e32 v[16:17], v[16:17], v[22:23]
	s_wait_dscnt 0x2
	v_add_f64_e32 v[12:13], v[12:13], v[18:19]
	s_wait_dscnt 0x0
	v_add_f64_e32 v[14:15], v[14:15], v[20:21]
	s_load_b64 s[0:1], s[0:1], 0x48
	s_and_b32 s2, vcc_lo, s2
	s_delay_alu instid0(SALU_CYCLE_1) | instskip(NEXT) | instid1(SALU_CYCLE_1)
	s_and_saveexec_b32 s3, s2
	s_xor_b32 s2, exec_lo, s3
	s_cbranch_execz .LBB269_23
; %bb.22:
	s_delay_alu instid0(VALU_DEP_3) | instskip(SKIP_1) | instid1(VALU_DEP_3)
	v_mul_f64_e64 v[6:7], v[16:17], -v[4:5]
	v_mul_f64_e32 v[8:9], v[2:3], v[16:17]
	v_mul_f64_e64 v[16:17], v[14:15], -v[4:5]
	v_mul_f64_e32 v[18:19], v[2:3], v[14:15]
                                        ; implicit-def: $vgpr14_vgpr15
	s_delay_alu instid0(VALU_DEP_4) | instskip(NEXT) | instid1(VALU_DEP_4)
	v_fmac_f64_e32 v[6:7], v[2:3], v[0:1]
	v_fmac_f64_e32 v[8:9], v[4:5], v[0:1]
	s_delay_alu instid0(VALU_DEP_4) | instskip(NEXT) | instid1(VALU_DEP_4)
	v_fmac_f64_e32 v[16:17], v[2:3], v[12:13]
	v_fmac_f64_e32 v[18:19], v[4:5], v[12:13]
	v_lshlrev_b32_e32 v0, 1, v10
                                        ; implicit-def: $vgpr10
                                        ; implicit-def: $vgpr12_vgpr13
                                        ; implicit-def: $vgpr4_vgpr5
	s_wait_kmcnt 0x0
	s_clause 0x1
	global_store_b128 v0, v[6:9], s[0:1] scale_offset
	global_store_b128 v0, v[16:19], s[0:1] offset:16 scale_offset
                                        ; implicit-def: $vgpr0_vgpr1
                                        ; implicit-def: $vgpr16_vgpr17
                                        ; implicit-def: $vgpr8_vgpr9
.LBB269_23:
	s_wait_xcnt 0x0
	s_and_not1_saveexec_b32 s2, s2
	s_cbranch_execz .LBB269_25
; %bb.24:
	s_delay_alu instid0(VALU_DEP_3) | instskip(SKIP_1) | instid1(VALU_DEP_3)
	v_dual_mul_f64 v[26:27], v[16:17], -v[4:5] :: v_dual_lshlrev_b32 v30, 1, v10
	v_mul_f64_e32 v[16:17], v[2:3], v[16:17]
	v_mul_f64_e64 v[28:29], v[14:15], -v[4:5]
	v_mul_f64_e32 v[10:11], v[2:3], v[14:15]
	s_wait_kmcnt 0x0
	s_clause 0x1
	global_load_b128 v[18:21], v30, s[0:1] scale_offset
	global_load_b128 v[22:25], v30, s[0:1] offset:16 scale_offset
	v_fmac_f64_e32 v[26:27], v[2:3], v[0:1]
	v_fmac_f64_e32 v[16:17], v[4:5], v[0:1]
	;; [unrolled: 1-line block ×4, first 2 shown]
	s_wait_loadcnt 0x1
	s_delay_alu instid0(VALU_DEP_4) | instskip(NEXT) | instid1(VALU_DEP_4)
	v_fmac_f64_e32 v[26:27], v[6:7], v[18:19]
	v_fmac_f64_e32 v[16:17], v[8:9], v[18:19]
	s_wait_loadcnt 0x0
	s_delay_alu instid0(VALU_DEP_4) | instskip(NEXT) | instid1(VALU_DEP_4)
	v_fmac_f64_e32 v[28:29], v[6:7], v[22:23]
	v_fmac_f64_e32 v[10:11], v[8:9], v[22:23]
	s_delay_alu instid0(VALU_DEP_4) | instskip(NEXT) | instid1(VALU_DEP_4)
	v_fma_f64 v[14:15], -v[8:9], v[20:21], v[26:27]
	v_fmac_f64_e32 v[16:17], v[6:7], v[20:21]
	s_delay_alu instid0(VALU_DEP_4) | instskip(NEXT) | instid1(VALU_DEP_4)
	v_fma_f64 v[8:9], -v[8:9], v[24:25], v[28:29]
	v_fmac_f64_e32 v[10:11], v[6:7], v[24:25]
	s_clause 0x1
	global_store_b128 v30, v[14:17], s[0:1] scale_offset
	global_store_b128 v30, v[8:11], s[0:1] offset:16 scale_offset
.LBB269_25:
	s_endpgm
	.section	.rodata,"a",@progbits
	.p2align	6, 0x0
	.amdhsa_kernel _ZN9rocsparseL19gebsrmvn_2xn_kernelILj128ELj10ELj8E21rocsparse_complex_numIdEEEvi20rocsparse_direction_NS_24const_host_device_scalarIT2_EEPKiS8_PKS5_SA_S6_PS5_21rocsparse_index_base_b
		.amdhsa_group_segment_fixed_size 0
		.amdhsa_private_segment_fixed_size 0
		.amdhsa_kernarg_size 88
		.amdhsa_user_sgpr_count 2
		.amdhsa_user_sgpr_dispatch_ptr 0
		.amdhsa_user_sgpr_queue_ptr 0
		.amdhsa_user_sgpr_kernarg_segment_ptr 1
		.amdhsa_user_sgpr_dispatch_id 0
		.amdhsa_user_sgpr_kernarg_preload_length 0
		.amdhsa_user_sgpr_kernarg_preload_offset 0
		.amdhsa_user_sgpr_private_segment_size 0
		.amdhsa_wavefront_size32 1
		.amdhsa_uses_dynamic_stack 0
		.amdhsa_enable_private_segment 0
		.amdhsa_system_sgpr_workgroup_id_x 1
		.amdhsa_system_sgpr_workgroup_id_y 0
		.amdhsa_system_sgpr_workgroup_id_z 0
		.amdhsa_system_sgpr_workgroup_info 0
		.amdhsa_system_vgpr_workitem_id 0
		.amdhsa_next_free_vgpr 50
		.amdhsa_next_free_sgpr 14
		.amdhsa_named_barrier_count 0
		.amdhsa_reserve_vcc 1
		.amdhsa_float_round_mode_32 0
		.amdhsa_float_round_mode_16_64 0
		.amdhsa_float_denorm_mode_32 3
		.amdhsa_float_denorm_mode_16_64 3
		.amdhsa_fp16_overflow 0
		.amdhsa_memory_ordered 1
		.amdhsa_forward_progress 1
		.amdhsa_inst_pref_size 14
		.amdhsa_round_robin_scheduling 0
		.amdhsa_exception_fp_ieee_invalid_op 0
		.amdhsa_exception_fp_denorm_src 0
		.amdhsa_exception_fp_ieee_div_zero 0
		.amdhsa_exception_fp_ieee_overflow 0
		.amdhsa_exception_fp_ieee_underflow 0
		.amdhsa_exception_fp_ieee_inexact 0
		.amdhsa_exception_int_div_zero 0
	.end_amdhsa_kernel
	.section	.text._ZN9rocsparseL19gebsrmvn_2xn_kernelILj128ELj10ELj8E21rocsparse_complex_numIdEEEvi20rocsparse_direction_NS_24const_host_device_scalarIT2_EEPKiS8_PKS5_SA_S6_PS5_21rocsparse_index_base_b,"axG",@progbits,_ZN9rocsparseL19gebsrmvn_2xn_kernelILj128ELj10ELj8E21rocsparse_complex_numIdEEEvi20rocsparse_direction_NS_24const_host_device_scalarIT2_EEPKiS8_PKS5_SA_S6_PS5_21rocsparse_index_base_b,comdat
.Lfunc_end269:
	.size	_ZN9rocsparseL19gebsrmvn_2xn_kernelILj128ELj10ELj8E21rocsparse_complex_numIdEEEvi20rocsparse_direction_NS_24const_host_device_scalarIT2_EEPKiS8_PKS5_SA_S6_PS5_21rocsparse_index_base_b, .Lfunc_end269-_ZN9rocsparseL19gebsrmvn_2xn_kernelILj128ELj10ELj8E21rocsparse_complex_numIdEEEvi20rocsparse_direction_NS_24const_host_device_scalarIT2_EEPKiS8_PKS5_SA_S6_PS5_21rocsparse_index_base_b
                                        ; -- End function
	.set _ZN9rocsparseL19gebsrmvn_2xn_kernelILj128ELj10ELj8E21rocsparse_complex_numIdEEEvi20rocsparse_direction_NS_24const_host_device_scalarIT2_EEPKiS8_PKS5_SA_S6_PS5_21rocsparse_index_base_b.num_vgpr, 50
	.set _ZN9rocsparseL19gebsrmvn_2xn_kernelILj128ELj10ELj8E21rocsparse_complex_numIdEEEvi20rocsparse_direction_NS_24const_host_device_scalarIT2_EEPKiS8_PKS5_SA_S6_PS5_21rocsparse_index_base_b.num_agpr, 0
	.set _ZN9rocsparseL19gebsrmvn_2xn_kernelILj128ELj10ELj8E21rocsparse_complex_numIdEEEvi20rocsparse_direction_NS_24const_host_device_scalarIT2_EEPKiS8_PKS5_SA_S6_PS5_21rocsparse_index_base_b.numbered_sgpr, 14
	.set _ZN9rocsparseL19gebsrmvn_2xn_kernelILj128ELj10ELj8E21rocsparse_complex_numIdEEEvi20rocsparse_direction_NS_24const_host_device_scalarIT2_EEPKiS8_PKS5_SA_S6_PS5_21rocsparse_index_base_b.num_named_barrier, 0
	.set _ZN9rocsparseL19gebsrmvn_2xn_kernelILj128ELj10ELj8E21rocsparse_complex_numIdEEEvi20rocsparse_direction_NS_24const_host_device_scalarIT2_EEPKiS8_PKS5_SA_S6_PS5_21rocsparse_index_base_b.private_seg_size, 0
	.set _ZN9rocsparseL19gebsrmvn_2xn_kernelILj128ELj10ELj8E21rocsparse_complex_numIdEEEvi20rocsparse_direction_NS_24const_host_device_scalarIT2_EEPKiS8_PKS5_SA_S6_PS5_21rocsparse_index_base_b.uses_vcc, 1
	.set _ZN9rocsparseL19gebsrmvn_2xn_kernelILj128ELj10ELj8E21rocsparse_complex_numIdEEEvi20rocsparse_direction_NS_24const_host_device_scalarIT2_EEPKiS8_PKS5_SA_S6_PS5_21rocsparse_index_base_b.uses_flat_scratch, 0
	.set _ZN9rocsparseL19gebsrmvn_2xn_kernelILj128ELj10ELj8E21rocsparse_complex_numIdEEEvi20rocsparse_direction_NS_24const_host_device_scalarIT2_EEPKiS8_PKS5_SA_S6_PS5_21rocsparse_index_base_b.has_dyn_sized_stack, 0
	.set _ZN9rocsparseL19gebsrmvn_2xn_kernelILj128ELj10ELj8E21rocsparse_complex_numIdEEEvi20rocsparse_direction_NS_24const_host_device_scalarIT2_EEPKiS8_PKS5_SA_S6_PS5_21rocsparse_index_base_b.has_recursion, 0
	.set _ZN9rocsparseL19gebsrmvn_2xn_kernelILj128ELj10ELj8E21rocsparse_complex_numIdEEEvi20rocsparse_direction_NS_24const_host_device_scalarIT2_EEPKiS8_PKS5_SA_S6_PS5_21rocsparse_index_base_b.has_indirect_call, 0
	.section	.AMDGPU.csdata,"",@progbits
; Kernel info:
; codeLenInByte = 1792
; TotalNumSgprs: 16
; NumVgprs: 50
; ScratchSize: 0
; MemoryBound: 0
; FloatMode: 240
; IeeeMode: 1
; LDSByteSize: 0 bytes/workgroup (compile time only)
; SGPRBlocks: 0
; VGPRBlocks: 3
; NumSGPRsForWavesPerEU: 16
; NumVGPRsForWavesPerEU: 50
; NamedBarCnt: 0
; Occupancy: 16
; WaveLimiterHint : 1
; COMPUTE_PGM_RSRC2:SCRATCH_EN: 0
; COMPUTE_PGM_RSRC2:USER_SGPR: 2
; COMPUTE_PGM_RSRC2:TRAP_HANDLER: 0
; COMPUTE_PGM_RSRC2:TGID_X_EN: 1
; COMPUTE_PGM_RSRC2:TGID_Y_EN: 0
; COMPUTE_PGM_RSRC2:TGID_Z_EN: 0
; COMPUTE_PGM_RSRC2:TIDIG_COMP_CNT: 0
	.section	.text._ZN9rocsparseL19gebsrmvn_2xn_kernelILj128ELj10ELj16E21rocsparse_complex_numIdEEEvi20rocsparse_direction_NS_24const_host_device_scalarIT2_EEPKiS8_PKS5_SA_S6_PS5_21rocsparse_index_base_b,"axG",@progbits,_ZN9rocsparseL19gebsrmvn_2xn_kernelILj128ELj10ELj16E21rocsparse_complex_numIdEEEvi20rocsparse_direction_NS_24const_host_device_scalarIT2_EEPKiS8_PKS5_SA_S6_PS5_21rocsparse_index_base_b,comdat
	.globl	_ZN9rocsparseL19gebsrmvn_2xn_kernelILj128ELj10ELj16E21rocsparse_complex_numIdEEEvi20rocsparse_direction_NS_24const_host_device_scalarIT2_EEPKiS8_PKS5_SA_S6_PS5_21rocsparse_index_base_b ; -- Begin function _ZN9rocsparseL19gebsrmvn_2xn_kernelILj128ELj10ELj16E21rocsparse_complex_numIdEEEvi20rocsparse_direction_NS_24const_host_device_scalarIT2_EEPKiS8_PKS5_SA_S6_PS5_21rocsparse_index_base_b
	.p2align	8
	.type	_ZN9rocsparseL19gebsrmvn_2xn_kernelILj128ELj10ELj16E21rocsparse_complex_numIdEEEvi20rocsparse_direction_NS_24const_host_device_scalarIT2_EEPKiS8_PKS5_SA_S6_PS5_21rocsparse_index_base_b,@function
_ZN9rocsparseL19gebsrmvn_2xn_kernelILj128ELj10ELj16E21rocsparse_complex_numIdEEEvi20rocsparse_direction_NS_24const_host_device_scalarIT2_EEPKiS8_PKS5_SA_S6_PS5_21rocsparse_index_base_b: ; @_ZN9rocsparseL19gebsrmvn_2xn_kernelILj128ELj10ELj16E21rocsparse_complex_numIdEEEvi20rocsparse_direction_NS_24const_host_device_scalarIT2_EEPKiS8_PKS5_SA_S6_PS5_21rocsparse_index_base_b
; %bb.0:
	s_clause 0x1
	s_load_b64 s[12:13], s[0:1], 0x50
	s_load_b64 s[2:3], s[0:1], 0x8
	v_mov_b32_e32 v1, 0
	s_add_nc_u64 s[4:5], s[0:1], 8
	s_load_b64 s[6:7], s[0:1], 0x38
	s_wait_kmcnt 0x0
	s_bitcmp1_b32 s13, 0
	s_cselect_b32 s3, s5, s3
	s_cselect_b32 s2, s4, s2
	flat_load_b128 v[2:5], v1, s[2:3]
	s_wait_xcnt 0x0
	s_add_nc_u64 s[2:3], s[0:1], 56
	s_delay_alu instid0(SALU_CYCLE_1)
	s_cselect_b32 s3, s3, s7
	s_cselect_b32 s2, s2, s6
	flat_load_b128 v[6:9], v1, s[2:3]
	s_wait_loadcnt_dscnt 0x101
	v_cmp_eq_f64_e32 vcc_lo, 0, v[2:3]
	s_wait_xcnt 0x0
	v_cmp_eq_f64_e64 s2, 0, v[4:5]
	s_and_b32 s4, vcc_lo, s2
	s_mov_b32 s2, -1
	s_and_saveexec_b32 s3, s4
	s_cbranch_execz .LBB270_2
; %bb.1:
	s_wait_loadcnt_dscnt 0x0
	v_cmp_neq_f64_e32 vcc_lo, 1.0, v[6:7]
	v_cmp_neq_f64_e64 s2, 0, v[8:9]
	s_or_b32 s2, vcc_lo, s2
	s_delay_alu instid0(SALU_CYCLE_1)
	s_or_not1_b32 s2, s2, exec_lo
.LBB270_2:
	s_or_b32 exec_lo, exec_lo, s3
	s_and_saveexec_b32 s3, s2
	s_cbranch_execz .LBB270_25
; %bb.3:
	s_load_b64 s[2:3], s[0:1], 0x0
	s_bfe_u32 s4, ttmp6, 0x4000c
	s_and_b32 s5, ttmp6, 15
	s_add_co_i32 s4, s4, 1
	s_getreg_b32 s6, hwreg(HW_REG_IB_STS2, 6, 4)
	s_mul_i32 s4, ttmp9, s4
	v_lshrrev_b32_e32 v1, 4, v0
	s_add_co_i32 s5, s5, s4
	s_cmp_eq_u32 s6, 0
	s_cselect_b32 s4, ttmp9, s5
	s_delay_alu instid0(VALU_DEP_1) | instid1(SALU_CYCLE_1)
	v_lshl_or_b32 v10, s4, 3, v1
	s_wait_kmcnt 0x0
	s_delay_alu instid0(VALU_DEP_1)
	v_cmp_gt_i32_e32 vcc_lo, s2, v10
	s_and_b32 exec_lo, exec_lo, vcc_lo
	s_cbranch_execz .LBB270_25
; %bb.4:
	s_load_b256 s[4:11], s[0:1], 0x18
	v_ashrrev_i32_e32 v11, 31, v10
	s_cmp_lg_u32 s3, 0
	s_wait_kmcnt 0x0
	s_delay_alu instid0(VALU_DEP_1)
	v_lshl_add_u64 v[12:13], v[10:11], 2, s[4:5]
	v_and_b32_e32 v11, 15, v0
	global_load_b64 v[18:19], v[12:13], off
	s_wait_loadcnt 0x0
	v_subrev_nc_u32_e32 v0, s12, v18
	v_subrev_nc_u32_e32 v19, s12, v19
	s_delay_alu instid0(VALU_DEP_2) | instskip(NEXT) | instid1(VALU_DEP_1)
	v_add_nc_u32_e32 v20, v0, v11
	v_cmp_lt_i32_e64 s2, v20, v19
	s_cbranch_scc0 .LBB270_12
; %bb.5:
	v_mov_b64_e32 v[0:1], 0
	v_mov_b64_e32 v[14:15], 0
	;; [unrolled: 1-line block ×4, first 2 shown]
	s_and_saveexec_b32 s3, s2
	s_cbranch_execz .LBB270_11
; %bb.6:
	v_mul_lo_u32 v21, v20, 20
	v_mov_b64_e32 v[0:1], 0
	v_mov_b64_e32 v[14:15], 0
	;; [unrolled: 1-line block ×4, first 2 shown]
	v_mov_b32_e32 v22, v20
	s_mov_b32 s4, 0
.LBB270_7:                              ; =>This Loop Header: Depth=1
                                        ;     Child Loop BB270_8 Depth 2
	global_load_b32 v23, v22, s[6:7] scale_offset
	v_mov_b32_e32 v24, v21
	s_mov_b32 s5, 0
	s_wait_loadcnt 0x0
	v_subrev_nc_u32_e32 v23, s12, v23
	s_delay_alu instid0(VALU_DEP_1)
	v_mul_lo_u32 v23, v23, 10
.LBB270_8:                              ;   Parent Loop BB270_7 Depth=1
                                        ; =>  This Inner Loop Header: Depth=2
	s_delay_alu instid0(VALU_DEP_1)
	v_add_nc_u32_e32 v25, s5, v23
	s_add_co_i32 s5, s5, 2
	s_clause 0x1
	global_load_b128 v[26:29], v24, s[8:9] offset:16 scale_offset
	global_load_b128 v[30:33], v24, s[8:9] scale_offset
	s_clause 0x1
	global_load_b128 v[34:37], v25, s[10:11] scale_offset
	global_load_b128 v[38:41], v25, s[10:11] offset:16 scale_offset
	s_clause 0x1
	global_load_b128 v[42:45], v24, s[8:9] offset:32 scale_offset
	global_load_b128 v[46:49], v24, s[8:9] offset:48 scale_offset
	s_wait_xcnt 0x0
	v_add_nc_u32_e32 v24, 4, v24
	s_cmp_eq_u32 s5, 10
	s_wait_loadcnt 0x3
	v_fmac_f64_e32 v[14:15], v[30:31], v[34:35]
	v_fmac_f64_e32 v[0:1], v[32:33], v[34:35]
	;; [unrolled: 1-line block ×4, first 2 shown]
	s_delay_alu instid0(VALU_DEP_4) | instskip(NEXT) | instid1(VALU_DEP_4)
	v_fma_f64 v[14:15], -v[32:33], v[36:37], v[14:15]
	v_fmac_f64_e32 v[0:1], v[30:31], v[36:37]
	s_delay_alu instid0(VALU_DEP_4) | instskip(NEXT) | instid1(VALU_DEP_4)
	v_fma_f64 v[16:17], -v[28:29], v[36:37], v[16:17]
	v_fmac_f64_e32 v[12:13], v[26:27], v[36:37]
	s_wait_loadcnt 0x1
	s_delay_alu instid0(VALU_DEP_4) | instskip(NEXT) | instid1(VALU_DEP_4)
	v_fmac_f64_e32 v[14:15], v[42:43], v[38:39]
	v_fmac_f64_e32 v[0:1], v[44:45], v[38:39]
	s_wait_loadcnt 0x0
	s_delay_alu instid0(VALU_DEP_4) | instskip(NEXT) | instid1(VALU_DEP_4)
	v_fmac_f64_e32 v[16:17], v[46:47], v[38:39]
	v_fmac_f64_e32 v[12:13], v[48:49], v[38:39]
	s_delay_alu instid0(VALU_DEP_4) | instskip(NEXT) | instid1(VALU_DEP_4)
	v_fma_f64 v[14:15], -v[44:45], v[40:41], v[14:15]
	v_fmac_f64_e32 v[0:1], v[42:43], v[40:41]
	s_delay_alu instid0(VALU_DEP_4) | instskip(NEXT) | instid1(VALU_DEP_4)
	v_fma_f64 v[16:17], -v[48:49], v[40:41], v[16:17]
	v_fmac_f64_e32 v[12:13], v[46:47], v[40:41]
	s_cbranch_scc0 .LBB270_8
; %bb.9:                                ;   in Loop: Header=BB270_7 Depth=1
	v_add_nc_u32_e32 v22, 16, v22
	v_add_nc_u32_e32 v21, 0x140, v21
	s_delay_alu instid0(VALU_DEP_2) | instskip(SKIP_1) | instid1(SALU_CYCLE_1)
	v_cmp_ge_i32_e32 vcc_lo, v22, v19
	s_or_b32 s4, vcc_lo, s4
	s_and_not1_b32 exec_lo, exec_lo, s4
	s_cbranch_execnz .LBB270_7
; %bb.10:
	s_or_b32 exec_lo, exec_lo, s4
.LBB270_11:
	s_delay_alu instid0(SALU_CYCLE_1)
	s_or_b32 exec_lo, exec_lo, s3
	s_cbranch_execz .LBB270_13
	s_branch .LBB270_20
.LBB270_12:
                                        ; implicit-def: $vgpr0_vgpr1
                                        ; implicit-def: $vgpr14_vgpr15
                                        ; implicit-def: $vgpr16_vgpr17
                                        ; implicit-def: $vgpr12_vgpr13
.LBB270_13:
	v_mov_b64_e32 v[0:1], 0
	v_mov_b64_e32 v[14:15], 0
	;; [unrolled: 1-line block ×4, first 2 shown]
	s_and_saveexec_b32 s3, s2
	s_cbranch_execz .LBB270_19
; %bb.14:
	v_mul_u32_u24_e32 v0, 20, v11
	s_mul_i32 s2, s12, 20
	v_mov_b64_e32 v[14:15], 0
	v_mov_b64_e32 v[16:17], 0
	;; [unrolled: 1-line block ×3, first 2 shown]
	v_mad_u32 v21, v18, 20, v0
	v_mul_lo_u32 v18, v20, 20
	v_mov_b64_e32 v[0:1], 0
	s_delay_alu instid0(VALU_DEP_3)
	v_subrev_nc_u32_e32 v21, s2, v21
	s_mov_b32 s2, 0
.LBB270_15:                             ; =>This Loop Header: Depth=1
                                        ;     Child Loop BB270_16 Depth 2
	global_load_b32 v22, v20, s[6:7] scale_offset
	s_mov_b32 s4, 0
	s_wait_loadcnt 0x0
	v_subrev_nc_u32_e32 v22, s12, v22
	s_delay_alu instid0(VALU_DEP_1)
	v_mul_lo_u32 v22, v22, 10
.LBB270_16:                             ;   Parent Loop BB270_15 Depth=1
                                        ; =>  This Inner Loop Header: Depth=2
	s_delay_alu instid0(VALU_DEP_1)
	v_dual_add_nc_u32 v23, s4, v21 :: v_dual_add_nc_u32 v48, s4, v22
	v_add3_u32 v49, v18, s4, 10
	s_add_co_i32 s4, s4, 2
	global_load_b128 v[24:27], v23, s[8:9] scale_offset
	global_load_b128 v[28:31], v48, s[10:11] scale_offset
	s_clause 0x1
	global_load_b128 v[32:35], v49, s[8:9] scale_offset
	global_load_b128 v[36:39], v23, s[8:9] offset:16 scale_offset
	global_load_b128 v[40:43], v48, s[10:11] offset:16 scale_offset
	global_load_b128 v[44:47], v49, s[8:9] offset:16 scale_offset
	s_cmp_eq_u32 s4, 10
	s_wait_loadcnt 0x4
	v_fmac_f64_e32 v[14:15], v[24:25], v[28:29]
	v_fmac_f64_e32 v[0:1], v[26:27], v[28:29]
	s_wait_loadcnt 0x3
	v_fmac_f64_e32 v[16:17], v[32:33], v[28:29]
	v_fmac_f64_e32 v[12:13], v[34:35], v[28:29]
	s_delay_alu instid0(VALU_DEP_4) | instskip(NEXT) | instid1(VALU_DEP_4)
	v_fma_f64 v[14:15], -v[26:27], v[30:31], v[14:15]
	v_fmac_f64_e32 v[0:1], v[24:25], v[30:31]
	s_delay_alu instid0(VALU_DEP_4) | instskip(NEXT) | instid1(VALU_DEP_4)
	v_fma_f64 v[16:17], -v[34:35], v[30:31], v[16:17]
	v_fmac_f64_e32 v[12:13], v[32:33], v[30:31]
	s_wait_loadcnt 0x1
	s_delay_alu instid0(VALU_DEP_4) | instskip(NEXT) | instid1(VALU_DEP_4)
	v_fmac_f64_e32 v[14:15], v[36:37], v[40:41]
	v_fmac_f64_e32 v[0:1], v[38:39], v[40:41]
	s_wait_loadcnt 0x0
	s_delay_alu instid0(VALU_DEP_4) | instskip(NEXT) | instid1(VALU_DEP_4)
	v_fmac_f64_e32 v[16:17], v[44:45], v[40:41]
	v_fmac_f64_e32 v[12:13], v[46:47], v[40:41]
	s_delay_alu instid0(VALU_DEP_4) | instskip(NEXT) | instid1(VALU_DEP_4)
	v_fma_f64 v[14:15], -v[38:39], v[42:43], v[14:15]
	v_fmac_f64_e32 v[0:1], v[36:37], v[42:43]
	s_delay_alu instid0(VALU_DEP_4) | instskip(NEXT) | instid1(VALU_DEP_4)
	v_fma_f64 v[16:17], -v[46:47], v[42:43], v[16:17]
	v_fmac_f64_e32 v[12:13], v[44:45], v[42:43]
	s_cbranch_scc0 .LBB270_16
; %bb.17:                               ;   in Loop: Header=BB270_15 Depth=1
	v_add_nc_u32_e32 v20, 16, v20
	v_add_nc_u32_e32 v18, 0x140, v18
	v_add_nc_u32_e32 v21, 0x140, v21
	s_delay_alu instid0(VALU_DEP_3) | instskip(SKIP_1) | instid1(SALU_CYCLE_1)
	v_cmp_ge_i32_e32 vcc_lo, v20, v19
	s_or_b32 s2, vcc_lo, s2
	s_and_not1_b32 exec_lo, exec_lo, s2
	s_cbranch_execnz .LBB270_15
; %bb.18:
	s_or_b32 exec_lo, exec_lo, s2
.LBB270_19:
	s_delay_alu instid0(SALU_CYCLE_1)
	s_or_b32 exec_lo, exec_lo, s3
.LBB270_20:
	v_mbcnt_lo_u32_b32 v28, -1, 0
	s_delay_alu instid0(VALU_DEP_1) | instskip(NEXT) | instid1(VALU_DEP_1)
	v_xor_b32_e32 v18, 8, v28
	v_cmp_gt_i32_e32 vcc_lo, 32, v18
	v_cndmask_b32_e32 v18, v28, v18, vcc_lo
	s_delay_alu instid0(VALU_DEP_1)
	v_lshlrev_b32_e32 v25, 2, v18
	ds_bpermute_b32 v20, v25, v0
	ds_bpermute_b32 v21, v25, v1
	s_wait_dscnt 0x0
	v_add_f64_e32 v[0:1], v[0:1], v[20:21]
	ds_bpermute_b32 v18, v25, v14
	ds_bpermute_b32 v19, v25, v15
	;; [unrolled: 1-line block ×6, first 2 shown]
	s_wait_dscnt 0x4
	v_dual_add_f64 v[14:15], v[14:15], v[18:19] :: v_dual_bitop2_b32 v18, 4, v28 bitop3:0x14
	s_wait_dscnt 0x2
	v_add_f64_e32 v[16:17], v[16:17], v[22:23]
	s_delay_alu instid0(VALU_DEP_2) | instskip(SKIP_2) | instid1(VALU_DEP_1)
	v_cmp_gt_i32_e32 vcc_lo, 32, v18
	v_cndmask_b32_e32 v18, v28, v18, vcc_lo
	s_wait_dscnt 0x0
	v_dual_add_f64 v[12:13], v[12:13], v[24:25] :: v_dual_lshlrev_b32 v25, 2, v18
	ds_bpermute_b32 v20, v25, v0
	ds_bpermute_b32 v21, v25, v1
	;; [unrolled: 1-line block ×8, first 2 shown]
	s_wait_dscnt 0x4
	v_add_f64_e32 v[14:15], v[14:15], v[18:19]
	v_add_f64_e32 v[18:19], v[0:1], v[20:21]
	s_wait_dscnt 0x2
	v_dual_add_f64 v[20:21], v[16:17], v[22:23] :: v_dual_bitop2_b32 v0, 2, v28 bitop3:0x14
	s_delay_alu instid0(VALU_DEP_1) | instskip(SKIP_3) | instid1(VALU_DEP_1)
	v_cmp_gt_i32_e32 vcc_lo, 32, v0
	s_wait_dscnt 0x0
	v_add_f64_e32 v[22:23], v[12:13], v[24:25]
	v_cndmask_b32_e32 v0, v28, v0, vcc_lo
	v_lshlrev_b32_e32 v16, 2, v0
	ds_bpermute_b32 v0, v16, v14
	ds_bpermute_b32 v12, v16, v18
	;; [unrolled: 1-line block ×8, first 2 shown]
	s_wait_dscnt 0x5
	v_add_f64_e32 v[16:17], v[18:19], v[12:13]
	v_xor_b32_e32 v18, 1, v28
	s_wait_dscnt 0x2
	v_add_f64_e32 v[12:13], v[20:21], v[24:25]
	s_delay_alu instid0(VALU_DEP_2) | instskip(SKIP_2) | instid1(VALU_DEP_2)
	v_cmp_gt_i32_e32 vcc_lo, 32, v18
	v_dual_add_f64 v[0:1], v[14:15], v[0:1] :: v_dual_cndmask_b32 v18, v28, v18, vcc_lo
	v_cmp_eq_u32_e32 vcc_lo, 15, v11
	v_lshlrev_b32_e32 v21, 2, v18
	s_wait_dscnt 0x0
	v_add_f64_e32 v[14:15], v[22:23], v[26:27]
	ds_bpermute_b32 v22, v21, v16
	ds_bpermute_b32 v23, v21, v17
	;; [unrolled: 1-line block ×8, first 2 shown]
	s_and_b32 exec_lo, exec_lo, vcc_lo
	s_cbranch_execz .LBB270_25
; %bb.21:
	v_cmp_eq_f64_e32 vcc_lo, 0, v[6:7]
	v_cmp_eq_f64_e64 s2, 0, v[8:9]
	s_wait_dscnt 0x2
	v_add_f64_e32 v[0:1], v[0:1], v[24:25]
	v_add_f64_e32 v[16:17], v[16:17], v[22:23]
	;; [unrolled: 1-line block ×3, first 2 shown]
	s_wait_dscnt 0x0
	v_add_f64_e32 v[14:15], v[14:15], v[20:21]
	s_load_b64 s[0:1], s[0:1], 0x48
	s_and_b32 s2, vcc_lo, s2
	s_delay_alu instid0(SALU_CYCLE_1) | instskip(NEXT) | instid1(SALU_CYCLE_1)
	s_and_saveexec_b32 s3, s2
	s_xor_b32 s2, exec_lo, s3
	s_cbranch_execz .LBB270_23
; %bb.22:
	s_delay_alu instid0(VALU_DEP_3) | instskip(SKIP_1) | instid1(VALU_DEP_3)
	v_mul_f64_e64 v[6:7], v[16:17], -v[4:5]
	v_mul_f64_e32 v[8:9], v[2:3], v[16:17]
	v_mul_f64_e64 v[16:17], v[14:15], -v[4:5]
	v_mul_f64_e32 v[18:19], v[2:3], v[14:15]
                                        ; implicit-def: $vgpr14_vgpr15
	s_delay_alu instid0(VALU_DEP_4) | instskip(NEXT) | instid1(VALU_DEP_4)
	v_fmac_f64_e32 v[6:7], v[2:3], v[0:1]
	v_fmac_f64_e32 v[8:9], v[4:5], v[0:1]
	s_delay_alu instid0(VALU_DEP_4) | instskip(NEXT) | instid1(VALU_DEP_4)
	v_fmac_f64_e32 v[16:17], v[2:3], v[12:13]
	v_fmac_f64_e32 v[18:19], v[4:5], v[12:13]
	v_lshlrev_b32_e32 v0, 1, v10
                                        ; implicit-def: $vgpr10
                                        ; implicit-def: $vgpr12_vgpr13
                                        ; implicit-def: $vgpr4_vgpr5
	s_wait_kmcnt 0x0
	s_clause 0x1
	global_store_b128 v0, v[6:9], s[0:1] scale_offset
	global_store_b128 v0, v[16:19], s[0:1] offset:16 scale_offset
                                        ; implicit-def: $vgpr0_vgpr1
                                        ; implicit-def: $vgpr16_vgpr17
                                        ; implicit-def: $vgpr8_vgpr9
.LBB270_23:
	s_wait_xcnt 0x0
	s_and_not1_saveexec_b32 s2, s2
	s_cbranch_execz .LBB270_25
; %bb.24:
	s_delay_alu instid0(VALU_DEP_3) | instskip(SKIP_1) | instid1(VALU_DEP_3)
	v_dual_mul_f64 v[26:27], v[16:17], -v[4:5] :: v_dual_lshlrev_b32 v30, 1, v10
	v_mul_f64_e32 v[16:17], v[2:3], v[16:17]
	v_mul_f64_e64 v[28:29], v[14:15], -v[4:5]
	v_mul_f64_e32 v[10:11], v[2:3], v[14:15]
	s_wait_kmcnt 0x0
	s_clause 0x1
	global_load_b128 v[18:21], v30, s[0:1] scale_offset
	global_load_b128 v[22:25], v30, s[0:1] offset:16 scale_offset
	v_fmac_f64_e32 v[26:27], v[2:3], v[0:1]
	v_fmac_f64_e32 v[16:17], v[4:5], v[0:1]
	;; [unrolled: 1-line block ×4, first 2 shown]
	s_wait_loadcnt 0x1
	s_delay_alu instid0(VALU_DEP_4) | instskip(NEXT) | instid1(VALU_DEP_4)
	v_fmac_f64_e32 v[26:27], v[6:7], v[18:19]
	v_fmac_f64_e32 v[16:17], v[8:9], v[18:19]
	s_wait_loadcnt 0x0
	s_delay_alu instid0(VALU_DEP_4) | instskip(NEXT) | instid1(VALU_DEP_4)
	v_fmac_f64_e32 v[28:29], v[6:7], v[22:23]
	v_fmac_f64_e32 v[10:11], v[8:9], v[22:23]
	s_delay_alu instid0(VALU_DEP_4) | instskip(NEXT) | instid1(VALU_DEP_4)
	v_fma_f64 v[14:15], -v[8:9], v[20:21], v[26:27]
	v_fmac_f64_e32 v[16:17], v[6:7], v[20:21]
	s_delay_alu instid0(VALU_DEP_4) | instskip(NEXT) | instid1(VALU_DEP_4)
	v_fma_f64 v[8:9], -v[8:9], v[24:25], v[28:29]
	v_fmac_f64_e32 v[10:11], v[6:7], v[24:25]
	s_clause 0x1
	global_store_b128 v30, v[14:17], s[0:1] scale_offset
	global_store_b128 v30, v[8:11], s[0:1] offset:16 scale_offset
.LBB270_25:
	s_endpgm
	.section	.rodata,"a",@progbits
	.p2align	6, 0x0
	.amdhsa_kernel _ZN9rocsparseL19gebsrmvn_2xn_kernelILj128ELj10ELj16E21rocsparse_complex_numIdEEEvi20rocsparse_direction_NS_24const_host_device_scalarIT2_EEPKiS8_PKS5_SA_S6_PS5_21rocsparse_index_base_b
		.amdhsa_group_segment_fixed_size 0
		.amdhsa_private_segment_fixed_size 0
		.amdhsa_kernarg_size 88
		.amdhsa_user_sgpr_count 2
		.amdhsa_user_sgpr_dispatch_ptr 0
		.amdhsa_user_sgpr_queue_ptr 0
		.amdhsa_user_sgpr_kernarg_segment_ptr 1
		.amdhsa_user_sgpr_dispatch_id 0
		.amdhsa_user_sgpr_kernarg_preload_length 0
		.amdhsa_user_sgpr_kernarg_preload_offset 0
		.amdhsa_user_sgpr_private_segment_size 0
		.amdhsa_wavefront_size32 1
		.amdhsa_uses_dynamic_stack 0
		.amdhsa_enable_private_segment 0
		.amdhsa_system_sgpr_workgroup_id_x 1
		.amdhsa_system_sgpr_workgroup_id_y 0
		.amdhsa_system_sgpr_workgroup_id_z 0
		.amdhsa_system_sgpr_workgroup_info 0
		.amdhsa_system_vgpr_workitem_id 0
		.amdhsa_next_free_vgpr 50
		.amdhsa_next_free_sgpr 14
		.amdhsa_named_barrier_count 0
		.amdhsa_reserve_vcc 1
		.amdhsa_float_round_mode_32 0
		.amdhsa_float_round_mode_16_64 0
		.amdhsa_float_denorm_mode_32 3
		.amdhsa_float_denorm_mode_16_64 3
		.amdhsa_fp16_overflow 0
		.amdhsa_memory_ordered 1
		.amdhsa_forward_progress 1
		.amdhsa_inst_pref_size 15
		.amdhsa_round_robin_scheduling 0
		.amdhsa_exception_fp_ieee_invalid_op 0
		.amdhsa_exception_fp_denorm_src 0
		.amdhsa_exception_fp_ieee_div_zero 0
		.amdhsa_exception_fp_ieee_overflow 0
		.amdhsa_exception_fp_ieee_underflow 0
		.amdhsa_exception_fp_ieee_inexact 0
		.amdhsa_exception_int_div_zero 0
	.end_amdhsa_kernel
	.section	.text._ZN9rocsparseL19gebsrmvn_2xn_kernelILj128ELj10ELj16E21rocsparse_complex_numIdEEEvi20rocsparse_direction_NS_24const_host_device_scalarIT2_EEPKiS8_PKS5_SA_S6_PS5_21rocsparse_index_base_b,"axG",@progbits,_ZN9rocsparseL19gebsrmvn_2xn_kernelILj128ELj10ELj16E21rocsparse_complex_numIdEEEvi20rocsparse_direction_NS_24const_host_device_scalarIT2_EEPKiS8_PKS5_SA_S6_PS5_21rocsparse_index_base_b,comdat
.Lfunc_end270:
	.size	_ZN9rocsparseL19gebsrmvn_2xn_kernelILj128ELj10ELj16E21rocsparse_complex_numIdEEEvi20rocsparse_direction_NS_24const_host_device_scalarIT2_EEPKiS8_PKS5_SA_S6_PS5_21rocsparse_index_base_b, .Lfunc_end270-_ZN9rocsparseL19gebsrmvn_2xn_kernelILj128ELj10ELj16E21rocsparse_complex_numIdEEEvi20rocsparse_direction_NS_24const_host_device_scalarIT2_EEPKiS8_PKS5_SA_S6_PS5_21rocsparse_index_base_b
                                        ; -- End function
	.set _ZN9rocsparseL19gebsrmvn_2xn_kernelILj128ELj10ELj16E21rocsparse_complex_numIdEEEvi20rocsparse_direction_NS_24const_host_device_scalarIT2_EEPKiS8_PKS5_SA_S6_PS5_21rocsparse_index_base_b.num_vgpr, 50
	.set _ZN9rocsparseL19gebsrmvn_2xn_kernelILj128ELj10ELj16E21rocsparse_complex_numIdEEEvi20rocsparse_direction_NS_24const_host_device_scalarIT2_EEPKiS8_PKS5_SA_S6_PS5_21rocsparse_index_base_b.num_agpr, 0
	.set _ZN9rocsparseL19gebsrmvn_2xn_kernelILj128ELj10ELj16E21rocsparse_complex_numIdEEEvi20rocsparse_direction_NS_24const_host_device_scalarIT2_EEPKiS8_PKS5_SA_S6_PS5_21rocsparse_index_base_b.numbered_sgpr, 14
	.set _ZN9rocsparseL19gebsrmvn_2xn_kernelILj128ELj10ELj16E21rocsparse_complex_numIdEEEvi20rocsparse_direction_NS_24const_host_device_scalarIT2_EEPKiS8_PKS5_SA_S6_PS5_21rocsparse_index_base_b.num_named_barrier, 0
	.set _ZN9rocsparseL19gebsrmvn_2xn_kernelILj128ELj10ELj16E21rocsparse_complex_numIdEEEvi20rocsparse_direction_NS_24const_host_device_scalarIT2_EEPKiS8_PKS5_SA_S6_PS5_21rocsparse_index_base_b.private_seg_size, 0
	.set _ZN9rocsparseL19gebsrmvn_2xn_kernelILj128ELj10ELj16E21rocsparse_complex_numIdEEEvi20rocsparse_direction_NS_24const_host_device_scalarIT2_EEPKiS8_PKS5_SA_S6_PS5_21rocsparse_index_base_b.uses_vcc, 1
	.set _ZN9rocsparseL19gebsrmvn_2xn_kernelILj128ELj10ELj16E21rocsparse_complex_numIdEEEvi20rocsparse_direction_NS_24const_host_device_scalarIT2_EEPKiS8_PKS5_SA_S6_PS5_21rocsparse_index_base_b.uses_flat_scratch, 0
	.set _ZN9rocsparseL19gebsrmvn_2xn_kernelILj128ELj10ELj16E21rocsparse_complex_numIdEEEvi20rocsparse_direction_NS_24const_host_device_scalarIT2_EEPKiS8_PKS5_SA_S6_PS5_21rocsparse_index_base_b.has_dyn_sized_stack, 0
	.set _ZN9rocsparseL19gebsrmvn_2xn_kernelILj128ELj10ELj16E21rocsparse_complex_numIdEEEvi20rocsparse_direction_NS_24const_host_device_scalarIT2_EEPKiS8_PKS5_SA_S6_PS5_21rocsparse_index_base_b.has_recursion, 0
	.set _ZN9rocsparseL19gebsrmvn_2xn_kernelILj128ELj10ELj16E21rocsparse_complex_numIdEEEvi20rocsparse_direction_NS_24const_host_device_scalarIT2_EEPKiS8_PKS5_SA_S6_PS5_21rocsparse_index_base_b.has_indirect_call, 0
	.section	.AMDGPU.csdata,"",@progbits
; Kernel info:
; codeLenInByte = 1908
; TotalNumSgprs: 16
; NumVgprs: 50
; ScratchSize: 0
; MemoryBound: 0
; FloatMode: 240
; IeeeMode: 1
; LDSByteSize: 0 bytes/workgroup (compile time only)
; SGPRBlocks: 0
; VGPRBlocks: 3
; NumSGPRsForWavesPerEU: 16
; NumVGPRsForWavesPerEU: 50
; NamedBarCnt: 0
; Occupancy: 16
; WaveLimiterHint : 1
; COMPUTE_PGM_RSRC2:SCRATCH_EN: 0
; COMPUTE_PGM_RSRC2:USER_SGPR: 2
; COMPUTE_PGM_RSRC2:TRAP_HANDLER: 0
; COMPUTE_PGM_RSRC2:TGID_X_EN: 1
; COMPUTE_PGM_RSRC2:TGID_Y_EN: 0
; COMPUTE_PGM_RSRC2:TGID_Z_EN: 0
; COMPUTE_PGM_RSRC2:TIDIG_COMP_CNT: 0
	.section	.text._ZN9rocsparseL19gebsrmvn_2xn_kernelILj128ELj10ELj32E21rocsparse_complex_numIdEEEvi20rocsparse_direction_NS_24const_host_device_scalarIT2_EEPKiS8_PKS5_SA_S6_PS5_21rocsparse_index_base_b,"axG",@progbits,_ZN9rocsparseL19gebsrmvn_2xn_kernelILj128ELj10ELj32E21rocsparse_complex_numIdEEEvi20rocsparse_direction_NS_24const_host_device_scalarIT2_EEPKiS8_PKS5_SA_S6_PS5_21rocsparse_index_base_b,comdat
	.globl	_ZN9rocsparseL19gebsrmvn_2xn_kernelILj128ELj10ELj32E21rocsparse_complex_numIdEEEvi20rocsparse_direction_NS_24const_host_device_scalarIT2_EEPKiS8_PKS5_SA_S6_PS5_21rocsparse_index_base_b ; -- Begin function _ZN9rocsparseL19gebsrmvn_2xn_kernelILj128ELj10ELj32E21rocsparse_complex_numIdEEEvi20rocsparse_direction_NS_24const_host_device_scalarIT2_EEPKiS8_PKS5_SA_S6_PS5_21rocsparse_index_base_b
	.p2align	8
	.type	_ZN9rocsparseL19gebsrmvn_2xn_kernelILj128ELj10ELj32E21rocsparse_complex_numIdEEEvi20rocsparse_direction_NS_24const_host_device_scalarIT2_EEPKiS8_PKS5_SA_S6_PS5_21rocsparse_index_base_b,@function
_ZN9rocsparseL19gebsrmvn_2xn_kernelILj128ELj10ELj32E21rocsparse_complex_numIdEEEvi20rocsparse_direction_NS_24const_host_device_scalarIT2_EEPKiS8_PKS5_SA_S6_PS5_21rocsparse_index_base_b: ; @_ZN9rocsparseL19gebsrmvn_2xn_kernelILj128ELj10ELj32E21rocsparse_complex_numIdEEEvi20rocsparse_direction_NS_24const_host_device_scalarIT2_EEPKiS8_PKS5_SA_S6_PS5_21rocsparse_index_base_b
; %bb.0:
	s_clause 0x1
	s_load_b64 s[12:13], s[0:1], 0x50
	s_load_b64 s[2:3], s[0:1], 0x8
	v_mov_b32_e32 v1, 0
	s_add_nc_u64 s[4:5], s[0:1], 8
	s_load_b64 s[6:7], s[0:1], 0x38
	s_wait_kmcnt 0x0
	s_bitcmp1_b32 s13, 0
	s_cselect_b32 s3, s5, s3
	s_cselect_b32 s2, s4, s2
	flat_load_b128 v[2:5], v1, s[2:3]
	s_wait_xcnt 0x0
	s_add_nc_u64 s[2:3], s[0:1], 56
	s_delay_alu instid0(SALU_CYCLE_1)
	s_cselect_b32 s3, s3, s7
	s_cselect_b32 s2, s2, s6
	flat_load_b128 v[6:9], v1, s[2:3]
	s_wait_loadcnt_dscnt 0x101
	v_cmp_eq_f64_e32 vcc_lo, 0, v[2:3]
	s_wait_xcnt 0x0
	v_cmp_eq_f64_e64 s2, 0, v[4:5]
	s_and_b32 s4, vcc_lo, s2
	s_mov_b32 s2, -1
	s_and_saveexec_b32 s3, s4
	s_cbranch_execz .LBB271_2
; %bb.1:
	s_wait_loadcnt_dscnt 0x0
	v_cmp_neq_f64_e32 vcc_lo, 1.0, v[6:7]
	v_cmp_neq_f64_e64 s2, 0, v[8:9]
	s_or_b32 s2, vcc_lo, s2
	s_delay_alu instid0(SALU_CYCLE_1)
	s_or_not1_b32 s2, s2, exec_lo
.LBB271_2:
	s_or_b32 exec_lo, exec_lo, s3
	s_and_saveexec_b32 s3, s2
	s_cbranch_execz .LBB271_25
; %bb.3:
	s_load_b64 s[2:3], s[0:1], 0x0
	s_bfe_u32 s4, ttmp6, 0x4000c
	s_and_b32 s5, ttmp6, 15
	s_add_co_i32 s4, s4, 1
	s_getreg_b32 s6, hwreg(HW_REG_IB_STS2, 6, 4)
	s_mul_i32 s4, ttmp9, s4
	v_lshrrev_b32_e32 v1, 5, v0
	s_add_co_i32 s5, s5, s4
	s_cmp_eq_u32 s6, 0
	s_cselect_b32 s4, ttmp9, s5
	s_delay_alu instid0(VALU_DEP_1) | instid1(SALU_CYCLE_1)
	v_lshl_or_b32 v10, s4, 2, v1
	s_wait_kmcnt 0x0
	s_delay_alu instid0(VALU_DEP_1)
	v_cmp_gt_i32_e32 vcc_lo, s2, v10
	s_and_b32 exec_lo, exec_lo, vcc_lo
	s_cbranch_execz .LBB271_25
; %bb.4:
	s_load_b256 s[4:11], s[0:1], 0x18
	v_ashrrev_i32_e32 v11, 31, v10
	s_cmp_lg_u32 s3, 0
	s_wait_kmcnt 0x0
	s_delay_alu instid0(VALU_DEP_1)
	v_lshl_add_u64 v[12:13], v[10:11], 2, s[4:5]
	v_and_b32_e32 v11, 31, v0
	global_load_b64 v[18:19], v[12:13], off
	s_wait_loadcnt 0x0
	v_subrev_nc_u32_e32 v0, s12, v18
	v_subrev_nc_u32_e32 v19, s12, v19
	s_delay_alu instid0(VALU_DEP_2) | instskip(NEXT) | instid1(VALU_DEP_1)
	v_add_nc_u32_e32 v20, v0, v11
	v_cmp_lt_i32_e64 s2, v20, v19
	s_cbranch_scc0 .LBB271_12
; %bb.5:
	v_mov_b64_e32 v[0:1], 0
	v_mov_b64_e32 v[14:15], 0
	;; [unrolled: 1-line block ×4, first 2 shown]
	s_and_saveexec_b32 s3, s2
	s_cbranch_execz .LBB271_11
; %bb.6:
	v_mul_lo_u32 v21, v20, 20
	v_mov_b64_e32 v[0:1], 0
	v_mov_b64_e32 v[14:15], 0
	;; [unrolled: 1-line block ×4, first 2 shown]
	v_mov_b32_e32 v22, v20
	s_mov_b32 s4, 0
.LBB271_7:                              ; =>This Loop Header: Depth=1
                                        ;     Child Loop BB271_8 Depth 2
	global_load_b32 v23, v22, s[6:7] scale_offset
	v_mov_b32_e32 v24, v21
	s_mov_b32 s5, 0
	s_wait_loadcnt 0x0
	v_subrev_nc_u32_e32 v23, s12, v23
	s_delay_alu instid0(VALU_DEP_1)
	v_mul_lo_u32 v23, v23, 10
.LBB271_8:                              ;   Parent Loop BB271_7 Depth=1
                                        ; =>  This Inner Loop Header: Depth=2
	s_delay_alu instid0(VALU_DEP_1)
	v_add_nc_u32_e32 v25, s5, v23
	s_add_co_i32 s5, s5, 2
	s_clause 0x1
	global_load_b128 v[26:29], v24, s[8:9] offset:16 scale_offset
	global_load_b128 v[30:33], v24, s[8:9] scale_offset
	s_clause 0x1
	global_load_b128 v[34:37], v25, s[10:11] scale_offset
	global_load_b128 v[38:41], v25, s[10:11] offset:16 scale_offset
	s_clause 0x1
	global_load_b128 v[42:45], v24, s[8:9] offset:32 scale_offset
	global_load_b128 v[46:49], v24, s[8:9] offset:48 scale_offset
	s_wait_xcnt 0x0
	v_add_nc_u32_e32 v24, 4, v24
	s_cmp_eq_u32 s5, 10
	s_wait_loadcnt 0x3
	v_fmac_f64_e32 v[14:15], v[30:31], v[34:35]
	v_fmac_f64_e32 v[0:1], v[32:33], v[34:35]
	;; [unrolled: 1-line block ×4, first 2 shown]
	s_delay_alu instid0(VALU_DEP_4) | instskip(NEXT) | instid1(VALU_DEP_4)
	v_fma_f64 v[14:15], -v[32:33], v[36:37], v[14:15]
	v_fmac_f64_e32 v[0:1], v[30:31], v[36:37]
	s_delay_alu instid0(VALU_DEP_4) | instskip(NEXT) | instid1(VALU_DEP_4)
	v_fma_f64 v[16:17], -v[28:29], v[36:37], v[16:17]
	v_fmac_f64_e32 v[12:13], v[26:27], v[36:37]
	s_wait_loadcnt 0x1
	s_delay_alu instid0(VALU_DEP_4) | instskip(NEXT) | instid1(VALU_DEP_4)
	v_fmac_f64_e32 v[14:15], v[42:43], v[38:39]
	v_fmac_f64_e32 v[0:1], v[44:45], v[38:39]
	s_wait_loadcnt 0x0
	s_delay_alu instid0(VALU_DEP_4) | instskip(NEXT) | instid1(VALU_DEP_4)
	v_fmac_f64_e32 v[16:17], v[46:47], v[38:39]
	v_fmac_f64_e32 v[12:13], v[48:49], v[38:39]
	s_delay_alu instid0(VALU_DEP_4) | instskip(NEXT) | instid1(VALU_DEP_4)
	v_fma_f64 v[14:15], -v[44:45], v[40:41], v[14:15]
	v_fmac_f64_e32 v[0:1], v[42:43], v[40:41]
	s_delay_alu instid0(VALU_DEP_4) | instskip(NEXT) | instid1(VALU_DEP_4)
	v_fma_f64 v[16:17], -v[48:49], v[40:41], v[16:17]
	v_fmac_f64_e32 v[12:13], v[46:47], v[40:41]
	s_cbranch_scc0 .LBB271_8
; %bb.9:                                ;   in Loop: Header=BB271_7 Depth=1
	v_add_nc_u32_e32 v22, 32, v22
	v_add_nc_u32_e32 v21, 0x280, v21
	s_delay_alu instid0(VALU_DEP_2) | instskip(SKIP_1) | instid1(SALU_CYCLE_1)
	v_cmp_ge_i32_e32 vcc_lo, v22, v19
	s_or_b32 s4, vcc_lo, s4
	s_and_not1_b32 exec_lo, exec_lo, s4
	s_cbranch_execnz .LBB271_7
; %bb.10:
	s_or_b32 exec_lo, exec_lo, s4
.LBB271_11:
	s_delay_alu instid0(SALU_CYCLE_1)
	s_or_b32 exec_lo, exec_lo, s3
	s_cbranch_execz .LBB271_13
	s_branch .LBB271_20
.LBB271_12:
                                        ; implicit-def: $vgpr0_vgpr1
                                        ; implicit-def: $vgpr14_vgpr15
                                        ; implicit-def: $vgpr16_vgpr17
                                        ; implicit-def: $vgpr12_vgpr13
.LBB271_13:
	v_mov_b64_e32 v[0:1], 0
	v_mov_b64_e32 v[14:15], 0
	;; [unrolled: 1-line block ×4, first 2 shown]
	s_and_saveexec_b32 s3, s2
	s_cbranch_execz .LBB271_19
; %bb.14:
	v_mul_u32_u24_e32 v0, 20, v11
	s_mul_i32 s2, s12, 20
	v_mov_b64_e32 v[14:15], 0
	v_mov_b64_e32 v[16:17], 0
	;; [unrolled: 1-line block ×3, first 2 shown]
	v_mad_u32 v21, v18, 20, v0
	v_mul_lo_u32 v18, v20, 20
	v_mov_b64_e32 v[0:1], 0
	s_delay_alu instid0(VALU_DEP_3)
	v_subrev_nc_u32_e32 v21, s2, v21
	s_mov_b32 s2, 0
.LBB271_15:                             ; =>This Loop Header: Depth=1
                                        ;     Child Loop BB271_16 Depth 2
	global_load_b32 v22, v20, s[6:7] scale_offset
	s_mov_b32 s4, 0
	s_wait_loadcnt 0x0
	v_subrev_nc_u32_e32 v22, s12, v22
	s_delay_alu instid0(VALU_DEP_1)
	v_mul_lo_u32 v22, v22, 10
.LBB271_16:                             ;   Parent Loop BB271_15 Depth=1
                                        ; =>  This Inner Loop Header: Depth=2
	s_delay_alu instid0(VALU_DEP_1)
	v_dual_add_nc_u32 v23, s4, v21 :: v_dual_add_nc_u32 v48, s4, v22
	v_add3_u32 v49, v18, s4, 10
	s_add_co_i32 s4, s4, 2
	global_load_b128 v[24:27], v23, s[8:9] scale_offset
	global_load_b128 v[28:31], v48, s[10:11] scale_offset
	s_clause 0x1
	global_load_b128 v[32:35], v49, s[8:9] scale_offset
	global_load_b128 v[36:39], v23, s[8:9] offset:16 scale_offset
	global_load_b128 v[40:43], v48, s[10:11] offset:16 scale_offset
	;; [unrolled: 1-line block ×3, first 2 shown]
	s_cmp_eq_u32 s4, 10
	s_wait_loadcnt 0x4
	v_fmac_f64_e32 v[14:15], v[24:25], v[28:29]
	v_fmac_f64_e32 v[0:1], v[26:27], v[28:29]
	s_wait_loadcnt 0x3
	v_fmac_f64_e32 v[16:17], v[32:33], v[28:29]
	v_fmac_f64_e32 v[12:13], v[34:35], v[28:29]
	s_delay_alu instid0(VALU_DEP_4) | instskip(NEXT) | instid1(VALU_DEP_4)
	v_fma_f64 v[14:15], -v[26:27], v[30:31], v[14:15]
	v_fmac_f64_e32 v[0:1], v[24:25], v[30:31]
	s_delay_alu instid0(VALU_DEP_4) | instskip(NEXT) | instid1(VALU_DEP_4)
	v_fma_f64 v[16:17], -v[34:35], v[30:31], v[16:17]
	v_fmac_f64_e32 v[12:13], v[32:33], v[30:31]
	s_wait_loadcnt 0x1
	s_delay_alu instid0(VALU_DEP_4) | instskip(NEXT) | instid1(VALU_DEP_4)
	v_fmac_f64_e32 v[14:15], v[36:37], v[40:41]
	v_fmac_f64_e32 v[0:1], v[38:39], v[40:41]
	s_wait_loadcnt 0x0
	s_delay_alu instid0(VALU_DEP_4) | instskip(NEXT) | instid1(VALU_DEP_4)
	v_fmac_f64_e32 v[16:17], v[44:45], v[40:41]
	v_fmac_f64_e32 v[12:13], v[46:47], v[40:41]
	s_delay_alu instid0(VALU_DEP_4) | instskip(NEXT) | instid1(VALU_DEP_4)
	v_fma_f64 v[14:15], -v[38:39], v[42:43], v[14:15]
	v_fmac_f64_e32 v[0:1], v[36:37], v[42:43]
	s_delay_alu instid0(VALU_DEP_4) | instskip(NEXT) | instid1(VALU_DEP_4)
	v_fma_f64 v[16:17], -v[46:47], v[42:43], v[16:17]
	v_fmac_f64_e32 v[12:13], v[44:45], v[42:43]
	s_cbranch_scc0 .LBB271_16
; %bb.17:                               ;   in Loop: Header=BB271_15 Depth=1
	v_add_nc_u32_e32 v20, 32, v20
	v_add_nc_u32_e32 v18, 0x280, v18
	;; [unrolled: 1-line block ×3, first 2 shown]
	s_delay_alu instid0(VALU_DEP_3) | instskip(SKIP_1) | instid1(SALU_CYCLE_1)
	v_cmp_ge_i32_e32 vcc_lo, v20, v19
	s_or_b32 s2, vcc_lo, s2
	s_and_not1_b32 exec_lo, exec_lo, s2
	s_cbranch_execnz .LBB271_15
; %bb.18:
	s_or_b32 exec_lo, exec_lo, s2
.LBB271_19:
	s_delay_alu instid0(SALU_CYCLE_1)
	s_or_b32 exec_lo, exec_lo, s3
.LBB271_20:
	v_mbcnt_lo_u32_b32 v28, -1, 0
	s_delay_alu instid0(VALU_DEP_1) | instskip(NEXT) | instid1(VALU_DEP_1)
	v_xor_b32_e32 v18, 16, v28
	v_cmp_gt_i32_e32 vcc_lo, 32, v18
	v_cndmask_b32_e32 v18, v28, v18, vcc_lo
	s_delay_alu instid0(VALU_DEP_1)
	v_lshlrev_b32_e32 v25, 2, v18
	ds_bpermute_b32 v20, v25, v0
	ds_bpermute_b32 v21, v25, v1
	s_wait_dscnt 0x0
	v_add_f64_e32 v[0:1], v[0:1], v[20:21]
	ds_bpermute_b32 v18, v25, v14
	ds_bpermute_b32 v19, v25, v15
	;; [unrolled: 1-line block ×6, first 2 shown]
	s_wait_dscnt 0x4
	v_dual_add_f64 v[14:15], v[14:15], v[18:19] :: v_dual_bitop2_b32 v18, 8, v28 bitop3:0x14
	s_wait_dscnt 0x2
	v_add_f64_e32 v[16:17], v[16:17], v[22:23]
	s_delay_alu instid0(VALU_DEP_2) | instskip(SKIP_2) | instid1(VALU_DEP_1)
	v_cmp_gt_i32_e32 vcc_lo, 32, v18
	v_cndmask_b32_e32 v18, v28, v18, vcc_lo
	s_wait_dscnt 0x0
	v_dual_add_f64 v[12:13], v[12:13], v[24:25] :: v_dual_lshlrev_b32 v25, 2, v18
	ds_bpermute_b32 v20, v25, v0
	ds_bpermute_b32 v21, v25, v1
	;; [unrolled: 1-line block ×8, first 2 shown]
	s_wait_dscnt 0x4
	v_dual_add_f64 v[14:15], v[14:15], v[18:19] :: v_dual_bitop2_b32 v18, 4, v28 bitop3:0x14
	s_wait_dscnt 0x2
	v_add_f64_e32 v[16:17], v[16:17], v[22:23]
	s_delay_alu instid0(VALU_DEP_2) | instskip(SKIP_3) | instid1(VALU_DEP_2)
	v_cmp_gt_i32_e32 vcc_lo, 32, v18
	v_cndmask_b32_e32 v18, v28, v18, vcc_lo
	v_add_f64_e32 v[0:1], v[0:1], v[20:21]
	s_wait_dscnt 0x0
	v_dual_add_f64 v[12:13], v[12:13], v[24:25] :: v_dual_lshlrev_b32 v25, 2, v18
	ds_bpermute_b32 v18, v25, v14
	ds_bpermute_b32 v19, v25, v15
	;; [unrolled: 1-line block ×8, first 2 shown]
	s_wait_dscnt 0x6
	v_add_f64_e32 v[14:15], v[14:15], v[18:19]
	s_wait_dscnt 0x2
	v_add_f64_e32 v[18:19], v[0:1], v[20:21]
	v_add_f64_e32 v[20:21], v[16:17], v[22:23]
	s_wait_dscnt 0x0
	v_add_f64_e32 v[22:23], v[12:13], v[24:25]
	v_xor_b32_e32 v0, 2, v28
	s_delay_alu instid0(VALU_DEP_1) | instskip(SKIP_1) | instid1(VALU_DEP_1)
	v_cmp_gt_i32_e32 vcc_lo, 32, v0
	v_cndmask_b32_e32 v0, v28, v0, vcc_lo
	v_lshlrev_b32_e32 v16, 2, v0
	ds_bpermute_b32 v0, v16, v14
	ds_bpermute_b32 v1, v16, v15
	;; [unrolled: 1-line block ×8, first 2 shown]
	s_wait_dscnt 0x4
	v_add_f64_e32 v[16:17], v[18:19], v[12:13]
	v_xor_b32_e32 v18, 1, v28
	s_wait_dscnt 0x2
	v_add_f64_e32 v[12:13], v[20:21], v[24:25]
	s_delay_alu instid0(VALU_DEP_2)
	v_cmp_gt_i32_e32 vcc_lo, 32, v18
	v_add_f64_e32 v[0:1], v[14:15], v[0:1]
	s_wait_dscnt 0x0
	v_add_f64_e32 v[14:15], v[22:23], v[26:27]
	v_cndmask_b32_e32 v18, v28, v18, vcc_lo
	v_cmp_eq_u32_e32 vcc_lo, 31, v11
	s_delay_alu instid0(VALU_DEP_2)
	v_lshlrev_b32_e32 v21, 2, v18
	ds_bpermute_b32 v22, v21, v16
	ds_bpermute_b32 v23, v21, v17
	;; [unrolled: 1-line block ×8, first 2 shown]
	s_and_b32 exec_lo, exec_lo, vcc_lo
	s_cbranch_execz .LBB271_25
; %bb.21:
	v_cmp_eq_f64_e32 vcc_lo, 0, v[6:7]
	v_cmp_eq_f64_e64 s2, 0, v[8:9]
	s_wait_dscnt 0x2
	v_add_f64_e32 v[0:1], v[0:1], v[24:25]
	v_add_f64_e32 v[16:17], v[16:17], v[22:23]
	;; [unrolled: 1-line block ×3, first 2 shown]
	s_wait_dscnt 0x0
	v_add_f64_e32 v[14:15], v[14:15], v[20:21]
	s_load_b64 s[0:1], s[0:1], 0x48
	s_and_b32 s2, vcc_lo, s2
	s_delay_alu instid0(SALU_CYCLE_1) | instskip(NEXT) | instid1(SALU_CYCLE_1)
	s_and_saveexec_b32 s3, s2
	s_xor_b32 s2, exec_lo, s3
	s_cbranch_execz .LBB271_23
; %bb.22:
	s_delay_alu instid0(VALU_DEP_3) | instskip(SKIP_1) | instid1(VALU_DEP_3)
	v_mul_f64_e64 v[6:7], v[16:17], -v[4:5]
	v_mul_f64_e32 v[8:9], v[2:3], v[16:17]
	v_mul_f64_e64 v[16:17], v[14:15], -v[4:5]
	v_mul_f64_e32 v[18:19], v[2:3], v[14:15]
                                        ; implicit-def: $vgpr14_vgpr15
	s_delay_alu instid0(VALU_DEP_4) | instskip(NEXT) | instid1(VALU_DEP_4)
	v_fmac_f64_e32 v[6:7], v[2:3], v[0:1]
	v_fmac_f64_e32 v[8:9], v[4:5], v[0:1]
	s_delay_alu instid0(VALU_DEP_4) | instskip(NEXT) | instid1(VALU_DEP_4)
	v_fmac_f64_e32 v[16:17], v[2:3], v[12:13]
	v_fmac_f64_e32 v[18:19], v[4:5], v[12:13]
	v_lshlrev_b32_e32 v0, 1, v10
                                        ; implicit-def: $vgpr10
                                        ; implicit-def: $vgpr12_vgpr13
                                        ; implicit-def: $vgpr4_vgpr5
	s_wait_kmcnt 0x0
	s_clause 0x1
	global_store_b128 v0, v[6:9], s[0:1] scale_offset
	global_store_b128 v0, v[16:19], s[0:1] offset:16 scale_offset
                                        ; implicit-def: $vgpr0_vgpr1
                                        ; implicit-def: $vgpr16_vgpr17
                                        ; implicit-def: $vgpr8_vgpr9
.LBB271_23:
	s_wait_xcnt 0x0
	s_and_not1_saveexec_b32 s2, s2
	s_cbranch_execz .LBB271_25
; %bb.24:
	s_delay_alu instid0(VALU_DEP_3) | instskip(SKIP_1) | instid1(VALU_DEP_3)
	v_dual_mul_f64 v[26:27], v[16:17], -v[4:5] :: v_dual_lshlrev_b32 v30, 1, v10
	v_mul_f64_e32 v[16:17], v[2:3], v[16:17]
	v_mul_f64_e64 v[28:29], v[14:15], -v[4:5]
	v_mul_f64_e32 v[10:11], v[2:3], v[14:15]
	s_wait_kmcnt 0x0
	s_clause 0x1
	global_load_b128 v[18:21], v30, s[0:1] scale_offset
	global_load_b128 v[22:25], v30, s[0:1] offset:16 scale_offset
	v_fmac_f64_e32 v[26:27], v[2:3], v[0:1]
	v_fmac_f64_e32 v[16:17], v[4:5], v[0:1]
	;; [unrolled: 1-line block ×4, first 2 shown]
	s_wait_loadcnt 0x1
	s_delay_alu instid0(VALU_DEP_4) | instskip(NEXT) | instid1(VALU_DEP_4)
	v_fmac_f64_e32 v[26:27], v[6:7], v[18:19]
	v_fmac_f64_e32 v[16:17], v[8:9], v[18:19]
	s_wait_loadcnt 0x0
	s_delay_alu instid0(VALU_DEP_4) | instskip(NEXT) | instid1(VALU_DEP_4)
	v_fmac_f64_e32 v[28:29], v[6:7], v[22:23]
	v_fmac_f64_e32 v[10:11], v[8:9], v[22:23]
	s_delay_alu instid0(VALU_DEP_4) | instskip(NEXT) | instid1(VALU_DEP_4)
	v_fma_f64 v[14:15], -v[8:9], v[20:21], v[26:27]
	v_fmac_f64_e32 v[16:17], v[6:7], v[20:21]
	s_delay_alu instid0(VALU_DEP_4) | instskip(NEXT) | instid1(VALU_DEP_4)
	v_fma_f64 v[8:9], -v[8:9], v[24:25], v[28:29]
	v_fmac_f64_e32 v[10:11], v[6:7], v[24:25]
	s_clause 0x1
	global_store_b128 v30, v[14:17], s[0:1] scale_offset
	global_store_b128 v30, v[8:11], s[0:1] offset:16 scale_offset
.LBB271_25:
	s_endpgm
	.section	.rodata,"a",@progbits
	.p2align	6, 0x0
	.amdhsa_kernel _ZN9rocsparseL19gebsrmvn_2xn_kernelILj128ELj10ELj32E21rocsparse_complex_numIdEEEvi20rocsparse_direction_NS_24const_host_device_scalarIT2_EEPKiS8_PKS5_SA_S6_PS5_21rocsparse_index_base_b
		.amdhsa_group_segment_fixed_size 0
		.amdhsa_private_segment_fixed_size 0
		.amdhsa_kernarg_size 88
		.amdhsa_user_sgpr_count 2
		.amdhsa_user_sgpr_dispatch_ptr 0
		.amdhsa_user_sgpr_queue_ptr 0
		.amdhsa_user_sgpr_kernarg_segment_ptr 1
		.amdhsa_user_sgpr_dispatch_id 0
		.amdhsa_user_sgpr_kernarg_preload_length 0
		.amdhsa_user_sgpr_kernarg_preload_offset 0
		.amdhsa_user_sgpr_private_segment_size 0
		.amdhsa_wavefront_size32 1
		.amdhsa_uses_dynamic_stack 0
		.amdhsa_enable_private_segment 0
		.amdhsa_system_sgpr_workgroup_id_x 1
		.amdhsa_system_sgpr_workgroup_id_y 0
		.amdhsa_system_sgpr_workgroup_id_z 0
		.amdhsa_system_sgpr_workgroup_info 0
		.amdhsa_system_vgpr_workitem_id 0
		.amdhsa_next_free_vgpr 50
		.amdhsa_next_free_sgpr 14
		.amdhsa_named_barrier_count 0
		.amdhsa_reserve_vcc 1
		.amdhsa_float_round_mode_32 0
		.amdhsa_float_round_mode_16_64 0
		.amdhsa_float_denorm_mode_32 3
		.amdhsa_float_denorm_mode_16_64 3
		.amdhsa_fp16_overflow 0
		.amdhsa_memory_ordered 1
		.amdhsa_forward_progress 1
		.amdhsa_inst_pref_size 16
		.amdhsa_round_robin_scheduling 0
		.amdhsa_exception_fp_ieee_invalid_op 0
		.amdhsa_exception_fp_denorm_src 0
		.amdhsa_exception_fp_ieee_div_zero 0
		.amdhsa_exception_fp_ieee_overflow 0
		.amdhsa_exception_fp_ieee_underflow 0
		.amdhsa_exception_fp_ieee_inexact 0
		.amdhsa_exception_int_div_zero 0
	.end_amdhsa_kernel
	.section	.text._ZN9rocsparseL19gebsrmvn_2xn_kernelILj128ELj10ELj32E21rocsparse_complex_numIdEEEvi20rocsparse_direction_NS_24const_host_device_scalarIT2_EEPKiS8_PKS5_SA_S6_PS5_21rocsparse_index_base_b,"axG",@progbits,_ZN9rocsparseL19gebsrmvn_2xn_kernelILj128ELj10ELj32E21rocsparse_complex_numIdEEEvi20rocsparse_direction_NS_24const_host_device_scalarIT2_EEPKiS8_PKS5_SA_S6_PS5_21rocsparse_index_base_b,comdat
.Lfunc_end271:
	.size	_ZN9rocsparseL19gebsrmvn_2xn_kernelILj128ELj10ELj32E21rocsparse_complex_numIdEEEvi20rocsparse_direction_NS_24const_host_device_scalarIT2_EEPKiS8_PKS5_SA_S6_PS5_21rocsparse_index_base_b, .Lfunc_end271-_ZN9rocsparseL19gebsrmvn_2xn_kernelILj128ELj10ELj32E21rocsparse_complex_numIdEEEvi20rocsparse_direction_NS_24const_host_device_scalarIT2_EEPKiS8_PKS5_SA_S6_PS5_21rocsparse_index_base_b
                                        ; -- End function
	.set _ZN9rocsparseL19gebsrmvn_2xn_kernelILj128ELj10ELj32E21rocsparse_complex_numIdEEEvi20rocsparse_direction_NS_24const_host_device_scalarIT2_EEPKiS8_PKS5_SA_S6_PS5_21rocsparse_index_base_b.num_vgpr, 50
	.set _ZN9rocsparseL19gebsrmvn_2xn_kernelILj128ELj10ELj32E21rocsparse_complex_numIdEEEvi20rocsparse_direction_NS_24const_host_device_scalarIT2_EEPKiS8_PKS5_SA_S6_PS5_21rocsparse_index_base_b.num_agpr, 0
	.set _ZN9rocsparseL19gebsrmvn_2xn_kernelILj128ELj10ELj32E21rocsparse_complex_numIdEEEvi20rocsparse_direction_NS_24const_host_device_scalarIT2_EEPKiS8_PKS5_SA_S6_PS5_21rocsparse_index_base_b.numbered_sgpr, 14
	.set _ZN9rocsparseL19gebsrmvn_2xn_kernelILj128ELj10ELj32E21rocsparse_complex_numIdEEEvi20rocsparse_direction_NS_24const_host_device_scalarIT2_EEPKiS8_PKS5_SA_S6_PS5_21rocsparse_index_base_b.num_named_barrier, 0
	.set _ZN9rocsparseL19gebsrmvn_2xn_kernelILj128ELj10ELj32E21rocsparse_complex_numIdEEEvi20rocsparse_direction_NS_24const_host_device_scalarIT2_EEPKiS8_PKS5_SA_S6_PS5_21rocsparse_index_base_b.private_seg_size, 0
	.set _ZN9rocsparseL19gebsrmvn_2xn_kernelILj128ELj10ELj32E21rocsparse_complex_numIdEEEvi20rocsparse_direction_NS_24const_host_device_scalarIT2_EEPKiS8_PKS5_SA_S6_PS5_21rocsparse_index_base_b.uses_vcc, 1
	.set _ZN9rocsparseL19gebsrmvn_2xn_kernelILj128ELj10ELj32E21rocsparse_complex_numIdEEEvi20rocsparse_direction_NS_24const_host_device_scalarIT2_EEPKiS8_PKS5_SA_S6_PS5_21rocsparse_index_base_b.uses_flat_scratch, 0
	.set _ZN9rocsparseL19gebsrmvn_2xn_kernelILj128ELj10ELj32E21rocsparse_complex_numIdEEEvi20rocsparse_direction_NS_24const_host_device_scalarIT2_EEPKiS8_PKS5_SA_S6_PS5_21rocsparse_index_base_b.has_dyn_sized_stack, 0
	.set _ZN9rocsparseL19gebsrmvn_2xn_kernelILj128ELj10ELj32E21rocsparse_complex_numIdEEEvi20rocsparse_direction_NS_24const_host_device_scalarIT2_EEPKiS8_PKS5_SA_S6_PS5_21rocsparse_index_base_b.has_recursion, 0
	.set _ZN9rocsparseL19gebsrmvn_2xn_kernelILj128ELj10ELj32E21rocsparse_complex_numIdEEEvi20rocsparse_direction_NS_24const_host_device_scalarIT2_EEPKiS8_PKS5_SA_S6_PS5_21rocsparse_index_base_b.has_indirect_call, 0
	.section	.AMDGPU.csdata,"",@progbits
; Kernel info:
; codeLenInByte = 2024
; TotalNumSgprs: 16
; NumVgprs: 50
; ScratchSize: 0
; MemoryBound: 0
; FloatMode: 240
; IeeeMode: 1
; LDSByteSize: 0 bytes/workgroup (compile time only)
; SGPRBlocks: 0
; VGPRBlocks: 3
; NumSGPRsForWavesPerEU: 16
; NumVGPRsForWavesPerEU: 50
; NamedBarCnt: 0
; Occupancy: 16
; WaveLimiterHint : 1
; COMPUTE_PGM_RSRC2:SCRATCH_EN: 0
; COMPUTE_PGM_RSRC2:USER_SGPR: 2
; COMPUTE_PGM_RSRC2:TRAP_HANDLER: 0
; COMPUTE_PGM_RSRC2:TGID_X_EN: 1
; COMPUTE_PGM_RSRC2:TGID_Y_EN: 0
; COMPUTE_PGM_RSRC2:TGID_Z_EN: 0
; COMPUTE_PGM_RSRC2:TIDIG_COMP_CNT: 0
	.section	.text._ZN9rocsparseL19gebsrmvn_2xn_kernelILj128ELj10ELj64E21rocsparse_complex_numIdEEEvi20rocsparse_direction_NS_24const_host_device_scalarIT2_EEPKiS8_PKS5_SA_S6_PS5_21rocsparse_index_base_b,"axG",@progbits,_ZN9rocsparseL19gebsrmvn_2xn_kernelILj128ELj10ELj64E21rocsparse_complex_numIdEEEvi20rocsparse_direction_NS_24const_host_device_scalarIT2_EEPKiS8_PKS5_SA_S6_PS5_21rocsparse_index_base_b,comdat
	.globl	_ZN9rocsparseL19gebsrmvn_2xn_kernelILj128ELj10ELj64E21rocsparse_complex_numIdEEEvi20rocsparse_direction_NS_24const_host_device_scalarIT2_EEPKiS8_PKS5_SA_S6_PS5_21rocsparse_index_base_b ; -- Begin function _ZN9rocsparseL19gebsrmvn_2xn_kernelILj128ELj10ELj64E21rocsparse_complex_numIdEEEvi20rocsparse_direction_NS_24const_host_device_scalarIT2_EEPKiS8_PKS5_SA_S6_PS5_21rocsparse_index_base_b
	.p2align	8
	.type	_ZN9rocsparseL19gebsrmvn_2xn_kernelILj128ELj10ELj64E21rocsparse_complex_numIdEEEvi20rocsparse_direction_NS_24const_host_device_scalarIT2_EEPKiS8_PKS5_SA_S6_PS5_21rocsparse_index_base_b,@function
_ZN9rocsparseL19gebsrmvn_2xn_kernelILj128ELj10ELj64E21rocsparse_complex_numIdEEEvi20rocsparse_direction_NS_24const_host_device_scalarIT2_EEPKiS8_PKS5_SA_S6_PS5_21rocsparse_index_base_b: ; @_ZN9rocsparseL19gebsrmvn_2xn_kernelILj128ELj10ELj64E21rocsparse_complex_numIdEEEvi20rocsparse_direction_NS_24const_host_device_scalarIT2_EEPKiS8_PKS5_SA_S6_PS5_21rocsparse_index_base_b
; %bb.0:
	s_clause 0x1
	s_load_b64 s[12:13], s[0:1], 0x50
	s_load_b64 s[2:3], s[0:1], 0x8
	v_mov_b32_e32 v1, 0
	s_add_nc_u64 s[4:5], s[0:1], 8
	s_load_b64 s[6:7], s[0:1], 0x38
	s_wait_kmcnt 0x0
	s_bitcmp1_b32 s13, 0
	s_cselect_b32 s3, s5, s3
	s_cselect_b32 s2, s4, s2
	flat_load_b128 v[2:5], v1, s[2:3]
	s_wait_xcnt 0x0
	s_add_nc_u64 s[2:3], s[0:1], 56
	s_delay_alu instid0(SALU_CYCLE_1)
	s_cselect_b32 s3, s3, s7
	s_cselect_b32 s2, s2, s6
	flat_load_b128 v[6:9], v1, s[2:3]
	s_wait_loadcnt_dscnt 0x101
	v_cmp_eq_f64_e32 vcc_lo, 0, v[2:3]
	s_wait_xcnt 0x0
	v_cmp_eq_f64_e64 s2, 0, v[4:5]
	s_and_b32 s4, vcc_lo, s2
	s_mov_b32 s2, -1
	s_and_saveexec_b32 s3, s4
	s_cbranch_execz .LBB272_2
; %bb.1:
	s_wait_loadcnt_dscnt 0x0
	v_cmp_neq_f64_e32 vcc_lo, 1.0, v[6:7]
	v_cmp_neq_f64_e64 s2, 0, v[8:9]
	s_or_b32 s2, vcc_lo, s2
	s_delay_alu instid0(SALU_CYCLE_1)
	s_or_not1_b32 s2, s2, exec_lo
.LBB272_2:
	s_or_b32 exec_lo, exec_lo, s3
	s_and_saveexec_b32 s3, s2
	s_cbranch_execz .LBB272_25
; %bb.3:
	s_load_b64 s[2:3], s[0:1], 0x0
	s_bfe_u32 s4, ttmp6, 0x4000c
	s_and_b32 s5, ttmp6, 15
	s_add_co_i32 s4, s4, 1
	s_getreg_b32 s6, hwreg(HW_REG_IB_STS2, 6, 4)
	s_mul_i32 s4, ttmp9, s4
	v_lshrrev_b32_e32 v1, 6, v0
	s_add_co_i32 s5, s5, s4
	s_cmp_eq_u32 s6, 0
	s_cselect_b32 s4, ttmp9, s5
	s_delay_alu instid0(VALU_DEP_1) | instid1(SALU_CYCLE_1)
	v_lshl_or_b32 v10, s4, 1, v1
	s_wait_kmcnt 0x0
	s_delay_alu instid0(VALU_DEP_1)
	v_cmp_gt_i32_e32 vcc_lo, s2, v10
	s_and_b32 exec_lo, exec_lo, vcc_lo
	s_cbranch_execz .LBB272_25
; %bb.4:
	s_load_b256 s[4:11], s[0:1], 0x18
	v_ashrrev_i32_e32 v11, 31, v10
	s_cmp_lg_u32 s3, 0
	s_wait_kmcnt 0x0
	s_delay_alu instid0(VALU_DEP_1)
	v_lshl_add_u64 v[12:13], v[10:11], 2, s[4:5]
	v_and_b32_e32 v11, 63, v0
	global_load_b64 v[18:19], v[12:13], off
	s_wait_loadcnt 0x0
	v_subrev_nc_u32_e32 v0, s12, v18
	v_subrev_nc_u32_e32 v19, s12, v19
	s_delay_alu instid0(VALU_DEP_2) | instskip(NEXT) | instid1(VALU_DEP_1)
	v_add_nc_u32_e32 v20, v0, v11
	v_cmp_lt_i32_e64 s2, v20, v19
	s_cbranch_scc0 .LBB272_12
; %bb.5:
	v_mov_b64_e32 v[0:1], 0
	v_mov_b64_e32 v[14:15], 0
	;; [unrolled: 1-line block ×4, first 2 shown]
	s_and_saveexec_b32 s3, s2
	s_cbranch_execz .LBB272_11
; %bb.6:
	v_mul_lo_u32 v21, v20, 20
	v_mov_b64_e32 v[0:1], 0
	v_mov_b64_e32 v[14:15], 0
	;; [unrolled: 1-line block ×4, first 2 shown]
	v_mov_b32_e32 v22, v20
	s_mov_b32 s4, 0
.LBB272_7:                              ; =>This Loop Header: Depth=1
                                        ;     Child Loop BB272_8 Depth 2
	global_load_b32 v23, v22, s[6:7] scale_offset
	v_mov_b32_e32 v24, v21
	s_mov_b32 s5, 0
	s_wait_loadcnt 0x0
	v_subrev_nc_u32_e32 v23, s12, v23
	s_delay_alu instid0(VALU_DEP_1)
	v_mul_lo_u32 v23, v23, 10
.LBB272_8:                              ;   Parent Loop BB272_7 Depth=1
                                        ; =>  This Inner Loop Header: Depth=2
	s_delay_alu instid0(VALU_DEP_1)
	v_add_nc_u32_e32 v25, s5, v23
	s_add_co_i32 s5, s5, 2
	s_clause 0x1
	global_load_b128 v[26:29], v24, s[8:9] offset:16 scale_offset
	global_load_b128 v[30:33], v24, s[8:9] scale_offset
	s_clause 0x1
	global_load_b128 v[34:37], v25, s[10:11] scale_offset
	global_load_b128 v[38:41], v25, s[10:11] offset:16 scale_offset
	s_clause 0x1
	global_load_b128 v[42:45], v24, s[8:9] offset:32 scale_offset
	global_load_b128 v[46:49], v24, s[8:9] offset:48 scale_offset
	s_wait_xcnt 0x0
	v_add_nc_u32_e32 v24, 4, v24
	s_cmp_eq_u32 s5, 10
	s_wait_loadcnt 0x3
	v_fmac_f64_e32 v[14:15], v[30:31], v[34:35]
	v_fmac_f64_e32 v[0:1], v[32:33], v[34:35]
	;; [unrolled: 1-line block ×4, first 2 shown]
	s_delay_alu instid0(VALU_DEP_4) | instskip(NEXT) | instid1(VALU_DEP_4)
	v_fma_f64 v[14:15], -v[32:33], v[36:37], v[14:15]
	v_fmac_f64_e32 v[0:1], v[30:31], v[36:37]
	s_delay_alu instid0(VALU_DEP_4) | instskip(NEXT) | instid1(VALU_DEP_4)
	v_fma_f64 v[16:17], -v[28:29], v[36:37], v[16:17]
	v_fmac_f64_e32 v[12:13], v[26:27], v[36:37]
	s_wait_loadcnt 0x1
	s_delay_alu instid0(VALU_DEP_4) | instskip(NEXT) | instid1(VALU_DEP_4)
	v_fmac_f64_e32 v[14:15], v[42:43], v[38:39]
	v_fmac_f64_e32 v[0:1], v[44:45], v[38:39]
	s_wait_loadcnt 0x0
	s_delay_alu instid0(VALU_DEP_4) | instskip(NEXT) | instid1(VALU_DEP_4)
	v_fmac_f64_e32 v[16:17], v[46:47], v[38:39]
	v_fmac_f64_e32 v[12:13], v[48:49], v[38:39]
	s_delay_alu instid0(VALU_DEP_4) | instskip(NEXT) | instid1(VALU_DEP_4)
	v_fma_f64 v[14:15], -v[44:45], v[40:41], v[14:15]
	v_fmac_f64_e32 v[0:1], v[42:43], v[40:41]
	s_delay_alu instid0(VALU_DEP_4) | instskip(NEXT) | instid1(VALU_DEP_4)
	v_fma_f64 v[16:17], -v[48:49], v[40:41], v[16:17]
	v_fmac_f64_e32 v[12:13], v[46:47], v[40:41]
	s_cbranch_scc0 .LBB272_8
; %bb.9:                                ;   in Loop: Header=BB272_7 Depth=1
	v_add_nc_u32_e32 v22, 64, v22
	v_add_nc_u32_e32 v21, 0x500, v21
	s_delay_alu instid0(VALU_DEP_2) | instskip(SKIP_1) | instid1(SALU_CYCLE_1)
	v_cmp_ge_i32_e32 vcc_lo, v22, v19
	s_or_b32 s4, vcc_lo, s4
	s_and_not1_b32 exec_lo, exec_lo, s4
	s_cbranch_execnz .LBB272_7
; %bb.10:
	s_or_b32 exec_lo, exec_lo, s4
.LBB272_11:
	s_delay_alu instid0(SALU_CYCLE_1)
	s_or_b32 exec_lo, exec_lo, s3
	s_cbranch_execz .LBB272_13
	s_branch .LBB272_20
.LBB272_12:
                                        ; implicit-def: $vgpr0_vgpr1
                                        ; implicit-def: $vgpr14_vgpr15
                                        ; implicit-def: $vgpr16_vgpr17
                                        ; implicit-def: $vgpr12_vgpr13
.LBB272_13:
	v_mov_b64_e32 v[0:1], 0
	v_mov_b64_e32 v[14:15], 0
	;; [unrolled: 1-line block ×4, first 2 shown]
	s_and_saveexec_b32 s3, s2
	s_cbranch_execz .LBB272_19
; %bb.14:
	v_mul_u32_u24_e32 v0, 20, v11
	s_mul_i32 s2, s12, 20
	v_mov_b64_e32 v[14:15], 0
	v_mov_b64_e32 v[16:17], 0
	;; [unrolled: 1-line block ×3, first 2 shown]
	v_mad_u32 v21, v18, 20, v0
	v_mul_lo_u32 v18, v20, 20
	v_mov_b64_e32 v[0:1], 0
	s_delay_alu instid0(VALU_DEP_3)
	v_subrev_nc_u32_e32 v21, s2, v21
	s_mov_b32 s2, 0
.LBB272_15:                             ; =>This Loop Header: Depth=1
                                        ;     Child Loop BB272_16 Depth 2
	global_load_b32 v22, v20, s[6:7] scale_offset
	s_mov_b32 s4, 0
	s_wait_loadcnt 0x0
	v_subrev_nc_u32_e32 v22, s12, v22
	s_delay_alu instid0(VALU_DEP_1)
	v_mul_lo_u32 v22, v22, 10
.LBB272_16:                             ;   Parent Loop BB272_15 Depth=1
                                        ; =>  This Inner Loop Header: Depth=2
	s_delay_alu instid0(VALU_DEP_1)
	v_dual_add_nc_u32 v23, s4, v21 :: v_dual_add_nc_u32 v48, s4, v22
	v_add3_u32 v49, v18, s4, 10
	s_add_co_i32 s4, s4, 2
	global_load_b128 v[24:27], v23, s[8:9] scale_offset
	global_load_b128 v[28:31], v48, s[10:11] scale_offset
	s_clause 0x1
	global_load_b128 v[32:35], v49, s[8:9] scale_offset
	global_load_b128 v[36:39], v23, s[8:9] offset:16 scale_offset
	global_load_b128 v[40:43], v48, s[10:11] offset:16 scale_offset
	;; [unrolled: 1-line block ×3, first 2 shown]
	s_cmp_eq_u32 s4, 10
	s_wait_loadcnt 0x4
	v_fmac_f64_e32 v[14:15], v[24:25], v[28:29]
	v_fmac_f64_e32 v[0:1], v[26:27], v[28:29]
	s_wait_loadcnt 0x3
	v_fmac_f64_e32 v[16:17], v[32:33], v[28:29]
	v_fmac_f64_e32 v[12:13], v[34:35], v[28:29]
	s_delay_alu instid0(VALU_DEP_4) | instskip(NEXT) | instid1(VALU_DEP_4)
	v_fma_f64 v[14:15], -v[26:27], v[30:31], v[14:15]
	v_fmac_f64_e32 v[0:1], v[24:25], v[30:31]
	s_delay_alu instid0(VALU_DEP_4) | instskip(NEXT) | instid1(VALU_DEP_4)
	v_fma_f64 v[16:17], -v[34:35], v[30:31], v[16:17]
	v_fmac_f64_e32 v[12:13], v[32:33], v[30:31]
	s_wait_loadcnt 0x1
	s_delay_alu instid0(VALU_DEP_4) | instskip(NEXT) | instid1(VALU_DEP_4)
	v_fmac_f64_e32 v[14:15], v[36:37], v[40:41]
	v_fmac_f64_e32 v[0:1], v[38:39], v[40:41]
	s_wait_loadcnt 0x0
	s_delay_alu instid0(VALU_DEP_4) | instskip(NEXT) | instid1(VALU_DEP_4)
	v_fmac_f64_e32 v[16:17], v[44:45], v[40:41]
	v_fmac_f64_e32 v[12:13], v[46:47], v[40:41]
	s_delay_alu instid0(VALU_DEP_4) | instskip(NEXT) | instid1(VALU_DEP_4)
	v_fma_f64 v[14:15], -v[38:39], v[42:43], v[14:15]
	v_fmac_f64_e32 v[0:1], v[36:37], v[42:43]
	s_delay_alu instid0(VALU_DEP_4) | instskip(NEXT) | instid1(VALU_DEP_4)
	v_fma_f64 v[16:17], -v[46:47], v[42:43], v[16:17]
	v_fmac_f64_e32 v[12:13], v[44:45], v[42:43]
	s_cbranch_scc0 .LBB272_16
; %bb.17:                               ;   in Loop: Header=BB272_15 Depth=1
	v_add_nc_u32_e32 v20, 64, v20
	v_add_nc_u32_e32 v18, 0x500, v18
	;; [unrolled: 1-line block ×3, first 2 shown]
	s_delay_alu instid0(VALU_DEP_3) | instskip(SKIP_1) | instid1(SALU_CYCLE_1)
	v_cmp_ge_i32_e32 vcc_lo, v20, v19
	s_or_b32 s2, vcc_lo, s2
	s_and_not1_b32 exec_lo, exec_lo, s2
	s_cbranch_execnz .LBB272_15
; %bb.18:
	s_or_b32 exec_lo, exec_lo, s2
.LBB272_19:
	s_delay_alu instid0(SALU_CYCLE_1)
	s_or_b32 exec_lo, exec_lo, s3
.LBB272_20:
	v_mbcnt_lo_u32_b32 v28, -1, 0
	s_delay_alu instid0(VALU_DEP_1) | instskip(NEXT) | instid1(VALU_DEP_1)
	v_or_b32_e32 v18, 32, v28
	v_cmp_gt_i32_e32 vcc_lo, 32, v18
	v_cndmask_b32_e32 v18, v28, v18, vcc_lo
	s_delay_alu instid0(VALU_DEP_1)
	v_lshlrev_b32_e32 v25, 2, v18
	ds_bpermute_b32 v20, v25, v0
	ds_bpermute_b32 v21, v25, v1
	s_wait_dscnt 0x0
	v_add_f64_e32 v[0:1], v[0:1], v[20:21]
	ds_bpermute_b32 v18, v25, v14
	ds_bpermute_b32 v19, v25, v15
	;; [unrolled: 1-line block ×6, first 2 shown]
	s_wait_dscnt 0x4
	v_dual_add_f64 v[14:15], v[14:15], v[18:19] :: v_dual_bitop2_b32 v18, 16, v28 bitop3:0x14
	s_wait_dscnt 0x2
	v_add_f64_e32 v[16:17], v[16:17], v[22:23]
	s_delay_alu instid0(VALU_DEP_2) | instskip(SKIP_2) | instid1(VALU_DEP_1)
	v_cmp_gt_i32_e32 vcc_lo, 32, v18
	v_cndmask_b32_e32 v18, v28, v18, vcc_lo
	s_wait_dscnt 0x0
	v_dual_add_f64 v[12:13], v[12:13], v[24:25] :: v_dual_lshlrev_b32 v25, 2, v18
	ds_bpermute_b32 v20, v25, v0
	ds_bpermute_b32 v21, v25, v1
	;; [unrolled: 1-line block ×8, first 2 shown]
	s_wait_dscnt 0x4
	v_dual_add_f64 v[14:15], v[14:15], v[18:19] :: v_dual_bitop2_b32 v18, 8, v28 bitop3:0x14
	s_wait_dscnt 0x2
	v_add_f64_e32 v[16:17], v[16:17], v[22:23]
	s_delay_alu instid0(VALU_DEP_2) | instskip(SKIP_3) | instid1(VALU_DEP_2)
	v_cmp_gt_i32_e32 vcc_lo, 32, v18
	v_cndmask_b32_e32 v18, v28, v18, vcc_lo
	v_add_f64_e32 v[0:1], v[0:1], v[20:21]
	s_wait_dscnt 0x0
	v_dual_add_f64 v[12:13], v[12:13], v[24:25] :: v_dual_lshlrev_b32 v25, 2, v18
	ds_bpermute_b32 v18, v25, v14
	ds_bpermute_b32 v19, v25, v15
	;; [unrolled: 1-line block ×5, first 2 shown]
	s_wait_dscnt 0x3
	v_dual_add_f64 v[14:15], v[14:15], v[18:19] :: v_dual_bitop2_b32 v18, 4, v28 bitop3:0x14
	ds_bpermute_b32 v22, v25, v16
	ds_bpermute_b32 v23, v25, v17
	;; [unrolled: 1-line block ×3, first 2 shown]
	v_cmp_gt_i32_e32 vcc_lo, 32, v18
	v_cndmask_b32_e32 v18, v28, v18, vcc_lo
	s_wait_dscnt 0x4
	v_add_f64_e32 v[0:1], v[0:1], v[20:21]
	s_wait_dscnt 0x1
	v_add_f64_e32 v[16:17], v[16:17], v[22:23]
	s_wait_dscnt 0x0
	v_dual_add_f64 v[12:13], v[12:13], v[24:25] :: v_dual_lshlrev_b32 v25, 2, v18
	ds_bpermute_b32 v18, v25, v14
	ds_bpermute_b32 v19, v25, v15
	;; [unrolled: 1-line block ×4, first 2 shown]
	s_wait_dscnt 0x2
	v_add_f64_e32 v[14:15], v[14:15], v[18:19]
	ds_bpermute_b32 v22, v25, v16
	ds_bpermute_b32 v23, v25, v17
	;; [unrolled: 1-line block ×4, first 2 shown]
	s_wait_dscnt 0x4
	v_add_f64_e32 v[18:19], v[0:1], v[20:21]
	v_xor_b32_e32 v0, 2, v28
	s_delay_alu instid0(VALU_DEP_1)
	v_cmp_gt_i32_e32 vcc_lo, 32, v0
	s_wait_dscnt 0x2
	v_add_f64_e32 v[20:21], v[16:17], v[22:23]
	v_cndmask_b32_e32 v0, v28, v0, vcc_lo
	s_wait_dscnt 0x0
	v_add_f64_e32 v[22:23], v[12:13], v[24:25]
	s_delay_alu instid0(VALU_DEP_2)
	v_lshlrev_b32_e32 v16, 2, v0
	ds_bpermute_b32 v0, v16, v14
	ds_bpermute_b32 v1, v16, v15
	ds_bpermute_b32 v12, v16, v18
	ds_bpermute_b32 v13, v16, v19
	ds_bpermute_b32 v24, v16, v20
	ds_bpermute_b32 v25, v16, v21
	ds_bpermute_b32 v26, v16, v22
	ds_bpermute_b32 v27, v16, v23
	s_wait_dscnt 0x6
	v_add_f64_e32 v[0:1], v[14:15], v[0:1]
	s_wait_dscnt 0x4
	v_add_f64_e32 v[16:17], v[18:19], v[12:13]
	v_xor_b32_e32 v18, 1, v28
	s_delay_alu instid0(VALU_DEP_1)
	v_cmp_gt_i32_e32 vcc_lo, 32, v18
	s_wait_dscnt 0x2
	v_add_f64_e32 v[12:13], v[20:21], v[24:25]
	v_cndmask_b32_e32 v18, v28, v18, vcc_lo
	s_wait_dscnt 0x0
	v_add_f64_e32 v[14:15], v[22:23], v[26:27]
	v_cmp_eq_u32_e32 vcc_lo, 63, v11
	s_delay_alu instid0(VALU_DEP_3)
	v_lshlrev_b32_e32 v21, 2, v18
	ds_bpermute_b32 v24, v21, v0
	ds_bpermute_b32 v25, v21, v1
	;; [unrolled: 1-line block ×8, first 2 shown]
	s_and_b32 exec_lo, exec_lo, vcc_lo
	s_cbranch_execz .LBB272_25
; %bb.21:
	v_cmp_eq_f64_e32 vcc_lo, 0, v[6:7]
	v_cmp_eq_f64_e64 s2, 0, v[8:9]
	s_wait_dscnt 0x6
	v_add_f64_e32 v[0:1], v[0:1], v[24:25]
	s_wait_dscnt 0x4
	v_add_f64_e32 v[16:17], v[16:17], v[22:23]
	;; [unrolled: 2-line block ×4, first 2 shown]
	s_load_b64 s[0:1], s[0:1], 0x48
	s_and_b32 s2, vcc_lo, s2
	s_delay_alu instid0(SALU_CYCLE_1) | instskip(NEXT) | instid1(SALU_CYCLE_1)
	s_and_saveexec_b32 s3, s2
	s_xor_b32 s2, exec_lo, s3
	s_cbranch_execz .LBB272_23
; %bb.22:
	s_delay_alu instid0(VALU_DEP_3) | instskip(SKIP_1) | instid1(VALU_DEP_3)
	v_mul_f64_e64 v[6:7], v[16:17], -v[4:5]
	v_mul_f64_e32 v[8:9], v[2:3], v[16:17]
	v_mul_f64_e64 v[16:17], v[14:15], -v[4:5]
	v_mul_f64_e32 v[18:19], v[2:3], v[14:15]
                                        ; implicit-def: $vgpr14_vgpr15
	s_delay_alu instid0(VALU_DEP_4) | instskip(NEXT) | instid1(VALU_DEP_4)
	v_fmac_f64_e32 v[6:7], v[2:3], v[0:1]
	v_fmac_f64_e32 v[8:9], v[4:5], v[0:1]
	s_delay_alu instid0(VALU_DEP_4) | instskip(NEXT) | instid1(VALU_DEP_4)
	v_fmac_f64_e32 v[16:17], v[2:3], v[12:13]
	v_fmac_f64_e32 v[18:19], v[4:5], v[12:13]
	v_lshlrev_b32_e32 v0, 1, v10
                                        ; implicit-def: $vgpr10
                                        ; implicit-def: $vgpr12_vgpr13
                                        ; implicit-def: $vgpr4_vgpr5
	s_wait_kmcnt 0x0
	s_clause 0x1
	global_store_b128 v0, v[6:9], s[0:1] scale_offset
	global_store_b128 v0, v[16:19], s[0:1] offset:16 scale_offset
                                        ; implicit-def: $vgpr0_vgpr1
                                        ; implicit-def: $vgpr16_vgpr17
                                        ; implicit-def: $vgpr8_vgpr9
.LBB272_23:
	s_wait_xcnt 0x0
	s_and_not1_saveexec_b32 s2, s2
	s_cbranch_execz .LBB272_25
; %bb.24:
	s_delay_alu instid0(VALU_DEP_3) | instskip(SKIP_1) | instid1(VALU_DEP_3)
	v_dual_mul_f64 v[26:27], v[16:17], -v[4:5] :: v_dual_lshlrev_b32 v30, 1, v10
	v_mul_f64_e32 v[16:17], v[2:3], v[16:17]
	v_mul_f64_e64 v[28:29], v[14:15], -v[4:5]
	v_mul_f64_e32 v[10:11], v[2:3], v[14:15]
	s_wait_kmcnt 0x0
	s_clause 0x1
	global_load_b128 v[18:21], v30, s[0:1] scale_offset
	global_load_b128 v[22:25], v30, s[0:1] offset:16 scale_offset
	v_fmac_f64_e32 v[26:27], v[2:3], v[0:1]
	v_fmac_f64_e32 v[16:17], v[4:5], v[0:1]
	;; [unrolled: 1-line block ×4, first 2 shown]
	s_wait_loadcnt 0x1
	s_delay_alu instid0(VALU_DEP_4) | instskip(NEXT) | instid1(VALU_DEP_4)
	v_fmac_f64_e32 v[26:27], v[6:7], v[18:19]
	v_fmac_f64_e32 v[16:17], v[8:9], v[18:19]
	s_wait_loadcnt 0x0
	s_delay_alu instid0(VALU_DEP_4) | instskip(NEXT) | instid1(VALU_DEP_4)
	v_fmac_f64_e32 v[28:29], v[6:7], v[22:23]
	v_fmac_f64_e32 v[10:11], v[8:9], v[22:23]
	s_delay_alu instid0(VALU_DEP_4) | instskip(NEXT) | instid1(VALU_DEP_4)
	v_fma_f64 v[14:15], -v[8:9], v[20:21], v[26:27]
	v_fmac_f64_e32 v[16:17], v[6:7], v[20:21]
	s_delay_alu instid0(VALU_DEP_4) | instskip(NEXT) | instid1(VALU_DEP_4)
	v_fma_f64 v[8:9], -v[8:9], v[24:25], v[28:29]
	v_fmac_f64_e32 v[10:11], v[6:7], v[24:25]
	s_clause 0x1
	global_store_b128 v30, v[14:17], s[0:1] scale_offset
	global_store_b128 v30, v[8:11], s[0:1] offset:16 scale_offset
.LBB272_25:
	s_endpgm
	.section	.rodata,"a",@progbits
	.p2align	6, 0x0
	.amdhsa_kernel _ZN9rocsparseL19gebsrmvn_2xn_kernelILj128ELj10ELj64E21rocsparse_complex_numIdEEEvi20rocsparse_direction_NS_24const_host_device_scalarIT2_EEPKiS8_PKS5_SA_S6_PS5_21rocsparse_index_base_b
		.amdhsa_group_segment_fixed_size 0
		.amdhsa_private_segment_fixed_size 0
		.amdhsa_kernarg_size 88
		.amdhsa_user_sgpr_count 2
		.amdhsa_user_sgpr_dispatch_ptr 0
		.amdhsa_user_sgpr_queue_ptr 0
		.amdhsa_user_sgpr_kernarg_segment_ptr 1
		.amdhsa_user_sgpr_dispatch_id 0
		.amdhsa_user_sgpr_kernarg_preload_length 0
		.amdhsa_user_sgpr_kernarg_preload_offset 0
		.amdhsa_user_sgpr_private_segment_size 0
		.amdhsa_wavefront_size32 1
		.amdhsa_uses_dynamic_stack 0
		.amdhsa_enable_private_segment 0
		.amdhsa_system_sgpr_workgroup_id_x 1
		.amdhsa_system_sgpr_workgroup_id_y 0
		.amdhsa_system_sgpr_workgroup_id_z 0
		.amdhsa_system_sgpr_workgroup_info 0
		.amdhsa_system_vgpr_workitem_id 0
		.amdhsa_next_free_vgpr 50
		.amdhsa_next_free_sgpr 14
		.amdhsa_named_barrier_count 0
		.amdhsa_reserve_vcc 1
		.amdhsa_float_round_mode_32 0
		.amdhsa_float_round_mode_16_64 0
		.amdhsa_float_denorm_mode_32 3
		.amdhsa_float_denorm_mode_16_64 3
		.amdhsa_fp16_overflow 0
		.amdhsa_memory_ordered 1
		.amdhsa_forward_progress 1
		.amdhsa_inst_pref_size 17
		.amdhsa_round_robin_scheduling 0
		.amdhsa_exception_fp_ieee_invalid_op 0
		.amdhsa_exception_fp_denorm_src 0
		.amdhsa_exception_fp_ieee_div_zero 0
		.amdhsa_exception_fp_ieee_overflow 0
		.amdhsa_exception_fp_ieee_underflow 0
		.amdhsa_exception_fp_ieee_inexact 0
		.amdhsa_exception_int_div_zero 0
	.end_amdhsa_kernel
	.section	.text._ZN9rocsparseL19gebsrmvn_2xn_kernelILj128ELj10ELj64E21rocsparse_complex_numIdEEEvi20rocsparse_direction_NS_24const_host_device_scalarIT2_EEPKiS8_PKS5_SA_S6_PS5_21rocsparse_index_base_b,"axG",@progbits,_ZN9rocsparseL19gebsrmvn_2xn_kernelILj128ELj10ELj64E21rocsparse_complex_numIdEEEvi20rocsparse_direction_NS_24const_host_device_scalarIT2_EEPKiS8_PKS5_SA_S6_PS5_21rocsparse_index_base_b,comdat
.Lfunc_end272:
	.size	_ZN9rocsparseL19gebsrmvn_2xn_kernelILj128ELj10ELj64E21rocsparse_complex_numIdEEEvi20rocsparse_direction_NS_24const_host_device_scalarIT2_EEPKiS8_PKS5_SA_S6_PS5_21rocsparse_index_base_b, .Lfunc_end272-_ZN9rocsparseL19gebsrmvn_2xn_kernelILj128ELj10ELj64E21rocsparse_complex_numIdEEEvi20rocsparse_direction_NS_24const_host_device_scalarIT2_EEPKiS8_PKS5_SA_S6_PS5_21rocsparse_index_base_b
                                        ; -- End function
	.set _ZN9rocsparseL19gebsrmvn_2xn_kernelILj128ELj10ELj64E21rocsparse_complex_numIdEEEvi20rocsparse_direction_NS_24const_host_device_scalarIT2_EEPKiS8_PKS5_SA_S6_PS5_21rocsparse_index_base_b.num_vgpr, 50
	.set _ZN9rocsparseL19gebsrmvn_2xn_kernelILj128ELj10ELj64E21rocsparse_complex_numIdEEEvi20rocsparse_direction_NS_24const_host_device_scalarIT2_EEPKiS8_PKS5_SA_S6_PS5_21rocsparse_index_base_b.num_agpr, 0
	.set _ZN9rocsparseL19gebsrmvn_2xn_kernelILj128ELj10ELj64E21rocsparse_complex_numIdEEEvi20rocsparse_direction_NS_24const_host_device_scalarIT2_EEPKiS8_PKS5_SA_S6_PS5_21rocsparse_index_base_b.numbered_sgpr, 14
	.set _ZN9rocsparseL19gebsrmvn_2xn_kernelILj128ELj10ELj64E21rocsparse_complex_numIdEEEvi20rocsparse_direction_NS_24const_host_device_scalarIT2_EEPKiS8_PKS5_SA_S6_PS5_21rocsparse_index_base_b.num_named_barrier, 0
	.set _ZN9rocsparseL19gebsrmvn_2xn_kernelILj128ELj10ELj64E21rocsparse_complex_numIdEEEvi20rocsparse_direction_NS_24const_host_device_scalarIT2_EEPKiS8_PKS5_SA_S6_PS5_21rocsparse_index_base_b.private_seg_size, 0
	.set _ZN9rocsparseL19gebsrmvn_2xn_kernelILj128ELj10ELj64E21rocsparse_complex_numIdEEEvi20rocsparse_direction_NS_24const_host_device_scalarIT2_EEPKiS8_PKS5_SA_S6_PS5_21rocsparse_index_base_b.uses_vcc, 1
	.set _ZN9rocsparseL19gebsrmvn_2xn_kernelILj128ELj10ELj64E21rocsparse_complex_numIdEEEvi20rocsparse_direction_NS_24const_host_device_scalarIT2_EEPKiS8_PKS5_SA_S6_PS5_21rocsparse_index_base_b.uses_flat_scratch, 0
	.set _ZN9rocsparseL19gebsrmvn_2xn_kernelILj128ELj10ELj64E21rocsparse_complex_numIdEEEvi20rocsparse_direction_NS_24const_host_device_scalarIT2_EEPKiS8_PKS5_SA_S6_PS5_21rocsparse_index_base_b.has_dyn_sized_stack, 0
	.set _ZN9rocsparseL19gebsrmvn_2xn_kernelILj128ELj10ELj64E21rocsparse_complex_numIdEEEvi20rocsparse_direction_NS_24const_host_device_scalarIT2_EEPKiS8_PKS5_SA_S6_PS5_21rocsparse_index_base_b.has_recursion, 0
	.set _ZN9rocsparseL19gebsrmvn_2xn_kernelILj128ELj10ELj64E21rocsparse_complex_numIdEEEvi20rocsparse_direction_NS_24const_host_device_scalarIT2_EEPKiS8_PKS5_SA_S6_PS5_21rocsparse_index_base_b.has_indirect_call, 0
	.section	.AMDGPU.csdata,"",@progbits
; Kernel info:
; codeLenInByte = 2164
; TotalNumSgprs: 16
; NumVgprs: 50
; ScratchSize: 0
; MemoryBound: 0
; FloatMode: 240
; IeeeMode: 1
; LDSByteSize: 0 bytes/workgroup (compile time only)
; SGPRBlocks: 0
; VGPRBlocks: 3
; NumSGPRsForWavesPerEU: 16
; NumVGPRsForWavesPerEU: 50
; NamedBarCnt: 0
; Occupancy: 16
; WaveLimiterHint : 1
; COMPUTE_PGM_RSRC2:SCRATCH_EN: 0
; COMPUTE_PGM_RSRC2:USER_SGPR: 2
; COMPUTE_PGM_RSRC2:TRAP_HANDLER: 0
; COMPUTE_PGM_RSRC2:TGID_X_EN: 1
; COMPUTE_PGM_RSRC2:TGID_Y_EN: 0
; COMPUTE_PGM_RSRC2:TGID_Z_EN: 0
; COMPUTE_PGM_RSRC2:TIDIG_COMP_CNT: 0
	.section	.text._ZN9rocsparseL19gebsrmvn_2xn_kernelILj128ELj11ELj4E21rocsparse_complex_numIdEEEvi20rocsparse_direction_NS_24const_host_device_scalarIT2_EEPKiS8_PKS5_SA_S6_PS5_21rocsparse_index_base_b,"axG",@progbits,_ZN9rocsparseL19gebsrmvn_2xn_kernelILj128ELj11ELj4E21rocsparse_complex_numIdEEEvi20rocsparse_direction_NS_24const_host_device_scalarIT2_EEPKiS8_PKS5_SA_S6_PS5_21rocsparse_index_base_b,comdat
	.globl	_ZN9rocsparseL19gebsrmvn_2xn_kernelILj128ELj11ELj4E21rocsparse_complex_numIdEEEvi20rocsparse_direction_NS_24const_host_device_scalarIT2_EEPKiS8_PKS5_SA_S6_PS5_21rocsparse_index_base_b ; -- Begin function _ZN9rocsparseL19gebsrmvn_2xn_kernelILj128ELj11ELj4E21rocsparse_complex_numIdEEEvi20rocsparse_direction_NS_24const_host_device_scalarIT2_EEPKiS8_PKS5_SA_S6_PS5_21rocsparse_index_base_b
	.p2align	8
	.type	_ZN9rocsparseL19gebsrmvn_2xn_kernelILj128ELj11ELj4E21rocsparse_complex_numIdEEEvi20rocsparse_direction_NS_24const_host_device_scalarIT2_EEPKiS8_PKS5_SA_S6_PS5_21rocsparse_index_base_b,@function
_ZN9rocsparseL19gebsrmvn_2xn_kernelILj128ELj11ELj4E21rocsparse_complex_numIdEEEvi20rocsparse_direction_NS_24const_host_device_scalarIT2_EEPKiS8_PKS5_SA_S6_PS5_21rocsparse_index_base_b: ; @_ZN9rocsparseL19gebsrmvn_2xn_kernelILj128ELj11ELj4E21rocsparse_complex_numIdEEEvi20rocsparse_direction_NS_24const_host_device_scalarIT2_EEPKiS8_PKS5_SA_S6_PS5_21rocsparse_index_base_b
; %bb.0:
	s_clause 0x1
	s_load_b64 s[12:13], s[0:1], 0x50
	s_load_b64 s[2:3], s[0:1], 0x8
	v_mov_b32_e32 v1, 0
	s_add_nc_u64 s[4:5], s[0:1], 8
	s_load_b64 s[6:7], s[0:1], 0x38
	s_wait_kmcnt 0x0
	s_bitcmp1_b32 s13, 0
	s_cselect_b32 s3, s5, s3
	s_cselect_b32 s2, s4, s2
	flat_load_b128 v[2:5], v1, s[2:3]
	s_wait_xcnt 0x0
	s_add_nc_u64 s[2:3], s[0:1], 56
	s_delay_alu instid0(SALU_CYCLE_1)
	s_cselect_b32 s3, s3, s7
	s_cselect_b32 s2, s2, s6
	flat_load_b128 v[6:9], v1, s[2:3]
	s_wait_loadcnt_dscnt 0x101
	v_cmp_eq_f64_e32 vcc_lo, 0, v[2:3]
	s_wait_xcnt 0x0
	v_cmp_eq_f64_e64 s2, 0, v[4:5]
	s_and_b32 s4, vcc_lo, s2
	s_mov_b32 s2, -1
	s_and_saveexec_b32 s3, s4
	s_cbranch_execz .LBB273_2
; %bb.1:
	s_wait_loadcnt_dscnt 0x0
	v_cmp_neq_f64_e32 vcc_lo, 1.0, v[6:7]
	v_cmp_neq_f64_e64 s2, 0, v[8:9]
	s_or_b32 s2, vcc_lo, s2
	s_delay_alu instid0(SALU_CYCLE_1)
	s_or_not1_b32 s2, s2, exec_lo
.LBB273_2:
	s_or_b32 exec_lo, exec_lo, s3
	s_and_saveexec_b32 s3, s2
	s_cbranch_execz .LBB273_29
; %bb.3:
	s_load_b64 s[2:3], s[0:1], 0x0
	s_bfe_u32 s4, ttmp6, 0x4000c
	s_and_b32 s5, ttmp6, 15
	s_add_co_i32 s4, s4, 1
	s_getreg_b32 s6, hwreg(HW_REG_IB_STS2, 6, 4)
	s_mul_i32 s4, ttmp9, s4
	v_lshrrev_b32_e32 v1, 2, v0
	s_add_co_i32 s5, s5, s4
	s_cmp_eq_u32 s6, 0
	s_cselect_b32 s4, ttmp9, s5
	s_delay_alu instid0(VALU_DEP_1) | instid1(SALU_CYCLE_1)
	v_lshl_or_b32 v10, s4, 5, v1
	s_wait_kmcnt 0x0
	s_delay_alu instid0(VALU_DEP_1)
	v_cmp_gt_i32_e32 vcc_lo, s2, v10
	s_and_b32 exec_lo, exec_lo, vcc_lo
	s_cbranch_execz .LBB273_29
; %bb.4:
	s_load_b256 s[4:11], s[0:1], 0x18
	v_ashrrev_i32_e32 v11, 31, v10
	s_cmp_lg_u32 s3, 0
	s_wait_kmcnt 0x0
	s_delay_alu instid0(VALU_DEP_1)
	v_lshl_add_u64 v[12:13], v[10:11], 2, s[4:5]
	v_and_b32_e32 v11, 3, v0
	global_load_b64 v[16:17], v[12:13], off
	s_wait_loadcnt 0x0
	v_subrev_nc_u32_e32 v0, s12, v16
	v_subrev_nc_u32_e32 v28, s12, v17
	s_delay_alu instid0(VALU_DEP_2) | instskip(NEXT) | instid1(VALU_DEP_1)
	v_add_nc_u32_e32 v29, v0, v11
	v_cmp_lt_i32_e64 s2, v29, v28
	s_cbranch_scc0 .LBB273_12
; %bb.5:
	v_mov_b64_e32 v[0:1], 0
	v_mov_b64_e32 v[14:15], 0
	v_mov_b64_e32 v[18:19], 0
	v_mov_b64_e32 v[12:13], 0
	s_and_saveexec_b32 s3, s2
	s_cbranch_execz .LBB273_14
; %bb.6:
	v_mul_u32_u24_e32 v0, 22, v11
	v_mul_lo_u32 v17, v29, 22
	s_mul_i32 s4, s12, 22
	v_mov_b64_e32 v[14:15], 0
	v_mov_b64_e32 v[18:19], 0
	v_mad_u32 v20, v16, 22, v0
	v_mov_b64_e32 v[0:1], 0
	v_mov_b64_e32 v[12:13], 0
	v_mov_b32_e32 v31, v29
	s_delay_alu instid0(VALU_DEP_4)
	v_subrev_nc_u32_e32 v30, s4, v20
	s_mov_b32 s4, 0
	s_branch .LBB273_8
.LBB273_7:                              ;   in Loop: Header=BB273_8 Depth=1
	v_add_nc_u32_e32 v31, 4, v31
	v_add_nc_u32_e32 v17, 0x58, v17
	;; [unrolled: 1-line block ×3, first 2 shown]
	s_delay_alu instid0(VALU_DEP_3) | instskip(SKIP_1) | instid1(SALU_CYCLE_1)
	v_cmp_ge_i32_e32 vcc_lo, v31, v28
	s_or_b32 s4, vcc_lo, s4
	s_and_not1_b32 exec_lo, exec_lo, s4
	s_cbranch_execz .LBB273_13
.LBB273_8:                              ; =>This Loop Header: Depth=1
                                        ;     Child Loop BB273_10 Depth 2
	global_load_b32 v20, v31, s[6:7] scale_offset
	v_mov_b64_e32 v[24:25], v[14:15]
	v_mov_b64_e32 v[26:27], v[18:19]
	;; [unrolled: 1-line block ×3, first 2 shown]
	s_mov_b32 s5, 0
	s_wait_loadcnt 0x0
	v_subrev_nc_u32_e32 v20, s12, v20
	s_delay_alu instid0(VALU_DEP_1)
	v_mul_lo_u32 v32, v20, 11
	v_mov_b64_e32 v[20:21], v[0:1]
	s_branch .LBB273_10
.LBB273_9:                              ;   in Loop: Header=BB273_8 Depth=1
                                        ; implicit-def: $vgpr22_vgpr23
                                        ; implicit-def: $vgpr26_vgpr27
                                        ; implicit-def: $vgpr24_vgpr25
                                        ; implicit-def: $vgpr20_vgpr21
                                        ; implicit-def: $sgpr5
                                        ; implicit-def: $vgpr32
	s_branch .LBB273_7
.LBB273_10:                             ;   Parent Loop BB273_8 Depth=1
                                        ; =>  This Inner Loop Header: Depth=2
	v_dual_add_nc_u32 v0, s5, v30 :: v_dual_add_nc_u32 v33, s5, v17
	s_cmp_eq_u32 s5, 16
	global_load_b128 v[12:15], v32, s[10:11] scale_offset
	s_clause 0x1
	global_load_b128 v[34:37], v0, s[8:9] scale_offset
	global_load_b128 v[38:41], v0, s[8:9] offset:16 scale_offset
	s_wait_xcnt 0x0
	v_dual_add_nc_u32 v0, 1, v32 :: v_dual_add_nc_u32 v1, 2, v33
	global_load_b128 v[42:45], v0, s[10:11] scale_offset
	s_clause 0x1
	global_load_b128 v[46:49], v1, s[8:9] scale_offset
	global_load_b128 v[50:53], v1, s[8:9] offset:16 scale_offset
	s_wait_xcnt 0x0
	v_dual_add_nc_u32 v0, 2, v32 :: v_dual_add_nc_u32 v1, 4, v33
	global_load_b128 v[54:57], v0, s[10:11] scale_offset
	s_clause 0x1
	global_load_b128 v[58:61], v1, s[8:9] scale_offset
	global_load_b128 v[62:65], v1, s[8:9] offset:16 scale_offset
	s_wait_loadcnt 0x7
	v_fmac_f64_e32 v[20:21], v[36:37], v[12:13]
	s_wait_loadcnt 0x6
	v_fmac_f64_e32 v[22:23], v[40:41], v[12:13]
	v_fmac_f64_e32 v[24:25], v[34:35], v[12:13]
	;; [unrolled: 1-line block ×3, first 2 shown]
	s_delay_alu instid0(VALU_DEP_4) | instskip(NEXT) | instid1(VALU_DEP_4)
	v_fmac_f64_e32 v[20:21], v[34:35], v[14:15]
	v_fmac_f64_e32 v[22:23], v[38:39], v[14:15]
	s_wait_xcnt 0x0
	s_delay_alu instid0(VALU_DEP_4) | instskip(NEXT) | instid1(VALU_DEP_4)
	v_fma_f64 v[0:1], -v[36:37], v[14:15], v[24:25]
	v_fma_f64 v[12:13], -v[40:41], v[14:15], v[26:27]
	s_wait_loadcnt 0x4
	s_delay_alu instid0(VALU_DEP_4) | instskip(SKIP_1) | instid1(VALU_DEP_4)
	v_fmac_f64_e32 v[20:21], v[48:49], v[42:43]
	s_wait_loadcnt 0x3
	v_fmac_f64_e32 v[22:23], v[52:53], v[42:43]
	s_delay_alu instid0(VALU_DEP_4) | instskip(NEXT) | instid1(VALU_DEP_4)
	v_fmac_f64_e32 v[0:1], v[46:47], v[42:43]
	v_fmac_f64_e32 v[12:13], v[50:51], v[42:43]
	s_delay_alu instid0(VALU_DEP_4) | instskip(NEXT) | instid1(VALU_DEP_4)
	v_fmac_f64_e32 v[20:21], v[46:47], v[44:45]
	v_fmac_f64_e32 v[22:23], v[50:51], v[44:45]
	s_delay_alu instid0(VALU_DEP_4) | instskip(NEXT) | instid1(VALU_DEP_4)
	v_fma_f64 v[14:15], -v[48:49], v[44:45], v[0:1]
	v_fma_f64 v[18:19], -v[52:53], v[44:45], v[12:13]
	s_wait_loadcnt 0x1
	s_delay_alu instid0(VALU_DEP_4) | instskip(SKIP_1) | instid1(VALU_DEP_4)
	v_fmac_f64_e32 v[20:21], v[60:61], v[54:55]
	s_wait_loadcnt 0x0
	v_fmac_f64_e32 v[22:23], v[64:65], v[54:55]
	s_delay_alu instid0(VALU_DEP_4) | instskip(NEXT) | instid1(VALU_DEP_4)
	v_fmac_f64_e32 v[14:15], v[58:59], v[54:55]
	v_fmac_f64_e32 v[18:19], v[62:63], v[54:55]
	s_delay_alu instid0(VALU_DEP_4) | instskip(NEXT) | instid1(VALU_DEP_4)
	v_mov_b64_e32 v[0:1], v[20:21]
	v_mov_b64_e32 v[12:13], v[22:23]
	s_delay_alu instid0(VALU_DEP_4) | instskip(NEXT) | instid1(VALU_DEP_4)
	v_fma_f64 v[14:15], -v[60:61], v[56:57], v[14:15]
	v_fma_f64 v[18:19], -v[64:65], v[56:57], v[18:19]
	s_delay_alu instid0(VALU_DEP_4) | instskip(NEXT) | instid1(VALU_DEP_4)
	v_fmac_f64_e32 v[0:1], v[58:59], v[56:57]
	v_fmac_f64_e32 v[12:13], v[62:63], v[56:57]
	s_cbranch_scc1 .LBB273_9
; %bb.11:                               ;   in Loop: Header=BB273_10 Depth=2
	v_dual_add_nc_u32 v20, 3, v32 :: v_dual_add_nc_u32 v21, 6, v33
	s_add_co_i32 s5, s5, 8
	global_load_b128 v[34:37], v20, s[10:11] scale_offset
	s_clause 0x1
	global_load_b128 v[38:41], v21, s[8:9] scale_offset
	global_load_b128 v[42:45], v21, s[8:9] offset:16 scale_offset
	s_wait_loadcnt 0x1
	v_dual_fma_f64 v[24:25], v[38:39], v[34:35], v[14:15] :: v_dual_add_nc_u32 v32, 4, v32
	s_wait_xcnt 0x0
	v_fma_f64 v[20:21], v[40:41], v[34:35], v[0:1]
	s_wait_loadcnt 0x0
	v_fma_f64 v[26:27], v[42:43], v[34:35], v[18:19]
	v_fma_f64 v[22:23], v[44:45], v[34:35], v[12:13]
	s_delay_alu instid0(VALU_DEP_4) | instskip(NEXT) | instid1(VALU_DEP_4)
	v_fma_f64 v[24:25], -v[40:41], v[36:37], v[24:25]
	v_fmac_f64_e32 v[20:21], v[38:39], v[36:37]
	s_delay_alu instid0(VALU_DEP_4) | instskip(NEXT) | instid1(VALU_DEP_4)
	v_fma_f64 v[26:27], -v[44:45], v[36:37], v[26:27]
	v_fmac_f64_e32 v[22:23], v[42:43], v[36:37]
	s_cbranch_execnz .LBB273_10
	s_branch .LBB273_7
.LBB273_12:
                                        ; implicit-def: $vgpr0_vgpr1
                                        ; implicit-def: $vgpr14_vgpr15
                                        ; implicit-def: $vgpr18_vgpr19
                                        ; implicit-def: $vgpr12_vgpr13
	s_branch .LBB273_15
.LBB273_13:
	s_or_b32 exec_lo, exec_lo, s4
.LBB273_14:
	s_delay_alu instid0(SALU_CYCLE_1)
	s_or_b32 exec_lo, exec_lo, s3
	s_cbranch_execnz .LBB273_24
.LBB273_15:
	v_mov_b64_e32 v[0:1], 0
	v_mov_b64_e32 v[14:15], 0
	;; [unrolled: 1-line block ×4, first 2 shown]
	s_and_saveexec_b32 s3, s2
	s_cbranch_execz .LBB273_23
; %bb.16:
	v_mul_u32_u24_e32 v0, 22, v11
	v_mul_lo_u32 v26, v29, 22
	s_mul_i32 s2, s12, 22
	v_mov_b64_e32 v[14:15], 0
	v_mov_b64_e32 v[18:19], 0
	v_mad_u32 v16, v16, 22, v0
	v_mov_b64_e32 v[0:1], 0
	v_mov_b64_e32 v[12:13], 0
	s_delay_alu instid0(VALU_DEP_3)
	v_subrev_nc_u32_e32 v27, s2, v16
	s_mov_b32 s2, 0
	s_branch .LBB273_18
.LBB273_17:                             ;   in Loop: Header=BB273_18 Depth=1
	v_add_nc_u32_e32 v29, 4, v29
	v_add_nc_u32_e32 v26, 0x58, v26
	v_add_nc_u32_e32 v27, 0x58, v27
	s_delay_alu instid0(VALU_DEP_3) | instskip(SKIP_1) | instid1(SALU_CYCLE_1)
	v_cmp_ge_i32_e32 vcc_lo, v29, v28
	s_or_b32 s2, vcc_lo, s2
	s_and_not1_b32 exec_lo, exec_lo, s2
	s_cbranch_execz .LBB273_22
.LBB273_18:                             ; =>This Loop Header: Depth=1
                                        ;     Child Loop BB273_20 Depth 2
	global_load_b32 v16, v29, s[6:7] scale_offset
	v_mov_b64_e32 v[22:23], v[14:15]
	v_mov_b64_e32 v[24:25], v[18:19]
	;; [unrolled: 1-line block ×3, first 2 shown]
	s_mov_b32 s4, 0
	s_wait_loadcnt 0x0
	v_subrev_nc_u32_e32 v16, s12, v16
	s_delay_alu instid0(VALU_DEP_1)
	v_mul_lo_u32 v30, v16, 11
	v_mov_b64_e32 v[16:17], v[0:1]
	s_branch .LBB273_20
.LBB273_19:                             ;   in Loop: Header=BB273_20 Depth=2
	s_and_not1_b32 vcc_lo, exec_lo, s5
	s_cbranch_vccz .LBB273_17
.LBB273_20:                             ;   Parent Loop BB273_18 Depth=1
                                        ; =>  This Inner Loop Header: Depth=2
	v_dual_add_nc_u32 v31, s4, v26 :: v_dual_add_nc_u32 v0, s4, v27
	s_delay_alu instid0(VALU_DEP_3) | instskip(SKIP_2) | instid1(VALU_DEP_2)
	v_add_nc_u32_e32 v32, s4, v30
	s_cmp_eq_u32 s4, 8
	s_mov_b32 s5, -1
	v_add_nc_u32_e32 v1, 11, v31
	global_load_b128 v[12:15], v0, s[8:9] scale_offset
	global_load_b128 v[34:37], v32, s[10:11] scale_offset
	global_load_b128 v[38:41], v1, s[8:9] scale_offset
	s_wait_xcnt 0x0
	v_dual_add_nc_u32 v1, 1, v32 :: v_dual_add_nc_u32 v18, 12, v31
	global_load_b128 v[42:45], v0, s[8:9] offset:16 scale_offset
	global_load_b128 v[46:49], v1, s[10:11] scale_offset
	global_load_b128 v[50:53], v18, s[8:9] scale_offset
	s_wait_xcnt 0x1
	v_dual_add_nc_u32 v0, 2, v31 :: v_dual_add_nc_u32 v1, 2, v32
	global_load_b128 v[54:57], v0, s[8:9] scale_offset
	global_load_b128 v[58:61], v1, s[10:11] scale_offset
	global_load_b128 v[62:65], v18, s[8:9] offset:16 scale_offset
	s_wait_loadcnt 0x7
	v_fmac_f64_e32 v[16:17], v[14:15], v[34:35]
	s_wait_loadcnt 0x6
	v_fmac_f64_e32 v[20:21], v[40:41], v[34:35]
	v_fmac_f64_e32 v[22:23], v[12:13], v[34:35]
	;; [unrolled: 1-line block ×3, first 2 shown]
	s_delay_alu instid0(VALU_DEP_4) | instskip(NEXT) | instid1(VALU_DEP_4)
	v_fmac_f64_e32 v[16:17], v[12:13], v[36:37]
	v_fmac_f64_e32 v[20:21], v[38:39], v[36:37]
	s_wait_xcnt 0x1
	s_delay_alu instid0(VALU_DEP_4) | instskip(NEXT) | instid1(VALU_DEP_4)
	v_fma_f64 v[0:1], -v[14:15], v[36:37], v[22:23]
	v_fma_f64 v[12:13], -v[40:41], v[36:37], v[24:25]
                                        ; implicit-def: $vgpr24_vgpr25
                                        ; implicit-def: $vgpr22_vgpr23
	s_wait_loadcnt 0x4
	s_delay_alu instid0(VALU_DEP_4) | instskip(SKIP_1) | instid1(VALU_DEP_4)
	v_fmac_f64_e32 v[16:17], v[44:45], v[46:47]
	s_wait_loadcnt 0x3
	v_fmac_f64_e32 v[20:21], v[52:53], v[46:47]
	s_delay_alu instid0(VALU_DEP_4) | instskip(NEXT) | instid1(VALU_DEP_4)
	v_fmac_f64_e32 v[0:1], v[42:43], v[46:47]
	v_fmac_f64_e32 v[12:13], v[50:51], v[46:47]
	s_delay_alu instid0(VALU_DEP_4) | instskip(NEXT) | instid1(VALU_DEP_4)
	v_fmac_f64_e32 v[16:17], v[42:43], v[48:49]
	v_fmac_f64_e32 v[20:21], v[50:51], v[48:49]
	s_delay_alu instid0(VALU_DEP_4) | instskip(SKIP_1) | instid1(VALU_DEP_4)
	v_fma_f64 v[14:15], -v[44:45], v[48:49], v[0:1]
	s_wait_xcnt 0x0
	v_fma_f64 v[18:19], -v[52:53], v[48:49], v[12:13]
	s_wait_loadcnt 0x1
	s_delay_alu instid0(VALU_DEP_4) | instskip(SKIP_1) | instid1(VALU_DEP_4)
	v_fmac_f64_e32 v[16:17], v[56:57], v[58:59]
	s_wait_loadcnt 0x0
	v_fmac_f64_e32 v[20:21], v[64:65], v[58:59]
	s_delay_alu instid0(VALU_DEP_4) | instskip(NEXT) | instid1(VALU_DEP_4)
	v_fmac_f64_e32 v[14:15], v[54:55], v[58:59]
	v_fmac_f64_e32 v[18:19], v[62:63], v[58:59]
	s_delay_alu instid0(VALU_DEP_4) | instskip(NEXT) | instid1(VALU_DEP_4)
	v_mov_b64_e32 v[0:1], v[16:17]
	v_mov_b64_e32 v[12:13], v[20:21]
	s_delay_alu instid0(VALU_DEP_4) | instskip(NEXT) | instid1(VALU_DEP_4)
	v_fma_f64 v[14:15], -v[56:57], v[60:61], v[14:15]
	v_fma_f64 v[18:19], -v[64:65], v[60:61], v[18:19]
                                        ; implicit-def: $vgpr20_vgpr21
                                        ; implicit-def: $vgpr16_vgpr17
	s_delay_alu instid0(VALU_DEP_4) | instskip(NEXT) | instid1(VALU_DEP_4)
	v_fmac_f64_e32 v[0:1], v[54:55], v[60:61]
	v_fmac_f64_e32 v[12:13], v[62:63], v[60:61]
	s_cbranch_scc1 .LBB273_19
; %bb.21:                               ;   in Loop: Header=BB273_20 Depth=2
	v_dual_add_nc_u32 v16, 3, v31 :: v_dual_add_nc_u32 v17, 3, v32
	v_add_nc_u32_e32 v20, 14, v31
	s_add_co_i32 s4, s4, 4
	s_mov_b32 s5, 0
	global_load_b128 v[32:35], v16, s[8:9] scale_offset
	global_load_b128 v[36:39], v17, s[10:11] scale_offset
	;; [unrolled: 1-line block ×3, first 2 shown]
	s_wait_loadcnt 0x1
	v_fma_f64 v[22:23], v[32:33], v[36:37], v[14:15]
	v_fma_f64 v[16:17], v[34:35], v[36:37], v[0:1]
	s_wait_loadcnt 0x0
	v_fma_f64 v[24:25], v[40:41], v[36:37], v[18:19]
	v_fma_f64 v[20:21], v[42:43], v[36:37], v[12:13]
	s_delay_alu instid0(VALU_DEP_4) | instskip(NEXT) | instid1(VALU_DEP_4)
	v_fma_f64 v[22:23], -v[34:35], v[38:39], v[22:23]
	v_fmac_f64_e32 v[16:17], v[32:33], v[38:39]
	s_delay_alu instid0(VALU_DEP_4) | instskip(NEXT) | instid1(VALU_DEP_4)
	v_fma_f64 v[24:25], -v[42:43], v[38:39], v[24:25]
	v_fmac_f64_e32 v[20:21], v[40:41], v[38:39]
	s_branch .LBB273_19
.LBB273_22:
	s_or_b32 exec_lo, exec_lo, s2
.LBB273_23:
	s_delay_alu instid0(SALU_CYCLE_1)
	s_or_b32 exec_lo, exec_lo, s3
.LBB273_24:
	v_mbcnt_lo_u32_b32 v28, -1, 0
	s_delay_alu instid0(VALU_DEP_1) | instskip(NEXT) | instid1(VALU_DEP_1)
	v_xor_b32_e32 v16, 2, v28
	v_cmp_gt_i32_e32 vcc_lo, 32, v16
	v_cndmask_b32_e32 v16, v28, v16, vcc_lo
	s_delay_alu instid0(VALU_DEP_1)
	v_lshlrev_b32_e32 v20, 2, v16
	ds_bpermute_b32 v16, v20, v14
	ds_bpermute_b32 v17, v20, v15
	;; [unrolled: 1-line block ×8, first 2 shown]
	s_wait_dscnt 0x6
	v_add_f64_e32 v[20:21], v[14:15], v[16:17]
	s_wait_dscnt 0x4
	v_dual_add_f64 v[16:17], v[0:1], v[22:23] :: v_dual_bitop2_b32 v0, 1, v28 bitop3:0x14
	s_wait_dscnt 0x2
	v_add_f64_e32 v[14:15], v[18:19], v[24:25]
	s_wait_dscnt 0x0
	v_add_f64_e32 v[18:19], v[12:13], v[26:27]
	v_cmp_gt_i32_e32 vcc_lo, 32, v0
	v_cndmask_b32_e32 v0, v28, v0, vcc_lo
	v_cmp_eq_u32_e32 vcc_lo, 3, v11
	s_delay_alu instid0(VALU_DEP_2)
	v_lshlrev_b32_e32 v23, 2, v0
	ds_bpermute_b32 v0, v23, v20
	ds_bpermute_b32 v1, v23, v21
	;; [unrolled: 1-line block ×8, first 2 shown]
	s_and_b32 exec_lo, exec_lo, vcc_lo
	s_cbranch_execz .LBB273_29
; %bb.25:
	v_cmp_eq_f64_e32 vcc_lo, 0, v[6:7]
	v_cmp_eq_f64_e64 s2, 0, v[8:9]
	s_wait_dscnt 0x6
	v_add_f64_e32 v[0:1], v[20:21], v[0:1]
	s_wait_dscnt 0x4
	v_add_f64_e32 v[16:17], v[16:17], v[24:25]
	;; [unrolled: 2-line block ×4, first 2 shown]
	s_load_b64 s[0:1], s[0:1], 0x48
	s_and_b32 s2, vcc_lo, s2
	s_delay_alu instid0(SALU_CYCLE_1) | instskip(NEXT) | instid1(SALU_CYCLE_1)
	s_and_saveexec_b32 s3, s2
	s_xor_b32 s2, exec_lo, s3
	s_cbranch_execz .LBB273_27
; %bb.26:
	s_delay_alu instid0(VALU_DEP_3) | instskip(SKIP_1) | instid1(VALU_DEP_3)
	v_mul_f64_e64 v[6:7], v[16:17], -v[4:5]
	v_mul_f64_e32 v[8:9], v[2:3], v[16:17]
	v_mul_f64_e64 v[16:17], v[14:15], -v[4:5]
	v_mul_f64_e32 v[18:19], v[2:3], v[14:15]
                                        ; implicit-def: $vgpr14_vgpr15
	s_delay_alu instid0(VALU_DEP_4) | instskip(NEXT) | instid1(VALU_DEP_4)
	v_fmac_f64_e32 v[6:7], v[2:3], v[0:1]
	v_fmac_f64_e32 v[8:9], v[4:5], v[0:1]
	s_delay_alu instid0(VALU_DEP_4) | instskip(NEXT) | instid1(VALU_DEP_4)
	v_fmac_f64_e32 v[16:17], v[2:3], v[12:13]
	v_fmac_f64_e32 v[18:19], v[4:5], v[12:13]
	v_lshlrev_b32_e32 v0, 1, v10
                                        ; implicit-def: $vgpr10
                                        ; implicit-def: $vgpr12_vgpr13
                                        ; implicit-def: $vgpr4_vgpr5
	s_wait_kmcnt 0x0
	s_clause 0x1
	global_store_b128 v0, v[6:9], s[0:1] scale_offset
	global_store_b128 v0, v[16:19], s[0:1] offset:16 scale_offset
                                        ; implicit-def: $vgpr0_vgpr1
                                        ; implicit-def: $vgpr16_vgpr17
                                        ; implicit-def: $vgpr8_vgpr9
.LBB273_27:
	s_wait_xcnt 0x0
	s_and_not1_saveexec_b32 s2, s2
	s_cbranch_execz .LBB273_29
; %bb.28:
	s_delay_alu instid0(VALU_DEP_3) | instskip(SKIP_1) | instid1(VALU_DEP_3)
	v_dual_mul_f64 v[26:27], v[16:17], -v[4:5] :: v_dual_lshlrev_b32 v30, 1, v10
	v_mul_f64_e32 v[16:17], v[2:3], v[16:17]
	v_mul_f64_e64 v[28:29], v[14:15], -v[4:5]
	v_mul_f64_e32 v[10:11], v[2:3], v[14:15]
	s_wait_kmcnt 0x0
	s_clause 0x1
	global_load_b128 v[18:21], v30, s[0:1] scale_offset
	global_load_b128 v[22:25], v30, s[0:1] offset:16 scale_offset
	v_fmac_f64_e32 v[26:27], v[2:3], v[0:1]
	v_fmac_f64_e32 v[16:17], v[4:5], v[0:1]
	;; [unrolled: 1-line block ×4, first 2 shown]
	s_wait_loadcnt 0x1
	s_delay_alu instid0(VALU_DEP_4) | instskip(NEXT) | instid1(VALU_DEP_4)
	v_fmac_f64_e32 v[26:27], v[6:7], v[18:19]
	v_fmac_f64_e32 v[16:17], v[8:9], v[18:19]
	s_wait_loadcnt 0x0
	s_delay_alu instid0(VALU_DEP_4) | instskip(NEXT) | instid1(VALU_DEP_4)
	v_fmac_f64_e32 v[28:29], v[6:7], v[22:23]
	v_fmac_f64_e32 v[10:11], v[8:9], v[22:23]
	s_delay_alu instid0(VALU_DEP_4) | instskip(NEXT) | instid1(VALU_DEP_4)
	v_fma_f64 v[14:15], -v[8:9], v[20:21], v[26:27]
	v_fmac_f64_e32 v[16:17], v[6:7], v[20:21]
	s_delay_alu instid0(VALU_DEP_4) | instskip(NEXT) | instid1(VALU_DEP_4)
	v_fma_f64 v[8:9], -v[8:9], v[24:25], v[28:29]
	v_fmac_f64_e32 v[10:11], v[6:7], v[24:25]
	s_clause 0x1
	global_store_b128 v30, v[14:17], s[0:1] scale_offset
	global_store_b128 v30, v[8:11], s[0:1] offset:16 scale_offset
.LBB273_29:
	s_sendmsg sendmsg(MSG_DEALLOC_VGPRS)
	s_endpgm
	.section	.rodata,"a",@progbits
	.p2align	6, 0x0
	.amdhsa_kernel _ZN9rocsparseL19gebsrmvn_2xn_kernelILj128ELj11ELj4E21rocsparse_complex_numIdEEEvi20rocsparse_direction_NS_24const_host_device_scalarIT2_EEPKiS8_PKS5_SA_S6_PS5_21rocsparse_index_base_b
		.amdhsa_group_segment_fixed_size 0
		.amdhsa_private_segment_fixed_size 0
		.amdhsa_kernarg_size 88
		.amdhsa_user_sgpr_count 2
		.amdhsa_user_sgpr_dispatch_ptr 0
		.amdhsa_user_sgpr_queue_ptr 0
		.amdhsa_user_sgpr_kernarg_segment_ptr 1
		.amdhsa_user_sgpr_dispatch_id 0
		.amdhsa_user_sgpr_kernarg_preload_length 0
		.amdhsa_user_sgpr_kernarg_preload_offset 0
		.amdhsa_user_sgpr_private_segment_size 0
		.amdhsa_wavefront_size32 1
		.amdhsa_uses_dynamic_stack 0
		.amdhsa_enable_private_segment 0
		.amdhsa_system_sgpr_workgroup_id_x 1
		.amdhsa_system_sgpr_workgroup_id_y 0
		.amdhsa_system_sgpr_workgroup_id_z 0
		.amdhsa_system_sgpr_workgroup_info 0
		.amdhsa_system_vgpr_workitem_id 0
		.amdhsa_next_free_vgpr 66
		.amdhsa_next_free_sgpr 14
		.amdhsa_named_barrier_count 0
		.amdhsa_reserve_vcc 1
		.amdhsa_float_round_mode_32 0
		.amdhsa_float_round_mode_16_64 0
		.amdhsa_float_denorm_mode_32 3
		.amdhsa_float_denorm_mode_16_64 3
		.amdhsa_fp16_overflow 0
		.amdhsa_memory_ordered 1
		.amdhsa_forward_progress 1
		.amdhsa_inst_pref_size 19
		.amdhsa_round_robin_scheduling 0
		.amdhsa_exception_fp_ieee_invalid_op 0
		.amdhsa_exception_fp_denorm_src 0
		.amdhsa_exception_fp_ieee_div_zero 0
		.amdhsa_exception_fp_ieee_overflow 0
		.amdhsa_exception_fp_ieee_underflow 0
		.amdhsa_exception_fp_ieee_inexact 0
		.amdhsa_exception_int_div_zero 0
	.end_amdhsa_kernel
	.section	.text._ZN9rocsparseL19gebsrmvn_2xn_kernelILj128ELj11ELj4E21rocsparse_complex_numIdEEEvi20rocsparse_direction_NS_24const_host_device_scalarIT2_EEPKiS8_PKS5_SA_S6_PS5_21rocsparse_index_base_b,"axG",@progbits,_ZN9rocsparseL19gebsrmvn_2xn_kernelILj128ELj11ELj4E21rocsparse_complex_numIdEEEvi20rocsparse_direction_NS_24const_host_device_scalarIT2_EEPKiS8_PKS5_SA_S6_PS5_21rocsparse_index_base_b,comdat
.Lfunc_end273:
	.size	_ZN9rocsparseL19gebsrmvn_2xn_kernelILj128ELj11ELj4E21rocsparse_complex_numIdEEEvi20rocsparse_direction_NS_24const_host_device_scalarIT2_EEPKiS8_PKS5_SA_S6_PS5_21rocsparse_index_base_b, .Lfunc_end273-_ZN9rocsparseL19gebsrmvn_2xn_kernelILj128ELj11ELj4E21rocsparse_complex_numIdEEEvi20rocsparse_direction_NS_24const_host_device_scalarIT2_EEPKiS8_PKS5_SA_S6_PS5_21rocsparse_index_base_b
                                        ; -- End function
	.set _ZN9rocsparseL19gebsrmvn_2xn_kernelILj128ELj11ELj4E21rocsparse_complex_numIdEEEvi20rocsparse_direction_NS_24const_host_device_scalarIT2_EEPKiS8_PKS5_SA_S6_PS5_21rocsparse_index_base_b.num_vgpr, 66
	.set _ZN9rocsparseL19gebsrmvn_2xn_kernelILj128ELj11ELj4E21rocsparse_complex_numIdEEEvi20rocsparse_direction_NS_24const_host_device_scalarIT2_EEPKiS8_PKS5_SA_S6_PS5_21rocsparse_index_base_b.num_agpr, 0
	.set _ZN9rocsparseL19gebsrmvn_2xn_kernelILj128ELj11ELj4E21rocsparse_complex_numIdEEEvi20rocsparse_direction_NS_24const_host_device_scalarIT2_EEPKiS8_PKS5_SA_S6_PS5_21rocsparse_index_base_b.numbered_sgpr, 14
	.set _ZN9rocsparseL19gebsrmvn_2xn_kernelILj128ELj11ELj4E21rocsparse_complex_numIdEEEvi20rocsparse_direction_NS_24const_host_device_scalarIT2_EEPKiS8_PKS5_SA_S6_PS5_21rocsparse_index_base_b.num_named_barrier, 0
	.set _ZN9rocsparseL19gebsrmvn_2xn_kernelILj128ELj11ELj4E21rocsparse_complex_numIdEEEvi20rocsparse_direction_NS_24const_host_device_scalarIT2_EEPKiS8_PKS5_SA_S6_PS5_21rocsparse_index_base_b.private_seg_size, 0
	.set _ZN9rocsparseL19gebsrmvn_2xn_kernelILj128ELj11ELj4E21rocsparse_complex_numIdEEEvi20rocsparse_direction_NS_24const_host_device_scalarIT2_EEPKiS8_PKS5_SA_S6_PS5_21rocsparse_index_base_b.uses_vcc, 1
	.set _ZN9rocsparseL19gebsrmvn_2xn_kernelILj128ELj11ELj4E21rocsparse_complex_numIdEEEvi20rocsparse_direction_NS_24const_host_device_scalarIT2_EEPKiS8_PKS5_SA_S6_PS5_21rocsparse_index_base_b.uses_flat_scratch, 0
	.set _ZN9rocsparseL19gebsrmvn_2xn_kernelILj128ELj11ELj4E21rocsparse_complex_numIdEEEvi20rocsparse_direction_NS_24const_host_device_scalarIT2_EEPKiS8_PKS5_SA_S6_PS5_21rocsparse_index_base_b.has_dyn_sized_stack, 0
	.set _ZN9rocsparseL19gebsrmvn_2xn_kernelILj128ELj11ELj4E21rocsparse_complex_numIdEEEvi20rocsparse_direction_NS_24const_host_device_scalarIT2_EEPKiS8_PKS5_SA_S6_PS5_21rocsparse_index_base_b.has_recursion, 0
	.set _ZN9rocsparseL19gebsrmvn_2xn_kernelILj128ELj11ELj4E21rocsparse_complex_numIdEEEvi20rocsparse_direction_NS_24const_host_device_scalarIT2_EEPKiS8_PKS5_SA_S6_PS5_21rocsparse_index_base_b.has_indirect_call, 0
	.section	.AMDGPU.csdata,"",@progbits
; Kernel info:
; codeLenInByte = 2344
; TotalNumSgprs: 16
; NumVgprs: 66
; ScratchSize: 0
; MemoryBound: 0
; FloatMode: 240
; IeeeMode: 1
; LDSByteSize: 0 bytes/workgroup (compile time only)
; SGPRBlocks: 0
; VGPRBlocks: 4
; NumSGPRsForWavesPerEU: 16
; NumVGPRsForWavesPerEU: 66
; NamedBarCnt: 0
; Occupancy: 12
; WaveLimiterHint : 1
; COMPUTE_PGM_RSRC2:SCRATCH_EN: 0
; COMPUTE_PGM_RSRC2:USER_SGPR: 2
; COMPUTE_PGM_RSRC2:TRAP_HANDLER: 0
; COMPUTE_PGM_RSRC2:TGID_X_EN: 1
; COMPUTE_PGM_RSRC2:TGID_Y_EN: 0
; COMPUTE_PGM_RSRC2:TGID_Z_EN: 0
; COMPUTE_PGM_RSRC2:TIDIG_COMP_CNT: 0
	.section	.text._ZN9rocsparseL19gebsrmvn_2xn_kernelILj128ELj11ELj8E21rocsparse_complex_numIdEEEvi20rocsparse_direction_NS_24const_host_device_scalarIT2_EEPKiS8_PKS5_SA_S6_PS5_21rocsparse_index_base_b,"axG",@progbits,_ZN9rocsparseL19gebsrmvn_2xn_kernelILj128ELj11ELj8E21rocsparse_complex_numIdEEEvi20rocsparse_direction_NS_24const_host_device_scalarIT2_EEPKiS8_PKS5_SA_S6_PS5_21rocsparse_index_base_b,comdat
	.globl	_ZN9rocsparseL19gebsrmvn_2xn_kernelILj128ELj11ELj8E21rocsparse_complex_numIdEEEvi20rocsparse_direction_NS_24const_host_device_scalarIT2_EEPKiS8_PKS5_SA_S6_PS5_21rocsparse_index_base_b ; -- Begin function _ZN9rocsparseL19gebsrmvn_2xn_kernelILj128ELj11ELj8E21rocsparse_complex_numIdEEEvi20rocsparse_direction_NS_24const_host_device_scalarIT2_EEPKiS8_PKS5_SA_S6_PS5_21rocsparse_index_base_b
	.p2align	8
	.type	_ZN9rocsparseL19gebsrmvn_2xn_kernelILj128ELj11ELj8E21rocsparse_complex_numIdEEEvi20rocsparse_direction_NS_24const_host_device_scalarIT2_EEPKiS8_PKS5_SA_S6_PS5_21rocsparse_index_base_b,@function
_ZN9rocsparseL19gebsrmvn_2xn_kernelILj128ELj11ELj8E21rocsparse_complex_numIdEEEvi20rocsparse_direction_NS_24const_host_device_scalarIT2_EEPKiS8_PKS5_SA_S6_PS5_21rocsparse_index_base_b: ; @_ZN9rocsparseL19gebsrmvn_2xn_kernelILj128ELj11ELj8E21rocsparse_complex_numIdEEEvi20rocsparse_direction_NS_24const_host_device_scalarIT2_EEPKiS8_PKS5_SA_S6_PS5_21rocsparse_index_base_b
; %bb.0:
	s_clause 0x1
	s_load_b64 s[12:13], s[0:1], 0x50
	s_load_b64 s[2:3], s[0:1], 0x8
	v_mov_b32_e32 v1, 0
	s_add_nc_u64 s[4:5], s[0:1], 8
	s_load_b64 s[6:7], s[0:1], 0x38
	s_wait_kmcnt 0x0
	s_bitcmp1_b32 s13, 0
	s_cselect_b32 s3, s5, s3
	s_cselect_b32 s2, s4, s2
	flat_load_b128 v[2:5], v1, s[2:3]
	s_wait_xcnt 0x0
	s_add_nc_u64 s[2:3], s[0:1], 56
	s_delay_alu instid0(SALU_CYCLE_1)
	s_cselect_b32 s3, s3, s7
	s_cselect_b32 s2, s2, s6
	flat_load_b128 v[6:9], v1, s[2:3]
	s_wait_loadcnt_dscnt 0x101
	v_cmp_eq_f64_e32 vcc_lo, 0, v[2:3]
	s_wait_xcnt 0x0
	v_cmp_eq_f64_e64 s2, 0, v[4:5]
	s_and_b32 s4, vcc_lo, s2
	s_mov_b32 s2, -1
	s_and_saveexec_b32 s3, s4
	s_cbranch_execz .LBB274_2
; %bb.1:
	s_wait_loadcnt_dscnt 0x0
	v_cmp_neq_f64_e32 vcc_lo, 1.0, v[6:7]
	v_cmp_neq_f64_e64 s2, 0, v[8:9]
	s_or_b32 s2, vcc_lo, s2
	s_delay_alu instid0(SALU_CYCLE_1)
	s_or_not1_b32 s2, s2, exec_lo
.LBB274_2:
	s_or_b32 exec_lo, exec_lo, s3
	s_and_saveexec_b32 s3, s2
	s_cbranch_execz .LBB274_29
; %bb.3:
	s_load_b64 s[2:3], s[0:1], 0x0
	s_bfe_u32 s4, ttmp6, 0x4000c
	s_and_b32 s5, ttmp6, 15
	s_add_co_i32 s4, s4, 1
	s_getreg_b32 s6, hwreg(HW_REG_IB_STS2, 6, 4)
	s_mul_i32 s4, ttmp9, s4
	v_lshrrev_b32_e32 v1, 3, v0
	s_add_co_i32 s5, s5, s4
	s_cmp_eq_u32 s6, 0
	s_cselect_b32 s4, ttmp9, s5
	s_delay_alu instid0(VALU_DEP_1) | instid1(SALU_CYCLE_1)
	v_lshl_or_b32 v10, s4, 4, v1
	s_wait_kmcnt 0x0
	s_delay_alu instid0(VALU_DEP_1)
	v_cmp_gt_i32_e32 vcc_lo, s2, v10
	s_and_b32 exec_lo, exec_lo, vcc_lo
	s_cbranch_execz .LBB274_29
; %bb.4:
	s_load_b256 s[4:11], s[0:1], 0x18
	v_ashrrev_i32_e32 v11, 31, v10
	s_cmp_lg_u32 s3, 0
	s_wait_kmcnt 0x0
	s_delay_alu instid0(VALU_DEP_1)
	v_lshl_add_u64 v[12:13], v[10:11], 2, s[4:5]
	v_and_b32_e32 v11, 7, v0
	global_load_b64 v[18:19], v[12:13], off
	s_wait_loadcnt 0x0
	v_subrev_nc_u32_e32 v0, s12, v18
	v_subrev_nc_u32_e32 v28, s12, v19
	s_delay_alu instid0(VALU_DEP_2) | instskip(NEXT) | instid1(VALU_DEP_1)
	v_add_nc_u32_e32 v29, v0, v11
	v_cmp_lt_i32_e64 s2, v29, v28
	s_cbranch_scc0 .LBB274_12
; %bb.5:
	v_mov_b64_e32 v[0:1], 0
	v_mov_b64_e32 v[14:15], 0
	v_mov_b64_e32 v[16:17], 0
	v_mov_b64_e32 v[12:13], 0
	s_and_saveexec_b32 s3, s2
	s_cbranch_execz .LBB274_14
; %bb.6:
	v_mul_u32_u24_e32 v0, 22, v11
	v_mul_lo_u32 v19, v29, 22
	s_mul_i32 s4, s12, 22
	v_mov_b64_e32 v[14:15], 0
	v_mov_b64_e32 v[16:17], 0
	v_mad_u32 v20, v18, 22, v0
	v_mov_b64_e32 v[0:1], 0
	v_mov_b64_e32 v[12:13], 0
	v_mov_b32_e32 v31, v29
	s_delay_alu instid0(VALU_DEP_4)
	v_subrev_nc_u32_e32 v30, s4, v20
	s_mov_b32 s4, 0
	s_branch .LBB274_8
.LBB274_7:                              ;   in Loop: Header=BB274_8 Depth=1
	v_add_nc_u32_e32 v31, 8, v31
	v_add_nc_u32_e32 v19, 0xb0, v19
	;; [unrolled: 1-line block ×3, first 2 shown]
	s_delay_alu instid0(VALU_DEP_3) | instskip(SKIP_1) | instid1(SALU_CYCLE_1)
	v_cmp_ge_i32_e32 vcc_lo, v31, v28
	s_or_b32 s4, vcc_lo, s4
	s_and_not1_b32 exec_lo, exec_lo, s4
	s_cbranch_execz .LBB274_13
.LBB274_8:                              ; =>This Loop Header: Depth=1
                                        ;     Child Loop BB274_10 Depth 2
	global_load_b32 v20, v31, s[6:7] scale_offset
	v_mov_b64_e32 v[24:25], v[14:15]
	v_mov_b64_e32 v[26:27], v[16:17]
	;; [unrolled: 1-line block ×3, first 2 shown]
	s_mov_b32 s5, 0
	s_wait_loadcnt 0x0
	v_subrev_nc_u32_e32 v20, s12, v20
	s_delay_alu instid0(VALU_DEP_1)
	v_mul_lo_u32 v32, v20, 11
	v_mov_b64_e32 v[20:21], v[0:1]
	s_branch .LBB274_10
.LBB274_9:                              ;   in Loop: Header=BB274_8 Depth=1
                                        ; implicit-def: $vgpr22_vgpr23
                                        ; implicit-def: $vgpr26_vgpr27
                                        ; implicit-def: $vgpr24_vgpr25
                                        ; implicit-def: $vgpr20_vgpr21
                                        ; implicit-def: $sgpr5
                                        ; implicit-def: $vgpr32
	s_branch .LBB274_7
.LBB274_10:                             ;   Parent Loop BB274_8 Depth=1
                                        ; =>  This Inner Loop Header: Depth=2
	v_dual_add_nc_u32 v0, s5, v30 :: v_dual_add_nc_u32 v33, s5, v19
	s_cmp_eq_u32 s5, 16
	global_load_b128 v[12:15], v32, s[10:11] scale_offset
	s_clause 0x1
	global_load_b128 v[34:37], v0, s[8:9] scale_offset
	global_load_b128 v[38:41], v0, s[8:9] offset:16 scale_offset
	s_wait_xcnt 0x0
	v_dual_add_nc_u32 v0, 1, v32 :: v_dual_add_nc_u32 v1, 2, v33
	global_load_b128 v[42:45], v0, s[10:11] scale_offset
	s_clause 0x1
	global_load_b128 v[46:49], v1, s[8:9] scale_offset
	global_load_b128 v[50:53], v1, s[8:9] offset:16 scale_offset
	s_wait_xcnt 0x0
	v_dual_add_nc_u32 v0, 2, v32 :: v_dual_add_nc_u32 v1, 4, v33
	global_load_b128 v[54:57], v0, s[10:11] scale_offset
	s_clause 0x1
	global_load_b128 v[58:61], v1, s[8:9] scale_offset
	global_load_b128 v[62:65], v1, s[8:9] offset:16 scale_offset
	s_wait_loadcnt 0x7
	v_fmac_f64_e32 v[20:21], v[36:37], v[12:13]
	s_wait_loadcnt 0x6
	v_fmac_f64_e32 v[22:23], v[40:41], v[12:13]
	v_fmac_f64_e32 v[24:25], v[34:35], v[12:13]
	;; [unrolled: 1-line block ×3, first 2 shown]
	s_delay_alu instid0(VALU_DEP_4) | instskip(NEXT) | instid1(VALU_DEP_4)
	v_fmac_f64_e32 v[20:21], v[34:35], v[14:15]
	v_fmac_f64_e32 v[22:23], v[38:39], v[14:15]
	s_wait_xcnt 0x0
	s_delay_alu instid0(VALU_DEP_4) | instskip(NEXT) | instid1(VALU_DEP_4)
	v_fma_f64 v[0:1], -v[36:37], v[14:15], v[24:25]
	v_fma_f64 v[12:13], -v[40:41], v[14:15], v[26:27]
	s_wait_loadcnt 0x4
	s_delay_alu instid0(VALU_DEP_4) | instskip(SKIP_1) | instid1(VALU_DEP_4)
	v_fmac_f64_e32 v[20:21], v[48:49], v[42:43]
	s_wait_loadcnt 0x3
	v_fmac_f64_e32 v[22:23], v[52:53], v[42:43]
	s_delay_alu instid0(VALU_DEP_4) | instskip(NEXT) | instid1(VALU_DEP_4)
	v_fmac_f64_e32 v[0:1], v[46:47], v[42:43]
	v_fmac_f64_e32 v[12:13], v[50:51], v[42:43]
	s_delay_alu instid0(VALU_DEP_4) | instskip(NEXT) | instid1(VALU_DEP_4)
	v_fmac_f64_e32 v[20:21], v[46:47], v[44:45]
	v_fmac_f64_e32 v[22:23], v[50:51], v[44:45]
	s_delay_alu instid0(VALU_DEP_4) | instskip(NEXT) | instid1(VALU_DEP_4)
	v_fma_f64 v[14:15], -v[48:49], v[44:45], v[0:1]
	v_fma_f64 v[16:17], -v[52:53], v[44:45], v[12:13]
	s_wait_loadcnt 0x1
	s_delay_alu instid0(VALU_DEP_4) | instskip(SKIP_1) | instid1(VALU_DEP_4)
	v_fmac_f64_e32 v[20:21], v[60:61], v[54:55]
	s_wait_loadcnt 0x0
	v_fmac_f64_e32 v[22:23], v[64:65], v[54:55]
	s_delay_alu instid0(VALU_DEP_4) | instskip(NEXT) | instid1(VALU_DEP_4)
	v_fmac_f64_e32 v[14:15], v[58:59], v[54:55]
	v_fmac_f64_e32 v[16:17], v[62:63], v[54:55]
	s_delay_alu instid0(VALU_DEP_4) | instskip(NEXT) | instid1(VALU_DEP_4)
	v_mov_b64_e32 v[0:1], v[20:21]
	v_mov_b64_e32 v[12:13], v[22:23]
	s_delay_alu instid0(VALU_DEP_4) | instskip(NEXT) | instid1(VALU_DEP_4)
	v_fma_f64 v[14:15], -v[60:61], v[56:57], v[14:15]
	v_fma_f64 v[16:17], -v[64:65], v[56:57], v[16:17]
	s_delay_alu instid0(VALU_DEP_4) | instskip(NEXT) | instid1(VALU_DEP_4)
	v_fmac_f64_e32 v[0:1], v[58:59], v[56:57]
	v_fmac_f64_e32 v[12:13], v[62:63], v[56:57]
	s_cbranch_scc1 .LBB274_9
; %bb.11:                               ;   in Loop: Header=BB274_10 Depth=2
	v_dual_add_nc_u32 v20, 3, v32 :: v_dual_add_nc_u32 v21, 6, v33
	s_add_co_i32 s5, s5, 8
	global_load_b128 v[34:37], v20, s[10:11] scale_offset
	s_clause 0x1
	global_load_b128 v[38:41], v21, s[8:9] scale_offset
	global_load_b128 v[42:45], v21, s[8:9] offset:16 scale_offset
	s_wait_loadcnt 0x1
	v_dual_fma_f64 v[24:25], v[38:39], v[34:35], v[14:15] :: v_dual_add_nc_u32 v32, 4, v32
	s_wait_xcnt 0x0
	v_fma_f64 v[20:21], v[40:41], v[34:35], v[0:1]
	s_wait_loadcnt 0x0
	v_fma_f64 v[26:27], v[42:43], v[34:35], v[16:17]
	v_fma_f64 v[22:23], v[44:45], v[34:35], v[12:13]
	s_delay_alu instid0(VALU_DEP_4) | instskip(NEXT) | instid1(VALU_DEP_4)
	v_fma_f64 v[24:25], -v[40:41], v[36:37], v[24:25]
	v_fmac_f64_e32 v[20:21], v[38:39], v[36:37]
	s_delay_alu instid0(VALU_DEP_4) | instskip(NEXT) | instid1(VALU_DEP_4)
	v_fma_f64 v[26:27], -v[44:45], v[36:37], v[26:27]
	v_fmac_f64_e32 v[22:23], v[42:43], v[36:37]
	s_cbranch_execnz .LBB274_10
	s_branch .LBB274_7
.LBB274_12:
                                        ; implicit-def: $vgpr0_vgpr1
                                        ; implicit-def: $vgpr14_vgpr15
                                        ; implicit-def: $vgpr16_vgpr17
                                        ; implicit-def: $vgpr12_vgpr13
	s_branch .LBB274_15
.LBB274_13:
	s_or_b32 exec_lo, exec_lo, s4
.LBB274_14:
	s_delay_alu instid0(SALU_CYCLE_1)
	s_or_b32 exec_lo, exec_lo, s3
	s_cbranch_execnz .LBB274_24
.LBB274_15:
	v_mov_b64_e32 v[0:1], 0
	v_mov_b64_e32 v[14:15], 0
	;; [unrolled: 1-line block ×4, first 2 shown]
	s_and_saveexec_b32 s3, s2
	s_cbranch_execz .LBB274_23
; %bb.16:
	v_mul_u32_u24_e32 v0, 22, v11
	v_mul_lo_u32 v26, v29, 22
	s_mul_i32 s2, s12, 22
	v_mov_b64_e32 v[14:15], 0
	v_mov_b64_e32 v[16:17], 0
	v_mad_u32 v18, v18, 22, v0
	v_mov_b64_e32 v[0:1], 0
	v_mov_b64_e32 v[12:13], 0
	s_delay_alu instid0(VALU_DEP_3)
	v_subrev_nc_u32_e32 v27, s2, v18
	s_mov_b32 s2, 0
	s_branch .LBB274_18
.LBB274_17:                             ;   in Loop: Header=BB274_18 Depth=1
	v_add_nc_u32_e32 v29, 8, v29
	v_add_nc_u32_e32 v26, 0xb0, v26
	;; [unrolled: 1-line block ×3, first 2 shown]
	s_delay_alu instid0(VALU_DEP_3) | instskip(SKIP_1) | instid1(SALU_CYCLE_1)
	v_cmp_ge_i32_e32 vcc_lo, v29, v28
	s_or_b32 s2, vcc_lo, s2
	s_and_not1_b32 exec_lo, exec_lo, s2
	s_cbranch_execz .LBB274_22
.LBB274_18:                             ; =>This Loop Header: Depth=1
                                        ;     Child Loop BB274_20 Depth 2
	global_load_b32 v18, v29, s[6:7] scale_offset
	v_mov_b64_e32 v[22:23], v[14:15]
	v_mov_b64_e32 v[24:25], v[16:17]
	v_mov_b64_e32 v[20:21], v[12:13]
	s_mov_b32 s4, 0
	s_wait_loadcnt 0x0
	v_subrev_nc_u32_e32 v18, s12, v18
	s_delay_alu instid0(VALU_DEP_1)
	v_mul_lo_u32 v30, v18, 11
	v_mov_b64_e32 v[18:19], v[0:1]
	s_branch .LBB274_20
.LBB274_19:                             ;   in Loop: Header=BB274_20 Depth=2
	s_and_not1_b32 vcc_lo, exec_lo, s5
	s_cbranch_vccz .LBB274_17
.LBB274_20:                             ;   Parent Loop BB274_18 Depth=1
                                        ; =>  This Inner Loop Header: Depth=2
	v_dual_add_nc_u32 v31, s4, v26 :: v_dual_add_nc_u32 v0, s4, v27
	s_delay_alu instid0(VALU_DEP_3) | instskip(SKIP_2) | instid1(VALU_DEP_2)
	v_add_nc_u32_e32 v32, s4, v30
	s_cmp_eq_u32 s4, 8
	s_mov_b32 s5, -1
	v_add_nc_u32_e32 v1, 11, v31
	global_load_b128 v[12:15], v0, s[8:9] scale_offset
	global_load_b128 v[34:37], v32, s[10:11] scale_offset
	;; [unrolled: 1-line block ×3, first 2 shown]
	s_wait_xcnt 0x0
	v_dual_add_nc_u32 v1, 1, v32 :: v_dual_add_nc_u32 v16, 12, v31
	global_load_b128 v[42:45], v0, s[8:9] offset:16 scale_offset
	global_load_b128 v[46:49], v1, s[10:11] scale_offset
	global_load_b128 v[50:53], v16, s[8:9] scale_offset
	s_wait_xcnt 0x1
	v_dual_add_nc_u32 v0, 2, v31 :: v_dual_add_nc_u32 v1, 2, v32
	global_load_b128 v[54:57], v0, s[8:9] scale_offset
	global_load_b128 v[58:61], v1, s[10:11] scale_offset
	global_load_b128 v[62:65], v16, s[8:9] offset:16 scale_offset
	s_wait_loadcnt 0x7
	v_fmac_f64_e32 v[18:19], v[14:15], v[34:35]
	s_wait_loadcnt 0x6
	v_fmac_f64_e32 v[20:21], v[40:41], v[34:35]
	v_fmac_f64_e32 v[22:23], v[12:13], v[34:35]
	;; [unrolled: 1-line block ×3, first 2 shown]
	s_delay_alu instid0(VALU_DEP_4) | instskip(NEXT) | instid1(VALU_DEP_4)
	v_fmac_f64_e32 v[18:19], v[12:13], v[36:37]
	v_fmac_f64_e32 v[20:21], v[38:39], v[36:37]
	s_wait_xcnt 0x1
	s_delay_alu instid0(VALU_DEP_4) | instskip(NEXT) | instid1(VALU_DEP_4)
	v_fma_f64 v[0:1], -v[14:15], v[36:37], v[22:23]
	v_fma_f64 v[12:13], -v[40:41], v[36:37], v[24:25]
                                        ; implicit-def: $vgpr24_vgpr25
                                        ; implicit-def: $vgpr22_vgpr23
	s_wait_loadcnt 0x4
	s_delay_alu instid0(VALU_DEP_4) | instskip(SKIP_1) | instid1(VALU_DEP_4)
	v_fmac_f64_e32 v[18:19], v[44:45], v[46:47]
	s_wait_loadcnt 0x3
	v_fmac_f64_e32 v[20:21], v[52:53], v[46:47]
	s_delay_alu instid0(VALU_DEP_4) | instskip(NEXT) | instid1(VALU_DEP_4)
	v_fmac_f64_e32 v[0:1], v[42:43], v[46:47]
	v_fmac_f64_e32 v[12:13], v[50:51], v[46:47]
	s_delay_alu instid0(VALU_DEP_4) | instskip(NEXT) | instid1(VALU_DEP_4)
	v_fmac_f64_e32 v[18:19], v[42:43], v[48:49]
	v_fmac_f64_e32 v[20:21], v[50:51], v[48:49]
	s_delay_alu instid0(VALU_DEP_4) | instskip(SKIP_1) | instid1(VALU_DEP_4)
	v_fma_f64 v[14:15], -v[44:45], v[48:49], v[0:1]
	s_wait_xcnt 0x0
	v_fma_f64 v[16:17], -v[52:53], v[48:49], v[12:13]
	s_wait_loadcnt 0x1
	s_delay_alu instid0(VALU_DEP_4) | instskip(SKIP_1) | instid1(VALU_DEP_4)
	v_fmac_f64_e32 v[18:19], v[56:57], v[58:59]
	s_wait_loadcnt 0x0
	v_fmac_f64_e32 v[20:21], v[64:65], v[58:59]
	s_delay_alu instid0(VALU_DEP_4) | instskip(NEXT) | instid1(VALU_DEP_4)
	v_fmac_f64_e32 v[14:15], v[54:55], v[58:59]
	v_fmac_f64_e32 v[16:17], v[62:63], v[58:59]
	s_delay_alu instid0(VALU_DEP_4) | instskip(NEXT) | instid1(VALU_DEP_4)
	v_mov_b64_e32 v[0:1], v[18:19]
	v_mov_b64_e32 v[12:13], v[20:21]
	s_delay_alu instid0(VALU_DEP_4) | instskip(NEXT) | instid1(VALU_DEP_4)
	v_fma_f64 v[14:15], -v[56:57], v[60:61], v[14:15]
	v_fma_f64 v[16:17], -v[64:65], v[60:61], v[16:17]
                                        ; implicit-def: $vgpr20_vgpr21
                                        ; implicit-def: $vgpr18_vgpr19
	s_delay_alu instid0(VALU_DEP_4) | instskip(NEXT) | instid1(VALU_DEP_4)
	v_fmac_f64_e32 v[0:1], v[54:55], v[60:61]
	v_fmac_f64_e32 v[12:13], v[62:63], v[60:61]
	s_cbranch_scc1 .LBB274_19
; %bb.21:                               ;   in Loop: Header=BB274_20 Depth=2
	v_dual_add_nc_u32 v18, 3, v31 :: v_dual_add_nc_u32 v19, 3, v32
	v_add_nc_u32_e32 v20, 14, v31
	s_add_co_i32 s4, s4, 4
	s_mov_b32 s5, 0
	global_load_b128 v[32:35], v18, s[8:9] scale_offset
	global_load_b128 v[36:39], v19, s[10:11] scale_offset
	;; [unrolled: 1-line block ×3, first 2 shown]
	s_wait_loadcnt 0x1
	v_fma_f64 v[22:23], v[32:33], v[36:37], v[14:15]
	v_fma_f64 v[18:19], v[34:35], v[36:37], v[0:1]
	s_wait_loadcnt 0x0
	v_fma_f64 v[24:25], v[40:41], v[36:37], v[16:17]
	v_fma_f64 v[20:21], v[42:43], v[36:37], v[12:13]
	s_delay_alu instid0(VALU_DEP_4) | instskip(NEXT) | instid1(VALU_DEP_4)
	v_fma_f64 v[22:23], -v[34:35], v[38:39], v[22:23]
	v_fmac_f64_e32 v[18:19], v[32:33], v[38:39]
	s_delay_alu instid0(VALU_DEP_4) | instskip(NEXT) | instid1(VALU_DEP_4)
	v_fma_f64 v[24:25], -v[42:43], v[38:39], v[24:25]
	v_fmac_f64_e32 v[20:21], v[40:41], v[38:39]
	s_branch .LBB274_19
.LBB274_22:
	s_or_b32 exec_lo, exec_lo, s2
.LBB274_23:
	s_delay_alu instid0(SALU_CYCLE_1)
	s_or_b32 exec_lo, exec_lo, s3
.LBB274_24:
	v_mbcnt_lo_u32_b32 v28, -1, 0
	s_delay_alu instid0(VALU_DEP_1) | instskip(NEXT) | instid1(VALU_DEP_1)
	v_xor_b32_e32 v18, 4, v28
	v_cmp_gt_i32_e32 vcc_lo, 32, v18
	v_cndmask_b32_e32 v18, v28, v18, vcc_lo
	s_delay_alu instid0(VALU_DEP_1)
	v_lshlrev_b32_e32 v25, 2, v18
	ds_bpermute_b32 v18, v25, v14
	ds_bpermute_b32 v19, v25, v15
	;; [unrolled: 1-line block ×4, first 2 shown]
	s_wait_dscnt 0x2
	v_add_f64_e32 v[14:15], v[14:15], v[18:19]
	s_wait_dscnt 0x0
	v_add_f64_e32 v[18:19], v[0:1], v[20:21]
	ds_bpermute_b32 v22, v25, v16
	ds_bpermute_b32 v23, v25, v17
	;; [unrolled: 1-line block ×4, first 2 shown]
	v_xor_b32_e32 v0, 2, v28
	s_delay_alu instid0(VALU_DEP_1)
	v_cmp_gt_i32_e32 vcc_lo, 32, v0
	v_cndmask_b32_e32 v0, v28, v0, vcc_lo
	s_wait_dscnt 0x2
	v_add_f64_e32 v[20:21], v[16:17], v[22:23]
	s_wait_dscnt 0x0
	v_add_f64_e32 v[22:23], v[12:13], v[24:25]
	v_lshlrev_b32_e32 v16, 2, v0
	ds_bpermute_b32 v0, v16, v14
	ds_bpermute_b32 v1, v16, v15
	;; [unrolled: 1-line block ×8, first 2 shown]
	s_wait_dscnt 0x4
	v_add_f64_e32 v[16:17], v[18:19], v[12:13]
	v_xor_b32_e32 v18, 1, v28
	s_delay_alu instid0(VALU_DEP_1) | instskip(SKIP_3) | instid1(VALU_DEP_2)
	v_cmp_gt_i32_e32 vcc_lo, 32, v18
	v_dual_add_f64 v[0:1], v[14:15], v[0:1] :: v_dual_cndmask_b32 v18, v28, v18, vcc_lo
	v_cmp_eq_u32_e32 vcc_lo, 7, v11
	s_wait_dscnt 0x2
	v_dual_add_f64 v[12:13], v[20:21], v[24:25] :: v_dual_lshlrev_b32 v21, 2, v18
	s_wait_dscnt 0x0
	v_add_f64_e32 v[14:15], v[22:23], v[26:27]
	ds_bpermute_b32 v22, v21, v16
	ds_bpermute_b32 v23, v21, v17
	;; [unrolled: 1-line block ×8, first 2 shown]
	s_and_b32 exec_lo, exec_lo, vcc_lo
	s_cbranch_execz .LBB274_29
; %bb.25:
	v_cmp_eq_f64_e32 vcc_lo, 0, v[6:7]
	v_cmp_eq_f64_e64 s2, 0, v[8:9]
	s_wait_dscnt 0x4
	v_add_f64_e32 v[0:1], v[0:1], v[24:25]
	v_add_f64_e32 v[16:17], v[16:17], v[22:23]
	s_wait_dscnt 0x2
	v_add_f64_e32 v[12:13], v[12:13], v[18:19]
	s_wait_dscnt 0x0
	v_add_f64_e32 v[14:15], v[14:15], v[20:21]
	s_load_b64 s[0:1], s[0:1], 0x48
	s_and_b32 s2, vcc_lo, s2
	s_delay_alu instid0(SALU_CYCLE_1) | instskip(NEXT) | instid1(SALU_CYCLE_1)
	s_and_saveexec_b32 s3, s2
	s_xor_b32 s2, exec_lo, s3
	s_cbranch_execz .LBB274_27
; %bb.26:
	s_delay_alu instid0(VALU_DEP_3) | instskip(SKIP_1) | instid1(VALU_DEP_3)
	v_mul_f64_e64 v[6:7], v[16:17], -v[4:5]
	v_mul_f64_e32 v[8:9], v[2:3], v[16:17]
	v_mul_f64_e64 v[16:17], v[14:15], -v[4:5]
	v_mul_f64_e32 v[18:19], v[2:3], v[14:15]
                                        ; implicit-def: $vgpr14_vgpr15
	s_delay_alu instid0(VALU_DEP_4) | instskip(NEXT) | instid1(VALU_DEP_4)
	v_fmac_f64_e32 v[6:7], v[2:3], v[0:1]
	v_fmac_f64_e32 v[8:9], v[4:5], v[0:1]
	s_delay_alu instid0(VALU_DEP_4) | instskip(NEXT) | instid1(VALU_DEP_4)
	v_fmac_f64_e32 v[16:17], v[2:3], v[12:13]
	v_fmac_f64_e32 v[18:19], v[4:5], v[12:13]
	v_lshlrev_b32_e32 v0, 1, v10
                                        ; implicit-def: $vgpr10
                                        ; implicit-def: $vgpr12_vgpr13
                                        ; implicit-def: $vgpr4_vgpr5
	s_wait_kmcnt 0x0
	s_clause 0x1
	global_store_b128 v0, v[6:9], s[0:1] scale_offset
	global_store_b128 v0, v[16:19], s[0:1] offset:16 scale_offset
                                        ; implicit-def: $vgpr0_vgpr1
                                        ; implicit-def: $vgpr16_vgpr17
                                        ; implicit-def: $vgpr8_vgpr9
.LBB274_27:
	s_wait_xcnt 0x0
	s_and_not1_saveexec_b32 s2, s2
	s_cbranch_execz .LBB274_29
; %bb.28:
	s_delay_alu instid0(VALU_DEP_3) | instskip(SKIP_1) | instid1(VALU_DEP_3)
	v_dual_mul_f64 v[26:27], v[16:17], -v[4:5] :: v_dual_lshlrev_b32 v30, 1, v10
	v_mul_f64_e32 v[16:17], v[2:3], v[16:17]
	v_mul_f64_e64 v[28:29], v[14:15], -v[4:5]
	v_mul_f64_e32 v[10:11], v[2:3], v[14:15]
	s_wait_kmcnt 0x0
	s_clause 0x1
	global_load_b128 v[18:21], v30, s[0:1] scale_offset
	global_load_b128 v[22:25], v30, s[0:1] offset:16 scale_offset
	v_fmac_f64_e32 v[26:27], v[2:3], v[0:1]
	v_fmac_f64_e32 v[16:17], v[4:5], v[0:1]
	;; [unrolled: 1-line block ×4, first 2 shown]
	s_wait_loadcnt 0x1
	s_delay_alu instid0(VALU_DEP_4) | instskip(NEXT) | instid1(VALU_DEP_4)
	v_fmac_f64_e32 v[26:27], v[6:7], v[18:19]
	v_fmac_f64_e32 v[16:17], v[8:9], v[18:19]
	s_wait_loadcnt 0x0
	s_delay_alu instid0(VALU_DEP_4) | instskip(NEXT) | instid1(VALU_DEP_4)
	v_fmac_f64_e32 v[28:29], v[6:7], v[22:23]
	v_fmac_f64_e32 v[10:11], v[8:9], v[22:23]
	s_delay_alu instid0(VALU_DEP_4) | instskip(NEXT) | instid1(VALU_DEP_4)
	v_fma_f64 v[14:15], -v[8:9], v[20:21], v[26:27]
	v_fmac_f64_e32 v[16:17], v[6:7], v[20:21]
	s_delay_alu instid0(VALU_DEP_4) | instskip(NEXT) | instid1(VALU_DEP_4)
	v_fma_f64 v[8:9], -v[8:9], v[24:25], v[28:29]
	v_fmac_f64_e32 v[10:11], v[6:7], v[24:25]
	s_clause 0x1
	global_store_b128 v30, v[14:17], s[0:1] scale_offset
	global_store_b128 v30, v[8:11], s[0:1] offset:16 scale_offset
.LBB274_29:
	s_sendmsg sendmsg(MSG_DEALLOC_VGPRS)
	s_endpgm
	.section	.rodata,"a",@progbits
	.p2align	6, 0x0
	.amdhsa_kernel _ZN9rocsparseL19gebsrmvn_2xn_kernelILj128ELj11ELj8E21rocsparse_complex_numIdEEEvi20rocsparse_direction_NS_24const_host_device_scalarIT2_EEPKiS8_PKS5_SA_S6_PS5_21rocsparse_index_base_b
		.amdhsa_group_segment_fixed_size 0
		.amdhsa_private_segment_fixed_size 0
		.amdhsa_kernarg_size 88
		.amdhsa_user_sgpr_count 2
		.amdhsa_user_sgpr_dispatch_ptr 0
		.amdhsa_user_sgpr_queue_ptr 0
		.amdhsa_user_sgpr_kernarg_segment_ptr 1
		.amdhsa_user_sgpr_dispatch_id 0
		.amdhsa_user_sgpr_kernarg_preload_length 0
		.amdhsa_user_sgpr_kernarg_preload_offset 0
		.amdhsa_user_sgpr_private_segment_size 0
		.amdhsa_wavefront_size32 1
		.amdhsa_uses_dynamic_stack 0
		.amdhsa_enable_private_segment 0
		.amdhsa_system_sgpr_workgroup_id_x 1
		.amdhsa_system_sgpr_workgroup_id_y 0
		.amdhsa_system_sgpr_workgroup_id_z 0
		.amdhsa_system_sgpr_workgroup_info 0
		.amdhsa_system_vgpr_workitem_id 0
		.amdhsa_next_free_vgpr 66
		.amdhsa_next_free_sgpr 14
		.amdhsa_named_barrier_count 0
		.amdhsa_reserve_vcc 1
		.amdhsa_float_round_mode_32 0
		.amdhsa_float_round_mode_16_64 0
		.amdhsa_float_denorm_mode_32 3
		.amdhsa_float_denorm_mode_16_64 3
		.amdhsa_fp16_overflow 0
		.amdhsa_memory_ordered 1
		.amdhsa_forward_progress 1
		.amdhsa_inst_pref_size 20
		.amdhsa_round_robin_scheduling 0
		.amdhsa_exception_fp_ieee_invalid_op 0
		.amdhsa_exception_fp_denorm_src 0
		.amdhsa_exception_fp_ieee_div_zero 0
		.amdhsa_exception_fp_ieee_overflow 0
		.amdhsa_exception_fp_ieee_underflow 0
		.amdhsa_exception_fp_ieee_inexact 0
		.amdhsa_exception_int_div_zero 0
	.end_amdhsa_kernel
	.section	.text._ZN9rocsparseL19gebsrmvn_2xn_kernelILj128ELj11ELj8E21rocsparse_complex_numIdEEEvi20rocsparse_direction_NS_24const_host_device_scalarIT2_EEPKiS8_PKS5_SA_S6_PS5_21rocsparse_index_base_b,"axG",@progbits,_ZN9rocsparseL19gebsrmvn_2xn_kernelILj128ELj11ELj8E21rocsparse_complex_numIdEEEvi20rocsparse_direction_NS_24const_host_device_scalarIT2_EEPKiS8_PKS5_SA_S6_PS5_21rocsparse_index_base_b,comdat
.Lfunc_end274:
	.size	_ZN9rocsparseL19gebsrmvn_2xn_kernelILj128ELj11ELj8E21rocsparse_complex_numIdEEEvi20rocsparse_direction_NS_24const_host_device_scalarIT2_EEPKiS8_PKS5_SA_S6_PS5_21rocsparse_index_base_b, .Lfunc_end274-_ZN9rocsparseL19gebsrmvn_2xn_kernelILj128ELj11ELj8E21rocsparse_complex_numIdEEEvi20rocsparse_direction_NS_24const_host_device_scalarIT2_EEPKiS8_PKS5_SA_S6_PS5_21rocsparse_index_base_b
                                        ; -- End function
	.set _ZN9rocsparseL19gebsrmvn_2xn_kernelILj128ELj11ELj8E21rocsparse_complex_numIdEEEvi20rocsparse_direction_NS_24const_host_device_scalarIT2_EEPKiS8_PKS5_SA_S6_PS5_21rocsparse_index_base_b.num_vgpr, 66
	.set _ZN9rocsparseL19gebsrmvn_2xn_kernelILj128ELj11ELj8E21rocsparse_complex_numIdEEEvi20rocsparse_direction_NS_24const_host_device_scalarIT2_EEPKiS8_PKS5_SA_S6_PS5_21rocsparse_index_base_b.num_agpr, 0
	.set _ZN9rocsparseL19gebsrmvn_2xn_kernelILj128ELj11ELj8E21rocsparse_complex_numIdEEEvi20rocsparse_direction_NS_24const_host_device_scalarIT2_EEPKiS8_PKS5_SA_S6_PS5_21rocsparse_index_base_b.numbered_sgpr, 14
	.set _ZN9rocsparseL19gebsrmvn_2xn_kernelILj128ELj11ELj8E21rocsparse_complex_numIdEEEvi20rocsparse_direction_NS_24const_host_device_scalarIT2_EEPKiS8_PKS5_SA_S6_PS5_21rocsparse_index_base_b.num_named_barrier, 0
	.set _ZN9rocsparseL19gebsrmvn_2xn_kernelILj128ELj11ELj8E21rocsparse_complex_numIdEEEvi20rocsparse_direction_NS_24const_host_device_scalarIT2_EEPKiS8_PKS5_SA_S6_PS5_21rocsparse_index_base_b.private_seg_size, 0
	.set _ZN9rocsparseL19gebsrmvn_2xn_kernelILj128ELj11ELj8E21rocsparse_complex_numIdEEEvi20rocsparse_direction_NS_24const_host_device_scalarIT2_EEPKiS8_PKS5_SA_S6_PS5_21rocsparse_index_base_b.uses_vcc, 1
	.set _ZN9rocsparseL19gebsrmvn_2xn_kernelILj128ELj11ELj8E21rocsparse_complex_numIdEEEvi20rocsparse_direction_NS_24const_host_device_scalarIT2_EEPKiS8_PKS5_SA_S6_PS5_21rocsparse_index_base_b.uses_flat_scratch, 0
	.set _ZN9rocsparseL19gebsrmvn_2xn_kernelILj128ELj11ELj8E21rocsparse_complex_numIdEEEvi20rocsparse_direction_NS_24const_host_device_scalarIT2_EEPKiS8_PKS5_SA_S6_PS5_21rocsparse_index_base_b.has_dyn_sized_stack, 0
	.set _ZN9rocsparseL19gebsrmvn_2xn_kernelILj128ELj11ELj8E21rocsparse_complex_numIdEEEvi20rocsparse_direction_NS_24const_host_device_scalarIT2_EEPKiS8_PKS5_SA_S6_PS5_21rocsparse_index_base_b.has_recursion, 0
	.set _ZN9rocsparseL19gebsrmvn_2xn_kernelILj128ELj11ELj8E21rocsparse_complex_numIdEEEvi20rocsparse_direction_NS_24const_host_device_scalarIT2_EEPKiS8_PKS5_SA_S6_PS5_21rocsparse_index_base_b.has_indirect_call, 0
	.section	.AMDGPU.csdata,"",@progbits
; Kernel info:
; codeLenInByte = 2456
; TotalNumSgprs: 16
; NumVgprs: 66
; ScratchSize: 0
; MemoryBound: 0
; FloatMode: 240
; IeeeMode: 1
; LDSByteSize: 0 bytes/workgroup (compile time only)
; SGPRBlocks: 0
; VGPRBlocks: 4
; NumSGPRsForWavesPerEU: 16
; NumVGPRsForWavesPerEU: 66
; NamedBarCnt: 0
; Occupancy: 12
; WaveLimiterHint : 1
; COMPUTE_PGM_RSRC2:SCRATCH_EN: 0
; COMPUTE_PGM_RSRC2:USER_SGPR: 2
; COMPUTE_PGM_RSRC2:TRAP_HANDLER: 0
; COMPUTE_PGM_RSRC2:TGID_X_EN: 1
; COMPUTE_PGM_RSRC2:TGID_Y_EN: 0
; COMPUTE_PGM_RSRC2:TGID_Z_EN: 0
; COMPUTE_PGM_RSRC2:TIDIG_COMP_CNT: 0
	.section	.text._ZN9rocsparseL19gebsrmvn_2xn_kernelILj128ELj11ELj16E21rocsparse_complex_numIdEEEvi20rocsparse_direction_NS_24const_host_device_scalarIT2_EEPKiS8_PKS5_SA_S6_PS5_21rocsparse_index_base_b,"axG",@progbits,_ZN9rocsparseL19gebsrmvn_2xn_kernelILj128ELj11ELj16E21rocsparse_complex_numIdEEEvi20rocsparse_direction_NS_24const_host_device_scalarIT2_EEPKiS8_PKS5_SA_S6_PS5_21rocsparse_index_base_b,comdat
	.globl	_ZN9rocsparseL19gebsrmvn_2xn_kernelILj128ELj11ELj16E21rocsparse_complex_numIdEEEvi20rocsparse_direction_NS_24const_host_device_scalarIT2_EEPKiS8_PKS5_SA_S6_PS5_21rocsparse_index_base_b ; -- Begin function _ZN9rocsparseL19gebsrmvn_2xn_kernelILj128ELj11ELj16E21rocsparse_complex_numIdEEEvi20rocsparse_direction_NS_24const_host_device_scalarIT2_EEPKiS8_PKS5_SA_S6_PS5_21rocsparse_index_base_b
	.p2align	8
	.type	_ZN9rocsparseL19gebsrmvn_2xn_kernelILj128ELj11ELj16E21rocsparse_complex_numIdEEEvi20rocsparse_direction_NS_24const_host_device_scalarIT2_EEPKiS8_PKS5_SA_S6_PS5_21rocsparse_index_base_b,@function
_ZN9rocsparseL19gebsrmvn_2xn_kernelILj128ELj11ELj16E21rocsparse_complex_numIdEEEvi20rocsparse_direction_NS_24const_host_device_scalarIT2_EEPKiS8_PKS5_SA_S6_PS5_21rocsparse_index_base_b: ; @_ZN9rocsparseL19gebsrmvn_2xn_kernelILj128ELj11ELj16E21rocsparse_complex_numIdEEEvi20rocsparse_direction_NS_24const_host_device_scalarIT2_EEPKiS8_PKS5_SA_S6_PS5_21rocsparse_index_base_b
; %bb.0:
	s_clause 0x1
	s_load_b64 s[12:13], s[0:1], 0x50
	s_load_b64 s[2:3], s[0:1], 0x8
	v_mov_b32_e32 v1, 0
	s_add_nc_u64 s[4:5], s[0:1], 8
	s_load_b64 s[6:7], s[0:1], 0x38
	s_wait_kmcnt 0x0
	s_bitcmp1_b32 s13, 0
	s_cselect_b32 s3, s5, s3
	s_cselect_b32 s2, s4, s2
	flat_load_b128 v[2:5], v1, s[2:3]
	s_wait_xcnt 0x0
	s_add_nc_u64 s[2:3], s[0:1], 56
	s_delay_alu instid0(SALU_CYCLE_1)
	s_cselect_b32 s3, s3, s7
	s_cselect_b32 s2, s2, s6
	flat_load_b128 v[6:9], v1, s[2:3]
	s_wait_loadcnt_dscnt 0x101
	v_cmp_eq_f64_e32 vcc_lo, 0, v[2:3]
	s_wait_xcnt 0x0
	v_cmp_eq_f64_e64 s2, 0, v[4:5]
	s_and_b32 s4, vcc_lo, s2
	s_mov_b32 s2, -1
	s_and_saveexec_b32 s3, s4
	s_cbranch_execz .LBB275_2
; %bb.1:
	s_wait_loadcnt_dscnt 0x0
	v_cmp_neq_f64_e32 vcc_lo, 1.0, v[6:7]
	v_cmp_neq_f64_e64 s2, 0, v[8:9]
	s_or_b32 s2, vcc_lo, s2
	s_delay_alu instid0(SALU_CYCLE_1)
	s_or_not1_b32 s2, s2, exec_lo
.LBB275_2:
	s_or_b32 exec_lo, exec_lo, s3
	s_and_saveexec_b32 s3, s2
	s_cbranch_execz .LBB275_29
; %bb.3:
	s_load_b64 s[2:3], s[0:1], 0x0
	s_bfe_u32 s4, ttmp6, 0x4000c
	s_and_b32 s5, ttmp6, 15
	s_add_co_i32 s4, s4, 1
	s_getreg_b32 s6, hwreg(HW_REG_IB_STS2, 6, 4)
	s_mul_i32 s4, ttmp9, s4
	v_lshrrev_b32_e32 v1, 4, v0
	s_add_co_i32 s5, s5, s4
	s_cmp_eq_u32 s6, 0
	s_cselect_b32 s4, ttmp9, s5
	s_delay_alu instid0(VALU_DEP_1) | instid1(SALU_CYCLE_1)
	v_lshl_or_b32 v10, s4, 3, v1
	s_wait_kmcnt 0x0
	s_delay_alu instid0(VALU_DEP_1)
	v_cmp_gt_i32_e32 vcc_lo, s2, v10
	s_and_b32 exec_lo, exec_lo, vcc_lo
	s_cbranch_execz .LBB275_29
; %bb.4:
	s_load_b256 s[4:11], s[0:1], 0x18
	v_ashrrev_i32_e32 v11, 31, v10
	s_cmp_lg_u32 s3, 0
	s_wait_kmcnt 0x0
	s_delay_alu instid0(VALU_DEP_1)
	v_lshl_add_u64 v[12:13], v[10:11], 2, s[4:5]
	v_and_b32_e32 v11, 15, v0
	global_load_b64 v[18:19], v[12:13], off
	s_wait_loadcnt 0x0
	v_subrev_nc_u32_e32 v0, s12, v18
	v_subrev_nc_u32_e32 v28, s12, v19
	s_delay_alu instid0(VALU_DEP_2) | instskip(NEXT) | instid1(VALU_DEP_1)
	v_add_nc_u32_e32 v29, v0, v11
	v_cmp_lt_i32_e64 s2, v29, v28
	s_cbranch_scc0 .LBB275_12
; %bb.5:
	v_mov_b64_e32 v[0:1], 0
	v_mov_b64_e32 v[14:15], 0
	;; [unrolled: 1-line block ×4, first 2 shown]
	s_and_saveexec_b32 s3, s2
	s_cbranch_execz .LBB275_14
; %bb.6:
	v_mul_u32_u24_e32 v0, 22, v11
	v_mul_lo_u32 v19, v29, 22
	s_mul_i32 s4, s12, 22
	v_mov_b64_e32 v[14:15], 0
	v_mov_b64_e32 v[16:17], 0
	v_mad_u32 v20, v18, 22, v0
	v_mov_b64_e32 v[0:1], 0
	v_mov_b64_e32 v[12:13], 0
	v_mov_b32_e32 v31, v29
	s_delay_alu instid0(VALU_DEP_4)
	v_subrev_nc_u32_e32 v30, s4, v20
	s_mov_b32 s4, 0
	s_branch .LBB275_8
.LBB275_7:                              ;   in Loop: Header=BB275_8 Depth=1
	v_add_nc_u32_e32 v31, 16, v31
	v_add_nc_u32_e32 v19, 0x160, v19
	;; [unrolled: 1-line block ×3, first 2 shown]
	s_delay_alu instid0(VALU_DEP_3) | instskip(SKIP_1) | instid1(SALU_CYCLE_1)
	v_cmp_ge_i32_e32 vcc_lo, v31, v28
	s_or_b32 s4, vcc_lo, s4
	s_and_not1_b32 exec_lo, exec_lo, s4
	s_cbranch_execz .LBB275_13
.LBB275_8:                              ; =>This Loop Header: Depth=1
                                        ;     Child Loop BB275_10 Depth 2
	global_load_b32 v20, v31, s[6:7] scale_offset
	v_mov_b64_e32 v[24:25], v[14:15]
	v_mov_b64_e32 v[26:27], v[16:17]
	v_mov_b64_e32 v[22:23], v[12:13]
	s_mov_b32 s5, 0
	s_wait_loadcnt 0x0
	v_subrev_nc_u32_e32 v20, s12, v20
	s_delay_alu instid0(VALU_DEP_1)
	v_mul_lo_u32 v32, v20, 11
	v_mov_b64_e32 v[20:21], v[0:1]
	s_branch .LBB275_10
.LBB275_9:                              ;   in Loop: Header=BB275_8 Depth=1
                                        ; implicit-def: $vgpr22_vgpr23
                                        ; implicit-def: $vgpr26_vgpr27
                                        ; implicit-def: $vgpr24_vgpr25
                                        ; implicit-def: $vgpr20_vgpr21
                                        ; implicit-def: $sgpr5
                                        ; implicit-def: $vgpr32
	s_branch .LBB275_7
.LBB275_10:                             ;   Parent Loop BB275_8 Depth=1
                                        ; =>  This Inner Loop Header: Depth=2
	v_dual_add_nc_u32 v0, s5, v30 :: v_dual_add_nc_u32 v33, s5, v19
	s_cmp_eq_u32 s5, 16
	global_load_b128 v[12:15], v32, s[10:11] scale_offset
	s_clause 0x1
	global_load_b128 v[34:37], v0, s[8:9] scale_offset
	global_load_b128 v[38:41], v0, s[8:9] offset:16 scale_offset
	s_wait_xcnt 0x0
	v_dual_add_nc_u32 v0, 1, v32 :: v_dual_add_nc_u32 v1, 2, v33
	global_load_b128 v[42:45], v0, s[10:11] scale_offset
	s_clause 0x1
	global_load_b128 v[46:49], v1, s[8:9] scale_offset
	global_load_b128 v[50:53], v1, s[8:9] offset:16 scale_offset
	s_wait_xcnt 0x0
	v_dual_add_nc_u32 v0, 2, v32 :: v_dual_add_nc_u32 v1, 4, v33
	global_load_b128 v[54:57], v0, s[10:11] scale_offset
	s_clause 0x1
	global_load_b128 v[58:61], v1, s[8:9] scale_offset
	global_load_b128 v[62:65], v1, s[8:9] offset:16 scale_offset
	s_wait_loadcnt 0x7
	v_fmac_f64_e32 v[20:21], v[36:37], v[12:13]
	s_wait_loadcnt 0x6
	v_fmac_f64_e32 v[22:23], v[40:41], v[12:13]
	v_fmac_f64_e32 v[24:25], v[34:35], v[12:13]
	;; [unrolled: 1-line block ×3, first 2 shown]
	s_delay_alu instid0(VALU_DEP_4) | instskip(NEXT) | instid1(VALU_DEP_4)
	v_fmac_f64_e32 v[20:21], v[34:35], v[14:15]
	v_fmac_f64_e32 v[22:23], v[38:39], v[14:15]
	s_wait_xcnt 0x0
	s_delay_alu instid0(VALU_DEP_4) | instskip(NEXT) | instid1(VALU_DEP_4)
	v_fma_f64 v[0:1], -v[36:37], v[14:15], v[24:25]
	v_fma_f64 v[12:13], -v[40:41], v[14:15], v[26:27]
	s_wait_loadcnt 0x4
	s_delay_alu instid0(VALU_DEP_4) | instskip(SKIP_1) | instid1(VALU_DEP_4)
	v_fmac_f64_e32 v[20:21], v[48:49], v[42:43]
	s_wait_loadcnt 0x3
	v_fmac_f64_e32 v[22:23], v[52:53], v[42:43]
	s_delay_alu instid0(VALU_DEP_4) | instskip(NEXT) | instid1(VALU_DEP_4)
	v_fmac_f64_e32 v[0:1], v[46:47], v[42:43]
	v_fmac_f64_e32 v[12:13], v[50:51], v[42:43]
	s_delay_alu instid0(VALU_DEP_4) | instskip(NEXT) | instid1(VALU_DEP_4)
	v_fmac_f64_e32 v[20:21], v[46:47], v[44:45]
	v_fmac_f64_e32 v[22:23], v[50:51], v[44:45]
	s_delay_alu instid0(VALU_DEP_4) | instskip(NEXT) | instid1(VALU_DEP_4)
	v_fma_f64 v[14:15], -v[48:49], v[44:45], v[0:1]
	v_fma_f64 v[16:17], -v[52:53], v[44:45], v[12:13]
	s_wait_loadcnt 0x1
	s_delay_alu instid0(VALU_DEP_4) | instskip(SKIP_1) | instid1(VALU_DEP_4)
	v_fmac_f64_e32 v[20:21], v[60:61], v[54:55]
	s_wait_loadcnt 0x0
	v_fmac_f64_e32 v[22:23], v[64:65], v[54:55]
	s_delay_alu instid0(VALU_DEP_4) | instskip(NEXT) | instid1(VALU_DEP_4)
	v_fmac_f64_e32 v[14:15], v[58:59], v[54:55]
	v_fmac_f64_e32 v[16:17], v[62:63], v[54:55]
	s_delay_alu instid0(VALU_DEP_4) | instskip(NEXT) | instid1(VALU_DEP_4)
	v_mov_b64_e32 v[0:1], v[20:21]
	v_mov_b64_e32 v[12:13], v[22:23]
	s_delay_alu instid0(VALU_DEP_4) | instskip(NEXT) | instid1(VALU_DEP_4)
	v_fma_f64 v[14:15], -v[60:61], v[56:57], v[14:15]
	v_fma_f64 v[16:17], -v[64:65], v[56:57], v[16:17]
	s_delay_alu instid0(VALU_DEP_4) | instskip(NEXT) | instid1(VALU_DEP_4)
	v_fmac_f64_e32 v[0:1], v[58:59], v[56:57]
	v_fmac_f64_e32 v[12:13], v[62:63], v[56:57]
	s_cbranch_scc1 .LBB275_9
; %bb.11:                               ;   in Loop: Header=BB275_10 Depth=2
	v_dual_add_nc_u32 v20, 3, v32 :: v_dual_add_nc_u32 v21, 6, v33
	s_add_co_i32 s5, s5, 8
	global_load_b128 v[34:37], v20, s[10:11] scale_offset
	s_clause 0x1
	global_load_b128 v[38:41], v21, s[8:9] scale_offset
	global_load_b128 v[42:45], v21, s[8:9] offset:16 scale_offset
	s_wait_loadcnt 0x1
	v_dual_fma_f64 v[24:25], v[38:39], v[34:35], v[14:15] :: v_dual_add_nc_u32 v32, 4, v32
	s_wait_xcnt 0x0
	v_fma_f64 v[20:21], v[40:41], v[34:35], v[0:1]
	s_wait_loadcnt 0x0
	v_fma_f64 v[26:27], v[42:43], v[34:35], v[16:17]
	v_fma_f64 v[22:23], v[44:45], v[34:35], v[12:13]
	s_delay_alu instid0(VALU_DEP_4) | instskip(NEXT) | instid1(VALU_DEP_4)
	v_fma_f64 v[24:25], -v[40:41], v[36:37], v[24:25]
	v_fmac_f64_e32 v[20:21], v[38:39], v[36:37]
	s_delay_alu instid0(VALU_DEP_4) | instskip(NEXT) | instid1(VALU_DEP_4)
	v_fma_f64 v[26:27], -v[44:45], v[36:37], v[26:27]
	v_fmac_f64_e32 v[22:23], v[42:43], v[36:37]
	s_cbranch_execnz .LBB275_10
	s_branch .LBB275_7
.LBB275_12:
                                        ; implicit-def: $vgpr0_vgpr1
                                        ; implicit-def: $vgpr14_vgpr15
                                        ; implicit-def: $vgpr16_vgpr17
                                        ; implicit-def: $vgpr12_vgpr13
	s_branch .LBB275_15
.LBB275_13:
	s_or_b32 exec_lo, exec_lo, s4
.LBB275_14:
	s_delay_alu instid0(SALU_CYCLE_1)
	s_or_b32 exec_lo, exec_lo, s3
	s_cbranch_execnz .LBB275_24
.LBB275_15:
	v_mov_b64_e32 v[0:1], 0
	v_mov_b64_e32 v[14:15], 0
	;; [unrolled: 1-line block ×4, first 2 shown]
	s_and_saveexec_b32 s3, s2
	s_cbranch_execz .LBB275_23
; %bb.16:
	v_mul_u32_u24_e32 v0, 22, v11
	v_mul_lo_u32 v26, v29, 22
	s_mul_i32 s2, s12, 22
	v_mov_b64_e32 v[14:15], 0
	v_mov_b64_e32 v[16:17], 0
	v_mad_u32 v18, v18, 22, v0
	v_mov_b64_e32 v[0:1], 0
	v_mov_b64_e32 v[12:13], 0
	s_delay_alu instid0(VALU_DEP_3)
	v_subrev_nc_u32_e32 v27, s2, v18
	s_mov_b32 s2, 0
	s_branch .LBB275_18
.LBB275_17:                             ;   in Loop: Header=BB275_18 Depth=1
	v_add_nc_u32_e32 v29, 16, v29
	v_add_nc_u32_e32 v26, 0x160, v26
	;; [unrolled: 1-line block ×3, first 2 shown]
	s_delay_alu instid0(VALU_DEP_3) | instskip(SKIP_1) | instid1(SALU_CYCLE_1)
	v_cmp_ge_i32_e32 vcc_lo, v29, v28
	s_or_b32 s2, vcc_lo, s2
	s_and_not1_b32 exec_lo, exec_lo, s2
	s_cbranch_execz .LBB275_22
.LBB275_18:                             ; =>This Loop Header: Depth=1
                                        ;     Child Loop BB275_20 Depth 2
	global_load_b32 v18, v29, s[6:7] scale_offset
	v_mov_b64_e32 v[22:23], v[14:15]
	v_mov_b64_e32 v[24:25], v[16:17]
	;; [unrolled: 1-line block ×3, first 2 shown]
	s_mov_b32 s4, 0
	s_wait_loadcnt 0x0
	v_subrev_nc_u32_e32 v18, s12, v18
	s_delay_alu instid0(VALU_DEP_1)
	v_mul_lo_u32 v30, v18, 11
	v_mov_b64_e32 v[18:19], v[0:1]
	s_branch .LBB275_20
.LBB275_19:                             ;   in Loop: Header=BB275_20 Depth=2
	s_and_not1_b32 vcc_lo, exec_lo, s5
	s_cbranch_vccz .LBB275_17
.LBB275_20:                             ;   Parent Loop BB275_18 Depth=1
                                        ; =>  This Inner Loop Header: Depth=2
	v_dual_add_nc_u32 v31, s4, v26 :: v_dual_add_nc_u32 v0, s4, v27
	s_delay_alu instid0(VALU_DEP_3) | instskip(SKIP_2) | instid1(VALU_DEP_2)
	v_add_nc_u32_e32 v32, s4, v30
	s_cmp_eq_u32 s4, 8
	s_mov_b32 s5, -1
	v_add_nc_u32_e32 v1, 11, v31
	global_load_b128 v[12:15], v0, s[8:9] scale_offset
	global_load_b128 v[34:37], v32, s[10:11] scale_offset
	;; [unrolled: 1-line block ×3, first 2 shown]
	s_wait_xcnt 0x0
	v_dual_add_nc_u32 v1, 1, v32 :: v_dual_add_nc_u32 v16, 12, v31
	global_load_b128 v[42:45], v0, s[8:9] offset:16 scale_offset
	global_load_b128 v[46:49], v1, s[10:11] scale_offset
	global_load_b128 v[50:53], v16, s[8:9] scale_offset
	s_wait_xcnt 0x1
	v_dual_add_nc_u32 v0, 2, v31 :: v_dual_add_nc_u32 v1, 2, v32
	global_load_b128 v[54:57], v0, s[8:9] scale_offset
	global_load_b128 v[58:61], v1, s[10:11] scale_offset
	global_load_b128 v[62:65], v16, s[8:9] offset:16 scale_offset
	s_wait_loadcnt 0x7
	v_fmac_f64_e32 v[18:19], v[14:15], v[34:35]
	s_wait_loadcnt 0x6
	v_fmac_f64_e32 v[20:21], v[40:41], v[34:35]
	v_fmac_f64_e32 v[22:23], v[12:13], v[34:35]
	;; [unrolled: 1-line block ×3, first 2 shown]
	s_delay_alu instid0(VALU_DEP_4) | instskip(NEXT) | instid1(VALU_DEP_4)
	v_fmac_f64_e32 v[18:19], v[12:13], v[36:37]
	v_fmac_f64_e32 v[20:21], v[38:39], v[36:37]
	s_wait_xcnt 0x1
	s_delay_alu instid0(VALU_DEP_4) | instskip(NEXT) | instid1(VALU_DEP_4)
	v_fma_f64 v[0:1], -v[14:15], v[36:37], v[22:23]
	v_fma_f64 v[12:13], -v[40:41], v[36:37], v[24:25]
                                        ; implicit-def: $vgpr24_vgpr25
                                        ; implicit-def: $vgpr22_vgpr23
	s_wait_loadcnt 0x4
	s_delay_alu instid0(VALU_DEP_4) | instskip(SKIP_1) | instid1(VALU_DEP_4)
	v_fmac_f64_e32 v[18:19], v[44:45], v[46:47]
	s_wait_loadcnt 0x3
	v_fmac_f64_e32 v[20:21], v[52:53], v[46:47]
	s_delay_alu instid0(VALU_DEP_4) | instskip(NEXT) | instid1(VALU_DEP_4)
	v_fmac_f64_e32 v[0:1], v[42:43], v[46:47]
	v_fmac_f64_e32 v[12:13], v[50:51], v[46:47]
	s_delay_alu instid0(VALU_DEP_4) | instskip(NEXT) | instid1(VALU_DEP_4)
	v_fmac_f64_e32 v[18:19], v[42:43], v[48:49]
	v_fmac_f64_e32 v[20:21], v[50:51], v[48:49]
	s_delay_alu instid0(VALU_DEP_4) | instskip(SKIP_1) | instid1(VALU_DEP_4)
	v_fma_f64 v[14:15], -v[44:45], v[48:49], v[0:1]
	s_wait_xcnt 0x0
	v_fma_f64 v[16:17], -v[52:53], v[48:49], v[12:13]
	s_wait_loadcnt 0x1
	s_delay_alu instid0(VALU_DEP_4) | instskip(SKIP_1) | instid1(VALU_DEP_4)
	v_fmac_f64_e32 v[18:19], v[56:57], v[58:59]
	s_wait_loadcnt 0x0
	v_fmac_f64_e32 v[20:21], v[64:65], v[58:59]
	s_delay_alu instid0(VALU_DEP_4) | instskip(NEXT) | instid1(VALU_DEP_4)
	v_fmac_f64_e32 v[14:15], v[54:55], v[58:59]
	v_fmac_f64_e32 v[16:17], v[62:63], v[58:59]
	s_delay_alu instid0(VALU_DEP_4) | instskip(NEXT) | instid1(VALU_DEP_4)
	v_mov_b64_e32 v[0:1], v[18:19]
	v_mov_b64_e32 v[12:13], v[20:21]
	s_delay_alu instid0(VALU_DEP_4) | instskip(NEXT) | instid1(VALU_DEP_4)
	v_fma_f64 v[14:15], -v[56:57], v[60:61], v[14:15]
	v_fma_f64 v[16:17], -v[64:65], v[60:61], v[16:17]
                                        ; implicit-def: $vgpr20_vgpr21
                                        ; implicit-def: $vgpr18_vgpr19
	s_delay_alu instid0(VALU_DEP_4) | instskip(NEXT) | instid1(VALU_DEP_4)
	v_fmac_f64_e32 v[0:1], v[54:55], v[60:61]
	v_fmac_f64_e32 v[12:13], v[62:63], v[60:61]
	s_cbranch_scc1 .LBB275_19
; %bb.21:                               ;   in Loop: Header=BB275_20 Depth=2
	v_dual_add_nc_u32 v18, 3, v31 :: v_dual_add_nc_u32 v19, 3, v32
	v_add_nc_u32_e32 v20, 14, v31
	s_add_co_i32 s4, s4, 4
	s_mov_b32 s5, 0
	global_load_b128 v[32:35], v18, s[8:9] scale_offset
	global_load_b128 v[36:39], v19, s[10:11] scale_offset
	;; [unrolled: 1-line block ×3, first 2 shown]
	s_wait_loadcnt 0x1
	v_fma_f64 v[22:23], v[32:33], v[36:37], v[14:15]
	v_fma_f64 v[18:19], v[34:35], v[36:37], v[0:1]
	s_wait_loadcnt 0x0
	v_fma_f64 v[24:25], v[40:41], v[36:37], v[16:17]
	v_fma_f64 v[20:21], v[42:43], v[36:37], v[12:13]
	s_delay_alu instid0(VALU_DEP_4) | instskip(NEXT) | instid1(VALU_DEP_4)
	v_fma_f64 v[22:23], -v[34:35], v[38:39], v[22:23]
	v_fmac_f64_e32 v[18:19], v[32:33], v[38:39]
	s_delay_alu instid0(VALU_DEP_4) | instskip(NEXT) | instid1(VALU_DEP_4)
	v_fma_f64 v[24:25], -v[42:43], v[38:39], v[24:25]
	v_fmac_f64_e32 v[20:21], v[40:41], v[38:39]
	s_branch .LBB275_19
.LBB275_22:
	s_or_b32 exec_lo, exec_lo, s2
.LBB275_23:
	s_delay_alu instid0(SALU_CYCLE_1)
	s_or_b32 exec_lo, exec_lo, s3
.LBB275_24:
	v_mbcnt_lo_u32_b32 v28, -1, 0
	s_delay_alu instid0(VALU_DEP_1) | instskip(NEXT) | instid1(VALU_DEP_1)
	v_xor_b32_e32 v18, 8, v28
	v_cmp_gt_i32_e32 vcc_lo, 32, v18
	v_cndmask_b32_e32 v18, v28, v18, vcc_lo
	s_delay_alu instid0(VALU_DEP_1)
	v_lshlrev_b32_e32 v25, 2, v18
	ds_bpermute_b32 v20, v25, v0
	ds_bpermute_b32 v21, v25, v1
	s_wait_dscnt 0x0
	v_add_f64_e32 v[0:1], v[0:1], v[20:21]
	ds_bpermute_b32 v18, v25, v14
	ds_bpermute_b32 v19, v25, v15
	;; [unrolled: 1-line block ×6, first 2 shown]
	s_wait_dscnt 0x4
	v_dual_add_f64 v[14:15], v[14:15], v[18:19] :: v_dual_bitop2_b32 v18, 4, v28 bitop3:0x14
	s_wait_dscnt 0x2
	v_add_f64_e32 v[16:17], v[16:17], v[22:23]
	s_delay_alu instid0(VALU_DEP_2) | instskip(SKIP_2) | instid1(VALU_DEP_1)
	v_cmp_gt_i32_e32 vcc_lo, 32, v18
	v_cndmask_b32_e32 v18, v28, v18, vcc_lo
	s_wait_dscnt 0x0
	v_dual_add_f64 v[12:13], v[12:13], v[24:25] :: v_dual_lshlrev_b32 v25, 2, v18
	ds_bpermute_b32 v20, v25, v0
	ds_bpermute_b32 v21, v25, v1
	ds_bpermute_b32 v18, v25, v14
	ds_bpermute_b32 v19, v25, v15
	ds_bpermute_b32 v22, v25, v16
	ds_bpermute_b32 v23, v25, v17
	ds_bpermute_b32 v24, v25, v12
	ds_bpermute_b32 v25, v25, v13
	s_wait_dscnt 0x4
	v_add_f64_e32 v[14:15], v[14:15], v[18:19]
	v_add_f64_e32 v[18:19], v[0:1], v[20:21]
	s_wait_dscnt 0x2
	v_dual_add_f64 v[20:21], v[16:17], v[22:23] :: v_dual_bitop2_b32 v0, 2, v28 bitop3:0x14
	s_delay_alu instid0(VALU_DEP_1) | instskip(SKIP_3) | instid1(VALU_DEP_1)
	v_cmp_gt_i32_e32 vcc_lo, 32, v0
	s_wait_dscnt 0x0
	v_add_f64_e32 v[22:23], v[12:13], v[24:25]
	v_cndmask_b32_e32 v0, v28, v0, vcc_lo
	v_lshlrev_b32_e32 v16, 2, v0
	ds_bpermute_b32 v0, v16, v14
	ds_bpermute_b32 v12, v16, v18
	;; [unrolled: 1-line block ×8, first 2 shown]
	s_wait_dscnt 0x5
	v_add_f64_e32 v[16:17], v[18:19], v[12:13]
	v_xor_b32_e32 v18, 1, v28
	s_wait_dscnt 0x2
	v_add_f64_e32 v[12:13], v[20:21], v[24:25]
	s_delay_alu instid0(VALU_DEP_2) | instskip(SKIP_2) | instid1(VALU_DEP_2)
	v_cmp_gt_i32_e32 vcc_lo, 32, v18
	v_dual_add_f64 v[0:1], v[14:15], v[0:1] :: v_dual_cndmask_b32 v18, v28, v18, vcc_lo
	v_cmp_eq_u32_e32 vcc_lo, 15, v11
	v_lshlrev_b32_e32 v21, 2, v18
	s_wait_dscnt 0x0
	v_add_f64_e32 v[14:15], v[22:23], v[26:27]
	ds_bpermute_b32 v22, v21, v16
	ds_bpermute_b32 v23, v21, v17
	;; [unrolled: 1-line block ×8, first 2 shown]
	s_and_b32 exec_lo, exec_lo, vcc_lo
	s_cbranch_execz .LBB275_29
; %bb.25:
	v_cmp_eq_f64_e32 vcc_lo, 0, v[6:7]
	v_cmp_eq_f64_e64 s2, 0, v[8:9]
	s_wait_dscnt 0x2
	v_add_f64_e32 v[0:1], v[0:1], v[24:25]
	v_add_f64_e32 v[16:17], v[16:17], v[22:23]
	;; [unrolled: 1-line block ×3, first 2 shown]
	s_wait_dscnt 0x0
	v_add_f64_e32 v[14:15], v[14:15], v[20:21]
	s_load_b64 s[0:1], s[0:1], 0x48
	s_and_b32 s2, vcc_lo, s2
	s_delay_alu instid0(SALU_CYCLE_1) | instskip(NEXT) | instid1(SALU_CYCLE_1)
	s_and_saveexec_b32 s3, s2
	s_xor_b32 s2, exec_lo, s3
	s_cbranch_execz .LBB275_27
; %bb.26:
	s_delay_alu instid0(VALU_DEP_3) | instskip(SKIP_1) | instid1(VALU_DEP_3)
	v_mul_f64_e64 v[6:7], v[16:17], -v[4:5]
	v_mul_f64_e32 v[8:9], v[2:3], v[16:17]
	v_mul_f64_e64 v[16:17], v[14:15], -v[4:5]
	v_mul_f64_e32 v[18:19], v[2:3], v[14:15]
                                        ; implicit-def: $vgpr14_vgpr15
	s_delay_alu instid0(VALU_DEP_4) | instskip(NEXT) | instid1(VALU_DEP_4)
	v_fmac_f64_e32 v[6:7], v[2:3], v[0:1]
	v_fmac_f64_e32 v[8:9], v[4:5], v[0:1]
	s_delay_alu instid0(VALU_DEP_4) | instskip(NEXT) | instid1(VALU_DEP_4)
	v_fmac_f64_e32 v[16:17], v[2:3], v[12:13]
	v_fmac_f64_e32 v[18:19], v[4:5], v[12:13]
	v_lshlrev_b32_e32 v0, 1, v10
                                        ; implicit-def: $vgpr10
                                        ; implicit-def: $vgpr12_vgpr13
                                        ; implicit-def: $vgpr4_vgpr5
	s_wait_kmcnt 0x0
	s_clause 0x1
	global_store_b128 v0, v[6:9], s[0:1] scale_offset
	global_store_b128 v0, v[16:19], s[0:1] offset:16 scale_offset
                                        ; implicit-def: $vgpr0_vgpr1
                                        ; implicit-def: $vgpr16_vgpr17
                                        ; implicit-def: $vgpr8_vgpr9
.LBB275_27:
	s_wait_xcnt 0x0
	s_and_not1_saveexec_b32 s2, s2
	s_cbranch_execz .LBB275_29
; %bb.28:
	s_delay_alu instid0(VALU_DEP_3) | instskip(SKIP_1) | instid1(VALU_DEP_3)
	v_dual_mul_f64 v[26:27], v[16:17], -v[4:5] :: v_dual_lshlrev_b32 v30, 1, v10
	v_mul_f64_e32 v[16:17], v[2:3], v[16:17]
	v_mul_f64_e64 v[28:29], v[14:15], -v[4:5]
	v_mul_f64_e32 v[10:11], v[2:3], v[14:15]
	s_wait_kmcnt 0x0
	s_clause 0x1
	global_load_b128 v[18:21], v30, s[0:1] scale_offset
	global_load_b128 v[22:25], v30, s[0:1] offset:16 scale_offset
	v_fmac_f64_e32 v[26:27], v[2:3], v[0:1]
	v_fmac_f64_e32 v[16:17], v[4:5], v[0:1]
	;; [unrolled: 1-line block ×4, first 2 shown]
	s_wait_loadcnt 0x1
	s_delay_alu instid0(VALU_DEP_4) | instskip(NEXT) | instid1(VALU_DEP_4)
	v_fmac_f64_e32 v[26:27], v[6:7], v[18:19]
	v_fmac_f64_e32 v[16:17], v[8:9], v[18:19]
	s_wait_loadcnt 0x0
	s_delay_alu instid0(VALU_DEP_4) | instskip(NEXT) | instid1(VALU_DEP_4)
	v_fmac_f64_e32 v[28:29], v[6:7], v[22:23]
	v_fmac_f64_e32 v[10:11], v[8:9], v[22:23]
	s_delay_alu instid0(VALU_DEP_4) | instskip(NEXT) | instid1(VALU_DEP_4)
	v_fma_f64 v[14:15], -v[8:9], v[20:21], v[26:27]
	v_fmac_f64_e32 v[16:17], v[6:7], v[20:21]
	s_delay_alu instid0(VALU_DEP_4) | instskip(NEXT) | instid1(VALU_DEP_4)
	v_fma_f64 v[8:9], -v[8:9], v[24:25], v[28:29]
	v_fmac_f64_e32 v[10:11], v[6:7], v[24:25]
	s_clause 0x1
	global_store_b128 v30, v[14:17], s[0:1] scale_offset
	global_store_b128 v30, v[8:11], s[0:1] offset:16 scale_offset
.LBB275_29:
	s_sendmsg sendmsg(MSG_DEALLOC_VGPRS)
	s_endpgm
	.section	.rodata,"a",@progbits
	.p2align	6, 0x0
	.amdhsa_kernel _ZN9rocsparseL19gebsrmvn_2xn_kernelILj128ELj11ELj16E21rocsparse_complex_numIdEEEvi20rocsparse_direction_NS_24const_host_device_scalarIT2_EEPKiS8_PKS5_SA_S6_PS5_21rocsparse_index_base_b
		.amdhsa_group_segment_fixed_size 0
		.amdhsa_private_segment_fixed_size 0
		.amdhsa_kernarg_size 88
		.amdhsa_user_sgpr_count 2
		.amdhsa_user_sgpr_dispatch_ptr 0
		.amdhsa_user_sgpr_queue_ptr 0
		.amdhsa_user_sgpr_kernarg_segment_ptr 1
		.amdhsa_user_sgpr_dispatch_id 0
		.amdhsa_user_sgpr_kernarg_preload_length 0
		.amdhsa_user_sgpr_kernarg_preload_offset 0
		.amdhsa_user_sgpr_private_segment_size 0
		.amdhsa_wavefront_size32 1
		.amdhsa_uses_dynamic_stack 0
		.amdhsa_enable_private_segment 0
		.amdhsa_system_sgpr_workgroup_id_x 1
		.amdhsa_system_sgpr_workgroup_id_y 0
		.amdhsa_system_sgpr_workgroup_id_z 0
		.amdhsa_system_sgpr_workgroup_info 0
		.amdhsa_system_vgpr_workitem_id 0
		.amdhsa_next_free_vgpr 66
		.amdhsa_next_free_sgpr 14
		.amdhsa_named_barrier_count 0
		.amdhsa_reserve_vcc 1
		.amdhsa_float_round_mode_32 0
		.amdhsa_float_round_mode_16_64 0
		.amdhsa_float_denorm_mode_32 3
		.amdhsa_float_denorm_mode_16_64 3
		.amdhsa_fp16_overflow 0
		.amdhsa_memory_ordered 1
		.amdhsa_forward_progress 1
		.amdhsa_inst_pref_size 21
		.amdhsa_round_robin_scheduling 0
		.amdhsa_exception_fp_ieee_invalid_op 0
		.amdhsa_exception_fp_denorm_src 0
		.amdhsa_exception_fp_ieee_div_zero 0
		.amdhsa_exception_fp_ieee_overflow 0
		.amdhsa_exception_fp_ieee_underflow 0
		.amdhsa_exception_fp_ieee_inexact 0
		.amdhsa_exception_int_div_zero 0
	.end_amdhsa_kernel
	.section	.text._ZN9rocsparseL19gebsrmvn_2xn_kernelILj128ELj11ELj16E21rocsparse_complex_numIdEEEvi20rocsparse_direction_NS_24const_host_device_scalarIT2_EEPKiS8_PKS5_SA_S6_PS5_21rocsparse_index_base_b,"axG",@progbits,_ZN9rocsparseL19gebsrmvn_2xn_kernelILj128ELj11ELj16E21rocsparse_complex_numIdEEEvi20rocsparse_direction_NS_24const_host_device_scalarIT2_EEPKiS8_PKS5_SA_S6_PS5_21rocsparse_index_base_b,comdat
.Lfunc_end275:
	.size	_ZN9rocsparseL19gebsrmvn_2xn_kernelILj128ELj11ELj16E21rocsparse_complex_numIdEEEvi20rocsparse_direction_NS_24const_host_device_scalarIT2_EEPKiS8_PKS5_SA_S6_PS5_21rocsparse_index_base_b, .Lfunc_end275-_ZN9rocsparseL19gebsrmvn_2xn_kernelILj128ELj11ELj16E21rocsparse_complex_numIdEEEvi20rocsparse_direction_NS_24const_host_device_scalarIT2_EEPKiS8_PKS5_SA_S6_PS5_21rocsparse_index_base_b
                                        ; -- End function
	.set _ZN9rocsparseL19gebsrmvn_2xn_kernelILj128ELj11ELj16E21rocsparse_complex_numIdEEEvi20rocsparse_direction_NS_24const_host_device_scalarIT2_EEPKiS8_PKS5_SA_S6_PS5_21rocsparse_index_base_b.num_vgpr, 66
	.set _ZN9rocsparseL19gebsrmvn_2xn_kernelILj128ELj11ELj16E21rocsparse_complex_numIdEEEvi20rocsparse_direction_NS_24const_host_device_scalarIT2_EEPKiS8_PKS5_SA_S6_PS5_21rocsparse_index_base_b.num_agpr, 0
	.set _ZN9rocsparseL19gebsrmvn_2xn_kernelILj128ELj11ELj16E21rocsparse_complex_numIdEEEvi20rocsparse_direction_NS_24const_host_device_scalarIT2_EEPKiS8_PKS5_SA_S6_PS5_21rocsparse_index_base_b.numbered_sgpr, 14
	.set _ZN9rocsparseL19gebsrmvn_2xn_kernelILj128ELj11ELj16E21rocsparse_complex_numIdEEEvi20rocsparse_direction_NS_24const_host_device_scalarIT2_EEPKiS8_PKS5_SA_S6_PS5_21rocsparse_index_base_b.num_named_barrier, 0
	.set _ZN9rocsparseL19gebsrmvn_2xn_kernelILj128ELj11ELj16E21rocsparse_complex_numIdEEEvi20rocsparse_direction_NS_24const_host_device_scalarIT2_EEPKiS8_PKS5_SA_S6_PS5_21rocsparse_index_base_b.private_seg_size, 0
	.set _ZN9rocsparseL19gebsrmvn_2xn_kernelILj128ELj11ELj16E21rocsparse_complex_numIdEEEvi20rocsparse_direction_NS_24const_host_device_scalarIT2_EEPKiS8_PKS5_SA_S6_PS5_21rocsparse_index_base_b.uses_vcc, 1
	.set _ZN9rocsparseL19gebsrmvn_2xn_kernelILj128ELj11ELj16E21rocsparse_complex_numIdEEEvi20rocsparse_direction_NS_24const_host_device_scalarIT2_EEPKiS8_PKS5_SA_S6_PS5_21rocsparse_index_base_b.uses_flat_scratch, 0
	.set _ZN9rocsparseL19gebsrmvn_2xn_kernelILj128ELj11ELj16E21rocsparse_complex_numIdEEEvi20rocsparse_direction_NS_24const_host_device_scalarIT2_EEPKiS8_PKS5_SA_S6_PS5_21rocsparse_index_base_b.has_dyn_sized_stack, 0
	.set _ZN9rocsparseL19gebsrmvn_2xn_kernelILj128ELj11ELj16E21rocsparse_complex_numIdEEEvi20rocsparse_direction_NS_24const_host_device_scalarIT2_EEPKiS8_PKS5_SA_S6_PS5_21rocsparse_index_base_b.has_recursion, 0
	.set _ZN9rocsparseL19gebsrmvn_2xn_kernelILj128ELj11ELj16E21rocsparse_complex_numIdEEEvi20rocsparse_direction_NS_24const_host_device_scalarIT2_EEPKiS8_PKS5_SA_S6_PS5_21rocsparse_index_base_b.has_indirect_call, 0
	.section	.AMDGPU.csdata,"",@progbits
; Kernel info:
; codeLenInByte = 2572
; TotalNumSgprs: 16
; NumVgprs: 66
; ScratchSize: 0
; MemoryBound: 0
; FloatMode: 240
; IeeeMode: 1
; LDSByteSize: 0 bytes/workgroup (compile time only)
; SGPRBlocks: 0
; VGPRBlocks: 4
; NumSGPRsForWavesPerEU: 16
; NumVGPRsForWavesPerEU: 66
; NamedBarCnt: 0
; Occupancy: 12
; WaveLimiterHint : 1
; COMPUTE_PGM_RSRC2:SCRATCH_EN: 0
; COMPUTE_PGM_RSRC2:USER_SGPR: 2
; COMPUTE_PGM_RSRC2:TRAP_HANDLER: 0
; COMPUTE_PGM_RSRC2:TGID_X_EN: 1
; COMPUTE_PGM_RSRC2:TGID_Y_EN: 0
; COMPUTE_PGM_RSRC2:TGID_Z_EN: 0
; COMPUTE_PGM_RSRC2:TIDIG_COMP_CNT: 0
	.section	.text._ZN9rocsparseL19gebsrmvn_2xn_kernelILj128ELj11ELj32E21rocsparse_complex_numIdEEEvi20rocsparse_direction_NS_24const_host_device_scalarIT2_EEPKiS8_PKS5_SA_S6_PS5_21rocsparse_index_base_b,"axG",@progbits,_ZN9rocsparseL19gebsrmvn_2xn_kernelILj128ELj11ELj32E21rocsparse_complex_numIdEEEvi20rocsparse_direction_NS_24const_host_device_scalarIT2_EEPKiS8_PKS5_SA_S6_PS5_21rocsparse_index_base_b,comdat
	.globl	_ZN9rocsparseL19gebsrmvn_2xn_kernelILj128ELj11ELj32E21rocsparse_complex_numIdEEEvi20rocsparse_direction_NS_24const_host_device_scalarIT2_EEPKiS8_PKS5_SA_S6_PS5_21rocsparse_index_base_b ; -- Begin function _ZN9rocsparseL19gebsrmvn_2xn_kernelILj128ELj11ELj32E21rocsparse_complex_numIdEEEvi20rocsparse_direction_NS_24const_host_device_scalarIT2_EEPKiS8_PKS5_SA_S6_PS5_21rocsparse_index_base_b
	.p2align	8
	.type	_ZN9rocsparseL19gebsrmvn_2xn_kernelILj128ELj11ELj32E21rocsparse_complex_numIdEEEvi20rocsparse_direction_NS_24const_host_device_scalarIT2_EEPKiS8_PKS5_SA_S6_PS5_21rocsparse_index_base_b,@function
_ZN9rocsparseL19gebsrmvn_2xn_kernelILj128ELj11ELj32E21rocsparse_complex_numIdEEEvi20rocsparse_direction_NS_24const_host_device_scalarIT2_EEPKiS8_PKS5_SA_S6_PS5_21rocsparse_index_base_b: ; @_ZN9rocsparseL19gebsrmvn_2xn_kernelILj128ELj11ELj32E21rocsparse_complex_numIdEEEvi20rocsparse_direction_NS_24const_host_device_scalarIT2_EEPKiS8_PKS5_SA_S6_PS5_21rocsparse_index_base_b
; %bb.0:
	s_clause 0x1
	s_load_b64 s[12:13], s[0:1], 0x50
	s_load_b64 s[2:3], s[0:1], 0x8
	v_mov_b32_e32 v1, 0
	s_add_nc_u64 s[4:5], s[0:1], 8
	s_load_b64 s[6:7], s[0:1], 0x38
	s_wait_kmcnt 0x0
	s_bitcmp1_b32 s13, 0
	s_cselect_b32 s3, s5, s3
	s_cselect_b32 s2, s4, s2
	flat_load_b128 v[2:5], v1, s[2:3]
	s_wait_xcnt 0x0
	s_add_nc_u64 s[2:3], s[0:1], 56
	s_delay_alu instid0(SALU_CYCLE_1)
	s_cselect_b32 s3, s3, s7
	s_cselect_b32 s2, s2, s6
	flat_load_b128 v[6:9], v1, s[2:3]
	s_wait_loadcnt_dscnt 0x101
	v_cmp_eq_f64_e32 vcc_lo, 0, v[2:3]
	s_wait_xcnt 0x0
	v_cmp_eq_f64_e64 s2, 0, v[4:5]
	s_and_b32 s4, vcc_lo, s2
	s_mov_b32 s2, -1
	s_and_saveexec_b32 s3, s4
	s_cbranch_execz .LBB276_2
; %bb.1:
	s_wait_loadcnt_dscnt 0x0
	v_cmp_neq_f64_e32 vcc_lo, 1.0, v[6:7]
	v_cmp_neq_f64_e64 s2, 0, v[8:9]
	s_or_b32 s2, vcc_lo, s2
	s_delay_alu instid0(SALU_CYCLE_1)
	s_or_not1_b32 s2, s2, exec_lo
.LBB276_2:
	s_or_b32 exec_lo, exec_lo, s3
	s_and_saveexec_b32 s3, s2
	s_cbranch_execz .LBB276_29
; %bb.3:
	s_load_b64 s[2:3], s[0:1], 0x0
	s_bfe_u32 s4, ttmp6, 0x4000c
	s_and_b32 s5, ttmp6, 15
	s_add_co_i32 s4, s4, 1
	s_getreg_b32 s6, hwreg(HW_REG_IB_STS2, 6, 4)
	s_mul_i32 s4, ttmp9, s4
	v_lshrrev_b32_e32 v1, 5, v0
	s_add_co_i32 s5, s5, s4
	s_cmp_eq_u32 s6, 0
	s_cselect_b32 s4, ttmp9, s5
	s_delay_alu instid0(VALU_DEP_1) | instid1(SALU_CYCLE_1)
	v_lshl_or_b32 v10, s4, 2, v1
	s_wait_kmcnt 0x0
	s_delay_alu instid0(VALU_DEP_1)
	v_cmp_gt_i32_e32 vcc_lo, s2, v10
	s_and_b32 exec_lo, exec_lo, vcc_lo
	s_cbranch_execz .LBB276_29
; %bb.4:
	s_load_b256 s[4:11], s[0:1], 0x18
	v_ashrrev_i32_e32 v11, 31, v10
	s_cmp_lg_u32 s3, 0
	s_wait_kmcnt 0x0
	s_delay_alu instid0(VALU_DEP_1)
	v_lshl_add_u64 v[12:13], v[10:11], 2, s[4:5]
	v_and_b32_e32 v11, 31, v0
	global_load_b64 v[18:19], v[12:13], off
	s_wait_loadcnt 0x0
	v_subrev_nc_u32_e32 v0, s12, v18
	v_subrev_nc_u32_e32 v28, s12, v19
	s_delay_alu instid0(VALU_DEP_2) | instskip(NEXT) | instid1(VALU_DEP_1)
	v_add_nc_u32_e32 v29, v0, v11
	v_cmp_lt_i32_e64 s2, v29, v28
	s_cbranch_scc0 .LBB276_12
; %bb.5:
	v_mov_b64_e32 v[0:1], 0
	v_mov_b64_e32 v[14:15], 0
	;; [unrolled: 1-line block ×4, first 2 shown]
	s_and_saveexec_b32 s3, s2
	s_cbranch_execz .LBB276_14
; %bb.6:
	v_mul_u32_u24_e32 v0, 22, v11
	v_mul_lo_u32 v19, v29, 22
	s_mul_i32 s4, s12, 22
	v_mov_b64_e32 v[14:15], 0
	v_mov_b64_e32 v[16:17], 0
	v_mad_u32 v20, v18, 22, v0
	v_mov_b64_e32 v[0:1], 0
	v_mov_b64_e32 v[12:13], 0
	v_mov_b32_e32 v31, v29
	s_delay_alu instid0(VALU_DEP_4)
	v_subrev_nc_u32_e32 v30, s4, v20
	s_mov_b32 s4, 0
	s_branch .LBB276_8
.LBB276_7:                              ;   in Loop: Header=BB276_8 Depth=1
	v_add_nc_u32_e32 v31, 32, v31
	v_add_nc_u32_e32 v19, 0x2c0, v19
	;; [unrolled: 1-line block ×3, first 2 shown]
	s_delay_alu instid0(VALU_DEP_3) | instskip(SKIP_1) | instid1(SALU_CYCLE_1)
	v_cmp_ge_i32_e32 vcc_lo, v31, v28
	s_or_b32 s4, vcc_lo, s4
	s_and_not1_b32 exec_lo, exec_lo, s4
	s_cbranch_execz .LBB276_13
.LBB276_8:                              ; =>This Loop Header: Depth=1
                                        ;     Child Loop BB276_10 Depth 2
	global_load_b32 v20, v31, s[6:7] scale_offset
	v_mov_b64_e32 v[24:25], v[14:15]
	v_mov_b64_e32 v[26:27], v[16:17]
	;; [unrolled: 1-line block ×3, first 2 shown]
	s_mov_b32 s5, 0
	s_wait_loadcnt 0x0
	v_subrev_nc_u32_e32 v20, s12, v20
	s_delay_alu instid0(VALU_DEP_1)
	v_mul_lo_u32 v32, v20, 11
	v_mov_b64_e32 v[20:21], v[0:1]
	s_branch .LBB276_10
.LBB276_9:                              ;   in Loop: Header=BB276_8 Depth=1
                                        ; implicit-def: $vgpr22_vgpr23
                                        ; implicit-def: $vgpr26_vgpr27
                                        ; implicit-def: $vgpr24_vgpr25
                                        ; implicit-def: $vgpr20_vgpr21
                                        ; implicit-def: $sgpr5
                                        ; implicit-def: $vgpr32
	s_branch .LBB276_7
.LBB276_10:                             ;   Parent Loop BB276_8 Depth=1
                                        ; =>  This Inner Loop Header: Depth=2
	v_dual_add_nc_u32 v0, s5, v30 :: v_dual_add_nc_u32 v33, s5, v19
	s_cmp_eq_u32 s5, 16
	global_load_b128 v[12:15], v32, s[10:11] scale_offset
	s_clause 0x1
	global_load_b128 v[34:37], v0, s[8:9] scale_offset
	global_load_b128 v[38:41], v0, s[8:9] offset:16 scale_offset
	s_wait_xcnt 0x0
	v_dual_add_nc_u32 v0, 1, v32 :: v_dual_add_nc_u32 v1, 2, v33
	global_load_b128 v[42:45], v0, s[10:11] scale_offset
	s_clause 0x1
	global_load_b128 v[46:49], v1, s[8:9] scale_offset
	global_load_b128 v[50:53], v1, s[8:9] offset:16 scale_offset
	s_wait_xcnt 0x0
	v_dual_add_nc_u32 v0, 2, v32 :: v_dual_add_nc_u32 v1, 4, v33
	global_load_b128 v[54:57], v0, s[10:11] scale_offset
	s_clause 0x1
	global_load_b128 v[58:61], v1, s[8:9] scale_offset
	global_load_b128 v[62:65], v1, s[8:9] offset:16 scale_offset
	s_wait_loadcnt 0x7
	v_fmac_f64_e32 v[20:21], v[36:37], v[12:13]
	s_wait_loadcnt 0x6
	v_fmac_f64_e32 v[22:23], v[40:41], v[12:13]
	v_fmac_f64_e32 v[24:25], v[34:35], v[12:13]
	;; [unrolled: 1-line block ×3, first 2 shown]
	s_delay_alu instid0(VALU_DEP_4) | instskip(NEXT) | instid1(VALU_DEP_4)
	v_fmac_f64_e32 v[20:21], v[34:35], v[14:15]
	v_fmac_f64_e32 v[22:23], v[38:39], v[14:15]
	s_wait_xcnt 0x0
	s_delay_alu instid0(VALU_DEP_4) | instskip(NEXT) | instid1(VALU_DEP_4)
	v_fma_f64 v[0:1], -v[36:37], v[14:15], v[24:25]
	v_fma_f64 v[12:13], -v[40:41], v[14:15], v[26:27]
	s_wait_loadcnt 0x4
	s_delay_alu instid0(VALU_DEP_4) | instskip(SKIP_1) | instid1(VALU_DEP_4)
	v_fmac_f64_e32 v[20:21], v[48:49], v[42:43]
	s_wait_loadcnt 0x3
	v_fmac_f64_e32 v[22:23], v[52:53], v[42:43]
	s_delay_alu instid0(VALU_DEP_4) | instskip(NEXT) | instid1(VALU_DEP_4)
	v_fmac_f64_e32 v[0:1], v[46:47], v[42:43]
	v_fmac_f64_e32 v[12:13], v[50:51], v[42:43]
	s_delay_alu instid0(VALU_DEP_4) | instskip(NEXT) | instid1(VALU_DEP_4)
	v_fmac_f64_e32 v[20:21], v[46:47], v[44:45]
	v_fmac_f64_e32 v[22:23], v[50:51], v[44:45]
	s_delay_alu instid0(VALU_DEP_4) | instskip(NEXT) | instid1(VALU_DEP_4)
	v_fma_f64 v[14:15], -v[48:49], v[44:45], v[0:1]
	v_fma_f64 v[16:17], -v[52:53], v[44:45], v[12:13]
	s_wait_loadcnt 0x1
	s_delay_alu instid0(VALU_DEP_4) | instskip(SKIP_1) | instid1(VALU_DEP_4)
	v_fmac_f64_e32 v[20:21], v[60:61], v[54:55]
	s_wait_loadcnt 0x0
	v_fmac_f64_e32 v[22:23], v[64:65], v[54:55]
	s_delay_alu instid0(VALU_DEP_4) | instskip(NEXT) | instid1(VALU_DEP_4)
	v_fmac_f64_e32 v[14:15], v[58:59], v[54:55]
	v_fmac_f64_e32 v[16:17], v[62:63], v[54:55]
	s_delay_alu instid0(VALU_DEP_4) | instskip(NEXT) | instid1(VALU_DEP_4)
	v_mov_b64_e32 v[0:1], v[20:21]
	v_mov_b64_e32 v[12:13], v[22:23]
	s_delay_alu instid0(VALU_DEP_4) | instskip(NEXT) | instid1(VALU_DEP_4)
	v_fma_f64 v[14:15], -v[60:61], v[56:57], v[14:15]
	v_fma_f64 v[16:17], -v[64:65], v[56:57], v[16:17]
	s_delay_alu instid0(VALU_DEP_4) | instskip(NEXT) | instid1(VALU_DEP_4)
	v_fmac_f64_e32 v[0:1], v[58:59], v[56:57]
	v_fmac_f64_e32 v[12:13], v[62:63], v[56:57]
	s_cbranch_scc1 .LBB276_9
; %bb.11:                               ;   in Loop: Header=BB276_10 Depth=2
	v_dual_add_nc_u32 v20, 3, v32 :: v_dual_add_nc_u32 v21, 6, v33
	s_add_co_i32 s5, s5, 8
	global_load_b128 v[34:37], v20, s[10:11] scale_offset
	s_clause 0x1
	global_load_b128 v[38:41], v21, s[8:9] scale_offset
	global_load_b128 v[42:45], v21, s[8:9] offset:16 scale_offset
	s_wait_loadcnt 0x1
	v_dual_fma_f64 v[24:25], v[38:39], v[34:35], v[14:15] :: v_dual_add_nc_u32 v32, 4, v32
	s_wait_xcnt 0x0
	v_fma_f64 v[20:21], v[40:41], v[34:35], v[0:1]
	s_wait_loadcnt 0x0
	v_fma_f64 v[26:27], v[42:43], v[34:35], v[16:17]
	v_fma_f64 v[22:23], v[44:45], v[34:35], v[12:13]
	s_delay_alu instid0(VALU_DEP_4) | instskip(NEXT) | instid1(VALU_DEP_4)
	v_fma_f64 v[24:25], -v[40:41], v[36:37], v[24:25]
	v_fmac_f64_e32 v[20:21], v[38:39], v[36:37]
	s_delay_alu instid0(VALU_DEP_4) | instskip(NEXT) | instid1(VALU_DEP_4)
	v_fma_f64 v[26:27], -v[44:45], v[36:37], v[26:27]
	v_fmac_f64_e32 v[22:23], v[42:43], v[36:37]
	s_cbranch_execnz .LBB276_10
	s_branch .LBB276_7
.LBB276_12:
                                        ; implicit-def: $vgpr0_vgpr1
                                        ; implicit-def: $vgpr14_vgpr15
                                        ; implicit-def: $vgpr16_vgpr17
                                        ; implicit-def: $vgpr12_vgpr13
	s_branch .LBB276_15
.LBB276_13:
	s_or_b32 exec_lo, exec_lo, s4
.LBB276_14:
	s_delay_alu instid0(SALU_CYCLE_1)
	s_or_b32 exec_lo, exec_lo, s3
	s_cbranch_execnz .LBB276_24
.LBB276_15:
	v_mov_b64_e32 v[0:1], 0
	v_mov_b64_e32 v[14:15], 0
	v_mov_b64_e32 v[16:17], 0
	v_mov_b64_e32 v[12:13], 0
	s_and_saveexec_b32 s3, s2
	s_cbranch_execz .LBB276_23
; %bb.16:
	v_mul_u32_u24_e32 v0, 22, v11
	v_mul_lo_u32 v26, v29, 22
	s_mul_i32 s2, s12, 22
	v_mov_b64_e32 v[14:15], 0
	v_mov_b64_e32 v[16:17], 0
	v_mad_u32 v18, v18, 22, v0
	v_mov_b64_e32 v[0:1], 0
	v_mov_b64_e32 v[12:13], 0
	s_delay_alu instid0(VALU_DEP_3)
	v_subrev_nc_u32_e32 v27, s2, v18
	s_mov_b32 s2, 0
	s_branch .LBB276_18
.LBB276_17:                             ;   in Loop: Header=BB276_18 Depth=1
	v_add_nc_u32_e32 v29, 32, v29
	v_add_nc_u32_e32 v26, 0x2c0, v26
	;; [unrolled: 1-line block ×3, first 2 shown]
	s_delay_alu instid0(VALU_DEP_3) | instskip(SKIP_1) | instid1(SALU_CYCLE_1)
	v_cmp_ge_i32_e32 vcc_lo, v29, v28
	s_or_b32 s2, vcc_lo, s2
	s_and_not1_b32 exec_lo, exec_lo, s2
	s_cbranch_execz .LBB276_22
.LBB276_18:                             ; =>This Loop Header: Depth=1
                                        ;     Child Loop BB276_20 Depth 2
	global_load_b32 v18, v29, s[6:7] scale_offset
	v_mov_b64_e32 v[22:23], v[14:15]
	v_mov_b64_e32 v[24:25], v[16:17]
	;; [unrolled: 1-line block ×3, first 2 shown]
	s_mov_b32 s4, 0
	s_wait_loadcnt 0x0
	v_subrev_nc_u32_e32 v18, s12, v18
	s_delay_alu instid0(VALU_DEP_1)
	v_mul_lo_u32 v30, v18, 11
	v_mov_b64_e32 v[18:19], v[0:1]
	s_branch .LBB276_20
.LBB276_19:                             ;   in Loop: Header=BB276_20 Depth=2
	s_and_not1_b32 vcc_lo, exec_lo, s5
	s_cbranch_vccz .LBB276_17
.LBB276_20:                             ;   Parent Loop BB276_18 Depth=1
                                        ; =>  This Inner Loop Header: Depth=2
	v_dual_add_nc_u32 v31, s4, v26 :: v_dual_add_nc_u32 v0, s4, v27
	s_delay_alu instid0(VALU_DEP_3) | instskip(SKIP_2) | instid1(VALU_DEP_2)
	v_add_nc_u32_e32 v32, s4, v30
	s_cmp_eq_u32 s4, 8
	s_mov_b32 s5, -1
	v_add_nc_u32_e32 v1, 11, v31
	global_load_b128 v[12:15], v0, s[8:9] scale_offset
	global_load_b128 v[34:37], v32, s[10:11] scale_offset
	global_load_b128 v[38:41], v1, s[8:9] scale_offset
	s_wait_xcnt 0x0
	v_dual_add_nc_u32 v1, 1, v32 :: v_dual_add_nc_u32 v16, 12, v31
	global_load_b128 v[42:45], v0, s[8:9] offset:16 scale_offset
	global_load_b128 v[46:49], v1, s[10:11] scale_offset
	global_load_b128 v[50:53], v16, s[8:9] scale_offset
	s_wait_xcnt 0x1
	v_dual_add_nc_u32 v0, 2, v31 :: v_dual_add_nc_u32 v1, 2, v32
	global_load_b128 v[54:57], v0, s[8:9] scale_offset
	global_load_b128 v[58:61], v1, s[10:11] scale_offset
	global_load_b128 v[62:65], v16, s[8:9] offset:16 scale_offset
	s_wait_loadcnt 0x7
	v_fmac_f64_e32 v[18:19], v[14:15], v[34:35]
	s_wait_loadcnt 0x6
	v_fmac_f64_e32 v[20:21], v[40:41], v[34:35]
	v_fmac_f64_e32 v[22:23], v[12:13], v[34:35]
	;; [unrolled: 1-line block ×3, first 2 shown]
	s_delay_alu instid0(VALU_DEP_4) | instskip(NEXT) | instid1(VALU_DEP_4)
	v_fmac_f64_e32 v[18:19], v[12:13], v[36:37]
	v_fmac_f64_e32 v[20:21], v[38:39], v[36:37]
	s_wait_xcnt 0x1
	s_delay_alu instid0(VALU_DEP_4) | instskip(NEXT) | instid1(VALU_DEP_4)
	v_fma_f64 v[0:1], -v[14:15], v[36:37], v[22:23]
	v_fma_f64 v[12:13], -v[40:41], v[36:37], v[24:25]
                                        ; implicit-def: $vgpr24_vgpr25
                                        ; implicit-def: $vgpr22_vgpr23
	s_wait_loadcnt 0x4
	s_delay_alu instid0(VALU_DEP_4) | instskip(SKIP_1) | instid1(VALU_DEP_4)
	v_fmac_f64_e32 v[18:19], v[44:45], v[46:47]
	s_wait_loadcnt 0x3
	v_fmac_f64_e32 v[20:21], v[52:53], v[46:47]
	s_delay_alu instid0(VALU_DEP_4) | instskip(NEXT) | instid1(VALU_DEP_4)
	v_fmac_f64_e32 v[0:1], v[42:43], v[46:47]
	v_fmac_f64_e32 v[12:13], v[50:51], v[46:47]
	s_delay_alu instid0(VALU_DEP_4) | instskip(NEXT) | instid1(VALU_DEP_4)
	v_fmac_f64_e32 v[18:19], v[42:43], v[48:49]
	v_fmac_f64_e32 v[20:21], v[50:51], v[48:49]
	s_delay_alu instid0(VALU_DEP_4) | instskip(SKIP_1) | instid1(VALU_DEP_4)
	v_fma_f64 v[14:15], -v[44:45], v[48:49], v[0:1]
	s_wait_xcnt 0x0
	v_fma_f64 v[16:17], -v[52:53], v[48:49], v[12:13]
	s_wait_loadcnt 0x1
	s_delay_alu instid0(VALU_DEP_4) | instskip(SKIP_1) | instid1(VALU_DEP_4)
	v_fmac_f64_e32 v[18:19], v[56:57], v[58:59]
	s_wait_loadcnt 0x0
	v_fmac_f64_e32 v[20:21], v[64:65], v[58:59]
	s_delay_alu instid0(VALU_DEP_4) | instskip(NEXT) | instid1(VALU_DEP_4)
	v_fmac_f64_e32 v[14:15], v[54:55], v[58:59]
	v_fmac_f64_e32 v[16:17], v[62:63], v[58:59]
	s_delay_alu instid0(VALU_DEP_4) | instskip(NEXT) | instid1(VALU_DEP_4)
	v_mov_b64_e32 v[0:1], v[18:19]
	v_mov_b64_e32 v[12:13], v[20:21]
	s_delay_alu instid0(VALU_DEP_4) | instskip(NEXT) | instid1(VALU_DEP_4)
	v_fma_f64 v[14:15], -v[56:57], v[60:61], v[14:15]
	v_fma_f64 v[16:17], -v[64:65], v[60:61], v[16:17]
                                        ; implicit-def: $vgpr20_vgpr21
                                        ; implicit-def: $vgpr18_vgpr19
	s_delay_alu instid0(VALU_DEP_4) | instskip(NEXT) | instid1(VALU_DEP_4)
	v_fmac_f64_e32 v[0:1], v[54:55], v[60:61]
	v_fmac_f64_e32 v[12:13], v[62:63], v[60:61]
	s_cbranch_scc1 .LBB276_19
; %bb.21:                               ;   in Loop: Header=BB276_20 Depth=2
	v_dual_add_nc_u32 v18, 3, v31 :: v_dual_add_nc_u32 v19, 3, v32
	v_add_nc_u32_e32 v20, 14, v31
	s_add_co_i32 s4, s4, 4
	s_mov_b32 s5, 0
	global_load_b128 v[32:35], v18, s[8:9] scale_offset
	global_load_b128 v[36:39], v19, s[10:11] scale_offset
	;; [unrolled: 1-line block ×3, first 2 shown]
	s_wait_loadcnt 0x1
	v_fma_f64 v[22:23], v[32:33], v[36:37], v[14:15]
	v_fma_f64 v[18:19], v[34:35], v[36:37], v[0:1]
	s_wait_loadcnt 0x0
	v_fma_f64 v[24:25], v[40:41], v[36:37], v[16:17]
	v_fma_f64 v[20:21], v[42:43], v[36:37], v[12:13]
	s_delay_alu instid0(VALU_DEP_4) | instskip(NEXT) | instid1(VALU_DEP_4)
	v_fma_f64 v[22:23], -v[34:35], v[38:39], v[22:23]
	v_fmac_f64_e32 v[18:19], v[32:33], v[38:39]
	s_delay_alu instid0(VALU_DEP_4) | instskip(NEXT) | instid1(VALU_DEP_4)
	v_fma_f64 v[24:25], -v[42:43], v[38:39], v[24:25]
	v_fmac_f64_e32 v[20:21], v[40:41], v[38:39]
	s_branch .LBB276_19
.LBB276_22:
	s_or_b32 exec_lo, exec_lo, s2
.LBB276_23:
	s_delay_alu instid0(SALU_CYCLE_1)
	s_or_b32 exec_lo, exec_lo, s3
.LBB276_24:
	v_mbcnt_lo_u32_b32 v28, -1, 0
	s_delay_alu instid0(VALU_DEP_1) | instskip(NEXT) | instid1(VALU_DEP_1)
	v_xor_b32_e32 v18, 16, v28
	v_cmp_gt_i32_e32 vcc_lo, 32, v18
	v_cndmask_b32_e32 v18, v28, v18, vcc_lo
	s_delay_alu instid0(VALU_DEP_1)
	v_lshlrev_b32_e32 v25, 2, v18
	ds_bpermute_b32 v20, v25, v0
	ds_bpermute_b32 v21, v25, v1
	s_wait_dscnt 0x0
	v_add_f64_e32 v[0:1], v[0:1], v[20:21]
	ds_bpermute_b32 v18, v25, v14
	ds_bpermute_b32 v19, v25, v15
	;; [unrolled: 1-line block ×6, first 2 shown]
	s_wait_dscnt 0x4
	v_dual_add_f64 v[14:15], v[14:15], v[18:19] :: v_dual_bitop2_b32 v18, 8, v28 bitop3:0x14
	s_wait_dscnt 0x2
	v_add_f64_e32 v[16:17], v[16:17], v[22:23]
	s_delay_alu instid0(VALU_DEP_2) | instskip(SKIP_2) | instid1(VALU_DEP_1)
	v_cmp_gt_i32_e32 vcc_lo, 32, v18
	v_cndmask_b32_e32 v18, v28, v18, vcc_lo
	s_wait_dscnt 0x0
	v_dual_add_f64 v[12:13], v[12:13], v[24:25] :: v_dual_lshlrev_b32 v25, 2, v18
	ds_bpermute_b32 v20, v25, v0
	ds_bpermute_b32 v21, v25, v1
	;; [unrolled: 1-line block ×8, first 2 shown]
	s_wait_dscnt 0x4
	v_dual_add_f64 v[14:15], v[14:15], v[18:19] :: v_dual_bitop2_b32 v18, 4, v28 bitop3:0x14
	s_wait_dscnt 0x2
	v_add_f64_e32 v[16:17], v[16:17], v[22:23]
	s_delay_alu instid0(VALU_DEP_2) | instskip(SKIP_3) | instid1(VALU_DEP_2)
	v_cmp_gt_i32_e32 vcc_lo, 32, v18
	v_cndmask_b32_e32 v18, v28, v18, vcc_lo
	v_add_f64_e32 v[0:1], v[0:1], v[20:21]
	s_wait_dscnt 0x0
	v_dual_add_f64 v[12:13], v[12:13], v[24:25] :: v_dual_lshlrev_b32 v25, 2, v18
	ds_bpermute_b32 v18, v25, v14
	ds_bpermute_b32 v19, v25, v15
	;; [unrolled: 1-line block ×8, first 2 shown]
	s_wait_dscnt 0x6
	v_add_f64_e32 v[14:15], v[14:15], v[18:19]
	s_wait_dscnt 0x2
	v_add_f64_e32 v[18:19], v[0:1], v[20:21]
	v_add_f64_e32 v[20:21], v[16:17], v[22:23]
	s_wait_dscnt 0x0
	v_add_f64_e32 v[22:23], v[12:13], v[24:25]
	v_xor_b32_e32 v0, 2, v28
	s_delay_alu instid0(VALU_DEP_1) | instskip(SKIP_1) | instid1(VALU_DEP_1)
	v_cmp_gt_i32_e32 vcc_lo, 32, v0
	v_cndmask_b32_e32 v0, v28, v0, vcc_lo
	v_lshlrev_b32_e32 v16, 2, v0
	ds_bpermute_b32 v0, v16, v14
	ds_bpermute_b32 v1, v16, v15
	;; [unrolled: 1-line block ×8, first 2 shown]
	s_wait_dscnt 0x4
	v_add_f64_e32 v[16:17], v[18:19], v[12:13]
	v_xor_b32_e32 v18, 1, v28
	s_wait_dscnt 0x2
	v_add_f64_e32 v[12:13], v[20:21], v[24:25]
	s_delay_alu instid0(VALU_DEP_2)
	v_cmp_gt_i32_e32 vcc_lo, 32, v18
	v_add_f64_e32 v[0:1], v[14:15], v[0:1]
	s_wait_dscnt 0x0
	v_add_f64_e32 v[14:15], v[22:23], v[26:27]
	v_cndmask_b32_e32 v18, v28, v18, vcc_lo
	v_cmp_eq_u32_e32 vcc_lo, 31, v11
	s_delay_alu instid0(VALU_DEP_2)
	v_lshlrev_b32_e32 v21, 2, v18
	ds_bpermute_b32 v22, v21, v16
	ds_bpermute_b32 v23, v21, v17
	;; [unrolled: 1-line block ×8, first 2 shown]
	s_and_b32 exec_lo, exec_lo, vcc_lo
	s_cbranch_execz .LBB276_29
; %bb.25:
	v_cmp_eq_f64_e32 vcc_lo, 0, v[6:7]
	v_cmp_eq_f64_e64 s2, 0, v[8:9]
	s_wait_dscnt 0x2
	v_add_f64_e32 v[0:1], v[0:1], v[24:25]
	v_add_f64_e32 v[16:17], v[16:17], v[22:23]
	;; [unrolled: 1-line block ×3, first 2 shown]
	s_wait_dscnt 0x0
	v_add_f64_e32 v[14:15], v[14:15], v[20:21]
	s_load_b64 s[0:1], s[0:1], 0x48
	s_and_b32 s2, vcc_lo, s2
	s_delay_alu instid0(SALU_CYCLE_1) | instskip(NEXT) | instid1(SALU_CYCLE_1)
	s_and_saveexec_b32 s3, s2
	s_xor_b32 s2, exec_lo, s3
	s_cbranch_execz .LBB276_27
; %bb.26:
	s_delay_alu instid0(VALU_DEP_3) | instskip(SKIP_1) | instid1(VALU_DEP_3)
	v_mul_f64_e64 v[6:7], v[16:17], -v[4:5]
	v_mul_f64_e32 v[8:9], v[2:3], v[16:17]
	v_mul_f64_e64 v[16:17], v[14:15], -v[4:5]
	v_mul_f64_e32 v[18:19], v[2:3], v[14:15]
                                        ; implicit-def: $vgpr14_vgpr15
	s_delay_alu instid0(VALU_DEP_4) | instskip(NEXT) | instid1(VALU_DEP_4)
	v_fmac_f64_e32 v[6:7], v[2:3], v[0:1]
	v_fmac_f64_e32 v[8:9], v[4:5], v[0:1]
	s_delay_alu instid0(VALU_DEP_4) | instskip(NEXT) | instid1(VALU_DEP_4)
	v_fmac_f64_e32 v[16:17], v[2:3], v[12:13]
	v_fmac_f64_e32 v[18:19], v[4:5], v[12:13]
	v_lshlrev_b32_e32 v0, 1, v10
                                        ; implicit-def: $vgpr10
                                        ; implicit-def: $vgpr12_vgpr13
                                        ; implicit-def: $vgpr4_vgpr5
	s_wait_kmcnt 0x0
	s_clause 0x1
	global_store_b128 v0, v[6:9], s[0:1] scale_offset
	global_store_b128 v0, v[16:19], s[0:1] offset:16 scale_offset
                                        ; implicit-def: $vgpr0_vgpr1
                                        ; implicit-def: $vgpr16_vgpr17
                                        ; implicit-def: $vgpr8_vgpr9
.LBB276_27:
	s_wait_xcnt 0x0
	s_and_not1_saveexec_b32 s2, s2
	s_cbranch_execz .LBB276_29
; %bb.28:
	s_delay_alu instid0(VALU_DEP_3) | instskip(SKIP_1) | instid1(VALU_DEP_3)
	v_dual_mul_f64 v[26:27], v[16:17], -v[4:5] :: v_dual_lshlrev_b32 v30, 1, v10
	v_mul_f64_e32 v[16:17], v[2:3], v[16:17]
	v_mul_f64_e64 v[28:29], v[14:15], -v[4:5]
	v_mul_f64_e32 v[10:11], v[2:3], v[14:15]
	s_wait_kmcnt 0x0
	s_clause 0x1
	global_load_b128 v[18:21], v30, s[0:1] scale_offset
	global_load_b128 v[22:25], v30, s[0:1] offset:16 scale_offset
	v_fmac_f64_e32 v[26:27], v[2:3], v[0:1]
	v_fmac_f64_e32 v[16:17], v[4:5], v[0:1]
	;; [unrolled: 1-line block ×4, first 2 shown]
	s_wait_loadcnt 0x1
	s_delay_alu instid0(VALU_DEP_4) | instskip(NEXT) | instid1(VALU_DEP_4)
	v_fmac_f64_e32 v[26:27], v[6:7], v[18:19]
	v_fmac_f64_e32 v[16:17], v[8:9], v[18:19]
	s_wait_loadcnt 0x0
	s_delay_alu instid0(VALU_DEP_4) | instskip(NEXT) | instid1(VALU_DEP_4)
	v_fmac_f64_e32 v[28:29], v[6:7], v[22:23]
	v_fmac_f64_e32 v[10:11], v[8:9], v[22:23]
	s_delay_alu instid0(VALU_DEP_4) | instskip(NEXT) | instid1(VALU_DEP_4)
	v_fma_f64 v[14:15], -v[8:9], v[20:21], v[26:27]
	v_fmac_f64_e32 v[16:17], v[6:7], v[20:21]
	s_delay_alu instid0(VALU_DEP_4) | instskip(NEXT) | instid1(VALU_DEP_4)
	v_fma_f64 v[8:9], -v[8:9], v[24:25], v[28:29]
	v_fmac_f64_e32 v[10:11], v[6:7], v[24:25]
	s_clause 0x1
	global_store_b128 v30, v[14:17], s[0:1] scale_offset
	global_store_b128 v30, v[8:11], s[0:1] offset:16 scale_offset
.LBB276_29:
	s_sendmsg sendmsg(MSG_DEALLOC_VGPRS)
	s_endpgm
	.section	.rodata,"a",@progbits
	.p2align	6, 0x0
	.amdhsa_kernel _ZN9rocsparseL19gebsrmvn_2xn_kernelILj128ELj11ELj32E21rocsparse_complex_numIdEEEvi20rocsparse_direction_NS_24const_host_device_scalarIT2_EEPKiS8_PKS5_SA_S6_PS5_21rocsparse_index_base_b
		.amdhsa_group_segment_fixed_size 0
		.amdhsa_private_segment_fixed_size 0
		.amdhsa_kernarg_size 88
		.amdhsa_user_sgpr_count 2
		.amdhsa_user_sgpr_dispatch_ptr 0
		.amdhsa_user_sgpr_queue_ptr 0
		.amdhsa_user_sgpr_kernarg_segment_ptr 1
		.amdhsa_user_sgpr_dispatch_id 0
		.amdhsa_user_sgpr_kernarg_preload_length 0
		.amdhsa_user_sgpr_kernarg_preload_offset 0
		.amdhsa_user_sgpr_private_segment_size 0
		.amdhsa_wavefront_size32 1
		.amdhsa_uses_dynamic_stack 0
		.amdhsa_enable_private_segment 0
		.amdhsa_system_sgpr_workgroup_id_x 1
		.amdhsa_system_sgpr_workgroup_id_y 0
		.amdhsa_system_sgpr_workgroup_id_z 0
		.amdhsa_system_sgpr_workgroup_info 0
		.amdhsa_system_vgpr_workitem_id 0
		.amdhsa_next_free_vgpr 66
		.amdhsa_next_free_sgpr 14
		.amdhsa_named_barrier_count 0
		.amdhsa_reserve_vcc 1
		.amdhsa_float_round_mode_32 0
		.amdhsa_float_round_mode_16_64 0
		.amdhsa_float_denorm_mode_32 3
		.amdhsa_float_denorm_mode_16_64 3
		.amdhsa_fp16_overflow 0
		.amdhsa_memory_ordered 1
		.amdhsa_forward_progress 1
		.amdhsa_inst_pref_size 21
		.amdhsa_round_robin_scheduling 0
		.amdhsa_exception_fp_ieee_invalid_op 0
		.amdhsa_exception_fp_denorm_src 0
		.amdhsa_exception_fp_ieee_div_zero 0
		.amdhsa_exception_fp_ieee_overflow 0
		.amdhsa_exception_fp_ieee_underflow 0
		.amdhsa_exception_fp_ieee_inexact 0
		.amdhsa_exception_int_div_zero 0
	.end_amdhsa_kernel
	.section	.text._ZN9rocsparseL19gebsrmvn_2xn_kernelILj128ELj11ELj32E21rocsparse_complex_numIdEEEvi20rocsparse_direction_NS_24const_host_device_scalarIT2_EEPKiS8_PKS5_SA_S6_PS5_21rocsparse_index_base_b,"axG",@progbits,_ZN9rocsparseL19gebsrmvn_2xn_kernelILj128ELj11ELj32E21rocsparse_complex_numIdEEEvi20rocsparse_direction_NS_24const_host_device_scalarIT2_EEPKiS8_PKS5_SA_S6_PS5_21rocsparse_index_base_b,comdat
.Lfunc_end276:
	.size	_ZN9rocsparseL19gebsrmvn_2xn_kernelILj128ELj11ELj32E21rocsparse_complex_numIdEEEvi20rocsparse_direction_NS_24const_host_device_scalarIT2_EEPKiS8_PKS5_SA_S6_PS5_21rocsparse_index_base_b, .Lfunc_end276-_ZN9rocsparseL19gebsrmvn_2xn_kernelILj128ELj11ELj32E21rocsparse_complex_numIdEEEvi20rocsparse_direction_NS_24const_host_device_scalarIT2_EEPKiS8_PKS5_SA_S6_PS5_21rocsparse_index_base_b
                                        ; -- End function
	.set _ZN9rocsparseL19gebsrmvn_2xn_kernelILj128ELj11ELj32E21rocsparse_complex_numIdEEEvi20rocsparse_direction_NS_24const_host_device_scalarIT2_EEPKiS8_PKS5_SA_S6_PS5_21rocsparse_index_base_b.num_vgpr, 66
	.set _ZN9rocsparseL19gebsrmvn_2xn_kernelILj128ELj11ELj32E21rocsparse_complex_numIdEEEvi20rocsparse_direction_NS_24const_host_device_scalarIT2_EEPKiS8_PKS5_SA_S6_PS5_21rocsparse_index_base_b.num_agpr, 0
	.set _ZN9rocsparseL19gebsrmvn_2xn_kernelILj128ELj11ELj32E21rocsparse_complex_numIdEEEvi20rocsparse_direction_NS_24const_host_device_scalarIT2_EEPKiS8_PKS5_SA_S6_PS5_21rocsparse_index_base_b.numbered_sgpr, 14
	.set _ZN9rocsparseL19gebsrmvn_2xn_kernelILj128ELj11ELj32E21rocsparse_complex_numIdEEEvi20rocsparse_direction_NS_24const_host_device_scalarIT2_EEPKiS8_PKS5_SA_S6_PS5_21rocsparse_index_base_b.num_named_barrier, 0
	.set _ZN9rocsparseL19gebsrmvn_2xn_kernelILj128ELj11ELj32E21rocsparse_complex_numIdEEEvi20rocsparse_direction_NS_24const_host_device_scalarIT2_EEPKiS8_PKS5_SA_S6_PS5_21rocsparse_index_base_b.private_seg_size, 0
	.set _ZN9rocsparseL19gebsrmvn_2xn_kernelILj128ELj11ELj32E21rocsparse_complex_numIdEEEvi20rocsparse_direction_NS_24const_host_device_scalarIT2_EEPKiS8_PKS5_SA_S6_PS5_21rocsparse_index_base_b.uses_vcc, 1
	.set _ZN9rocsparseL19gebsrmvn_2xn_kernelILj128ELj11ELj32E21rocsparse_complex_numIdEEEvi20rocsparse_direction_NS_24const_host_device_scalarIT2_EEPKiS8_PKS5_SA_S6_PS5_21rocsparse_index_base_b.uses_flat_scratch, 0
	.set _ZN9rocsparseL19gebsrmvn_2xn_kernelILj128ELj11ELj32E21rocsparse_complex_numIdEEEvi20rocsparse_direction_NS_24const_host_device_scalarIT2_EEPKiS8_PKS5_SA_S6_PS5_21rocsparse_index_base_b.has_dyn_sized_stack, 0
	.set _ZN9rocsparseL19gebsrmvn_2xn_kernelILj128ELj11ELj32E21rocsparse_complex_numIdEEEvi20rocsparse_direction_NS_24const_host_device_scalarIT2_EEPKiS8_PKS5_SA_S6_PS5_21rocsparse_index_base_b.has_recursion, 0
	.set _ZN9rocsparseL19gebsrmvn_2xn_kernelILj128ELj11ELj32E21rocsparse_complex_numIdEEEvi20rocsparse_direction_NS_24const_host_device_scalarIT2_EEPKiS8_PKS5_SA_S6_PS5_21rocsparse_index_base_b.has_indirect_call, 0
	.section	.AMDGPU.csdata,"",@progbits
; Kernel info:
; codeLenInByte = 2688
; TotalNumSgprs: 16
; NumVgprs: 66
; ScratchSize: 0
; MemoryBound: 0
; FloatMode: 240
; IeeeMode: 1
; LDSByteSize: 0 bytes/workgroup (compile time only)
; SGPRBlocks: 0
; VGPRBlocks: 4
; NumSGPRsForWavesPerEU: 16
; NumVGPRsForWavesPerEU: 66
; NamedBarCnt: 0
; Occupancy: 12
; WaveLimiterHint : 1
; COMPUTE_PGM_RSRC2:SCRATCH_EN: 0
; COMPUTE_PGM_RSRC2:USER_SGPR: 2
; COMPUTE_PGM_RSRC2:TRAP_HANDLER: 0
; COMPUTE_PGM_RSRC2:TGID_X_EN: 1
; COMPUTE_PGM_RSRC2:TGID_Y_EN: 0
; COMPUTE_PGM_RSRC2:TGID_Z_EN: 0
; COMPUTE_PGM_RSRC2:TIDIG_COMP_CNT: 0
	.section	.text._ZN9rocsparseL19gebsrmvn_2xn_kernelILj128ELj11ELj64E21rocsparse_complex_numIdEEEvi20rocsparse_direction_NS_24const_host_device_scalarIT2_EEPKiS8_PKS5_SA_S6_PS5_21rocsparse_index_base_b,"axG",@progbits,_ZN9rocsparseL19gebsrmvn_2xn_kernelILj128ELj11ELj64E21rocsparse_complex_numIdEEEvi20rocsparse_direction_NS_24const_host_device_scalarIT2_EEPKiS8_PKS5_SA_S6_PS5_21rocsparse_index_base_b,comdat
	.globl	_ZN9rocsparseL19gebsrmvn_2xn_kernelILj128ELj11ELj64E21rocsparse_complex_numIdEEEvi20rocsparse_direction_NS_24const_host_device_scalarIT2_EEPKiS8_PKS5_SA_S6_PS5_21rocsparse_index_base_b ; -- Begin function _ZN9rocsparseL19gebsrmvn_2xn_kernelILj128ELj11ELj64E21rocsparse_complex_numIdEEEvi20rocsparse_direction_NS_24const_host_device_scalarIT2_EEPKiS8_PKS5_SA_S6_PS5_21rocsparse_index_base_b
	.p2align	8
	.type	_ZN9rocsparseL19gebsrmvn_2xn_kernelILj128ELj11ELj64E21rocsparse_complex_numIdEEEvi20rocsparse_direction_NS_24const_host_device_scalarIT2_EEPKiS8_PKS5_SA_S6_PS5_21rocsparse_index_base_b,@function
_ZN9rocsparseL19gebsrmvn_2xn_kernelILj128ELj11ELj64E21rocsparse_complex_numIdEEEvi20rocsparse_direction_NS_24const_host_device_scalarIT2_EEPKiS8_PKS5_SA_S6_PS5_21rocsparse_index_base_b: ; @_ZN9rocsparseL19gebsrmvn_2xn_kernelILj128ELj11ELj64E21rocsparse_complex_numIdEEEvi20rocsparse_direction_NS_24const_host_device_scalarIT2_EEPKiS8_PKS5_SA_S6_PS5_21rocsparse_index_base_b
; %bb.0:
	s_clause 0x1
	s_load_b64 s[12:13], s[0:1], 0x50
	s_load_b64 s[2:3], s[0:1], 0x8
	v_mov_b32_e32 v1, 0
	s_add_nc_u64 s[4:5], s[0:1], 8
	s_load_b64 s[6:7], s[0:1], 0x38
	s_wait_kmcnt 0x0
	s_bitcmp1_b32 s13, 0
	s_cselect_b32 s3, s5, s3
	s_cselect_b32 s2, s4, s2
	flat_load_b128 v[2:5], v1, s[2:3]
	s_wait_xcnt 0x0
	s_add_nc_u64 s[2:3], s[0:1], 56
	s_delay_alu instid0(SALU_CYCLE_1)
	s_cselect_b32 s3, s3, s7
	s_cselect_b32 s2, s2, s6
	flat_load_b128 v[6:9], v1, s[2:3]
	s_wait_loadcnt_dscnt 0x101
	v_cmp_eq_f64_e32 vcc_lo, 0, v[2:3]
	s_wait_xcnt 0x0
	v_cmp_eq_f64_e64 s2, 0, v[4:5]
	s_and_b32 s4, vcc_lo, s2
	s_mov_b32 s2, -1
	s_and_saveexec_b32 s3, s4
	s_cbranch_execz .LBB277_2
; %bb.1:
	s_wait_loadcnt_dscnt 0x0
	v_cmp_neq_f64_e32 vcc_lo, 1.0, v[6:7]
	v_cmp_neq_f64_e64 s2, 0, v[8:9]
	s_or_b32 s2, vcc_lo, s2
	s_delay_alu instid0(SALU_CYCLE_1)
	s_or_not1_b32 s2, s2, exec_lo
.LBB277_2:
	s_or_b32 exec_lo, exec_lo, s3
	s_and_saveexec_b32 s3, s2
	s_cbranch_execz .LBB277_29
; %bb.3:
	s_load_b64 s[2:3], s[0:1], 0x0
	s_bfe_u32 s4, ttmp6, 0x4000c
	s_and_b32 s5, ttmp6, 15
	s_add_co_i32 s4, s4, 1
	s_getreg_b32 s6, hwreg(HW_REG_IB_STS2, 6, 4)
	s_mul_i32 s4, ttmp9, s4
	v_lshrrev_b32_e32 v1, 6, v0
	s_add_co_i32 s5, s5, s4
	s_cmp_eq_u32 s6, 0
	s_cselect_b32 s4, ttmp9, s5
	s_delay_alu instid0(VALU_DEP_1) | instid1(SALU_CYCLE_1)
	v_lshl_or_b32 v10, s4, 1, v1
	s_wait_kmcnt 0x0
	s_delay_alu instid0(VALU_DEP_1)
	v_cmp_gt_i32_e32 vcc_lo, s2, v10
	s_and_b32 exec_lo, exec_lo, vcc_lo
	s_cbranch_execz .LBB277_29
; %bb.4:
	s_load_b256 s[4:11], s[0:1], 0x18
	v_ashrrev_i32_e32 v11, 31, v10
	s_cmp_lg_u32 s3, 0
	s_wait_kmcnt 0x0
	s_delay_alu instid0(VALU_DEP_1)
	v_lshl_add_u64 v[12:13], v[10:11], 2, s[4:5]
	v_and_b32_e32 v11, 63, v0
	global_load_b64 v[18:19], v[12:13], off
	s_wait_loadcnt 0x0
	v_subrev_nc_u32_e32 v0, s12, v18
	v_subrev_nc_u32_e32 v28, s12, v19
	s_delay_alu instid0(VALU_DEP_2) | instskip(NEXT) | instid1(VALU_DEP_1)
	v_add_nc_u32_e32 v29, v0, v11
	v_cmp_lt_i32_e64 s2, v29, v28
	s_cbranch_scc0 .LBB277_12
; %bb.5:
	v_mov_b64_e32 v[0:1], 0
	v_mov_b64_e32 v[14:15], 0
	;; [unrolled: 1-line block ×4, first 2 shown]
	s_and_saveexec_b32 s3, s2
	s_cbranch_execz .LBB277_14
; %bb.6:
	v_mul_u32_u24_e32 v0, 22, v11
	v_mul_lo_u32 v19, v29, 22
	s_mul_i32 s4, s12, 22
	v_mov_b64_e32 v[14:15], 0
	v_mov_b64_e32 v[16:17], 0
	v_mad_u32 v20, v18, 22, v0
	v_mov_b64_e32 v[0:1], 0
	v_mov_b64_e32 v[12:13], 0
	v_mov_b32_e32 v31, v29
	s_delay_alu instid0(VALU_DEP_4)
	v_subrev_nc_u32_e32 v30, s4, v20
	s_mov_b32 s4, 0
	s_branch .LBB277_8
.LBB277_7:                              ;   in Loop: Header=BB277_8 Depth=1
	v_add_nc_u32_e32 v31, 64, v31
	v_add_nc_u32_e32 v19, 0x580, v19
	;; [unrolled: 1-line block ×3, first 2 shown]
	s_delay_alu instid0(VALU_DEP_3) | instskip(SKIP_1) | instid1(SALU_CYCLE_1)
	v_cmp_ge_i32_e32 vcc_lo, v31, v28
	s_or_b32 s4, vcc_lo, s4
	s_and_not1_b32 exec_lo, exec_lo, s4
	s_cbranch_execz .LBB277_13
.LBB277_8:                              ; =>This Loop Header: Depth=1
                                        ;     Child Loop BB277_10 Depth 2
	global_load_b32 v20, v31, s[6:7] scale_offset
	v_mov_b64_e32 v[24:25], v[14:15]
	v_mov_b64_e32 v[26:27], v[16:17]
	v_mov_b64_e32 v[22:23], v[12:13]
	s_mov_b32 s5, 0
	s_wait_loadcnt 0x0
	v_subrev_nc_u32_e32 v20, s12, v20
	s_delay_alu instid0(VALU_DEP_1)
	v_mul_lo_u32 v32, v20, 11
	v_mov_b64_e32 v[20:21], v[0:1]
	s_branch .LBB277_10
.LBB277_9:                              ;   in Loop: Header=BB277_8 Depth=1
                                        ; implicit-def: $vgpr22_vgpr23
                                        ; implicit-def: $vgpr26_vgpr27
                                        ; implicit-def: $vgpr24_vgpr25
                                        ; implicit-def: $vgpr20_vgpr21
                                        ; implicit-def: $sgpr5
                                        ; implicit-def: $vgpr32
	s_branch .LBB277_7
.LBB277_10:                             ;   Parent Loop BB277_8 Depth=1
                                        ; =>  This Inner Loop Header: Depth=2
	v_dual_add_nc_u32 v0, s5, v30 :: v_dual_add_nc_u32 v33, s5, v19
	s_cmp_eq_u32 s5, 16
	global_load_b128 v[12:15], v32, s[10:11] scale_offset
	s_clause 0x1
	global_load_b128 v[34:37], v0, s[8:9] scale_offset
	global_load_b128 v[38:41], v0, s[8:9] offset:16 scale_offset
	s_wait_xcnt 0x0
	v_dual_add_nc_u32 v0, 1, v32 :: v_dual_add_nc_u32 v1, 2, v33
	global_load_b128 v[42:45], v0, s[10:11] scale_offset
	s_clause 0x1
	global_load_b128 v[46:49], v1, s[8:9] scale_offset
	global_load_b128 v[50:53], v1, s[8:9] offset:16 scale_offset
	s_wait_xcnt 0x0
	v_dual_add_nc_u32 v0, 2, v32 :: v_dual_add_nc_u32 v1, 4, v33
	global_load_b128 v[54:57], v0, s[10:11] scale_offset
	s_clause 0x1
	global_load_b128 v[58:61], v1, s[8:9] scale_offset
	global_load_b128 v[62:65], v1, s[8:9] offset:16 scale_offset
	s_wait_loadcnt 0x7
	v_fmac_f64_e32 v[20:21], v[36:37], v[12:13]
	s_wait_loadcnt 0x6
	v_fmac_f64_e32 v[22:23], v[40:41], v[12:13]
	v_fmac_f64_e32 v[24:25], v[34:35], v[12:13]
	;; [unrolled: 1-line block ×3, first 2 shown]
	s_delay_alu instid0(VALU_DEP_4) | instskip(NEXT) | instid1(VALU_DEP_4)
	v_fmac_f64_e32 v[20:21], v[34:35], v[14:15]
	v_fmac_f64_e32 v[22:23], v[38:39], v[14:15]
	s_wait_xcnt 0x0
	s_delay_alu instid0(VALU_DEP_4) | instskip(NEXT) | instid1(VALU_DEP_4)
	v_fma_f64 v[0:1], -v[36:37], v[14:15], v[24:25]
	v_fma_f64 v[12:13], -v[40:41], v[14:15], v[26:27]
	s_wait_loadcnt 0x4
	s_delay_alu instid0(VALU_DEP_4) | instskip(SKIP_1) | instid1(VALU_DEP_4)
	v_fmac_f64_e32 v[20:21], v[48:49], v[42:43]
	s_wait_loadcnt 0x3
	v_fmac_f64_e32 v[22:23], v[52:53], v[42:43]
	s_delay_alu instid0(VALU_DEP_4) | instskip(NEXT) | instid1(VALU_DEP_4)
	v_fmac_f64_e32 v[0:1], v[46:47], v[42:43]
	v_fmac_f64_e32 v[12:13], v[50:51], v[42:43]
	s_delay_alu instid0(VALU_DEP_4) | instskip(NEXT) | instid1(VALU_DEP_4)
	v_fmac_f64_e32 v[20:21], v[46:47], v[44:45]
	v_fmac_f64_e32 v[22:23], v[50:51], v[44:45]
	s_delay_alu instid0(VALU_DEP_4) | instskip(NEXT) | instid1(VALU_DEP_4)
	v_fma_f64 v[14:15], -v[48:49], v[44:45], v[0:1]
	v_fma_f64 v[16:17], -v[52:53], v[44:45], v[12:13]
	s_wait_loadcnt 0x1
	s_delay_alu instid0(VALU_DEP_4) | instskip(SKIP_1) | instid1(VALU_DEP_4)
	v_fmac_f64_e32 v[20:21], v[60:61], v[54:55]
	s_wait_loadcnt 0x0
	v_fmac_f64_e32 v[22:23], v[64:65], v[54:55]
	s_delay_alu instid0(VALU_DEP_4) | instskip(NEXT) | instid1(VALU_DEP_4)
	v_fmac_f64_e32 v[14:15], v[58:59], v[54:55]
	v_fmac_f64_e32 v[16:17], v[62:63], v[54:55]
	s_delay_alu instid0(VALU_DEP_4) | instskip(NEXT) | instid1(VALU_DEP_4)
	v_mov_b64_e32 v[0:1], v[20:21]
	v_mov_b64_e32 v[12:13], v[22:23]
	s_delay_alu instid0(VALU_DEP_4) | instskip(NEXT) | instid1(VALU_DEP_4)
	v_fma_f64 v[14:15], -v[60:61], v[56:57], v[14:15]
	v_fma_f64 v[16:17], -v[64:65], v[56:57], v[16:17]
	s_delay_alu instid0(VALU_DEP_4) | instskip(NEXT) | instid1(VALU_DEP_4)
	v_fmac_f64_e32 v[0:1], v[58:59], v[56:57]
	v_fmac_f64_e32 v[12:13], v[62:63], v[56:57]
	s_cbranch_scc1 .LBB277_9
; %bb.11:                               ;   in Loop: Header=BB277_10 Depth=2
	v_dual_add_nc_u32 v20, 3, v32 :: v_dual_add_nc_u32 v21, 6, v33
	s_add_co_i32 s5, s5, 8
	global_load_b128 v[34:37], v20, s[10:11] scale_offset
	s_clause 0x1
	global_load_b128 v[38:41], v21, s[8:9] scale_offset
	global_load_b128 v[42:45], v21, s[8:9] offset:16 scale_offset
	s_wait_loadcnt 0x1
	v_dual_fma_f64 v[24:25], v[38:39], v[34:35], v[14:15] :: v_dual_add_nc_u32 v32, 4, v32
	s_wait_xcnt 0x0
	v_fma_f64 v[20:21], v[40:41], v[34:35], v[0:1]
	s_wait_loadcnt 0x0
	v_fma_f64 v[26:27], v[42:43], v[34:35], v[16:17]
	v_fma_f64 v[22:23], v[44:45], v[34:35], v[12:13]
	s_delay_alu instid0(VALU_DEP_4) | instskip(NEXT) | instid1(VALU_DEP_4)
	v_fma_f64 v[24:25], -v[40:41], v[36:37], v[24:25]
	v_fmac_f64_e32 v[20:21], v[38:39], v[36:37]
	s_delay_alu instid0(VALU_DEP_4) | instskip(NEXT) | instid1(VALU_DEP_4)
	v_fma_f64 v[26:27], -v[44:45], v[36:37], v[26:27]
	v_fmac_f64_e32 v[22:23], v[42:43], v[36:37]
	s_cbranch_execnz .LBB277_10
	s_branch .LBB277_7
.LBB277_12:
                                        ; implicit-def: $vgpr0_vgpr1
                                        ; implicit-def: $vgpr14_vgpr15
                                        ; implicit-def: $vgpr16_vgpr17
                                        ; implicit-def: $vgpr12_vgpr13
	s_branch .LBB277_15
.LBB277_13:
	s_or_b32 exec_lo, exec_lo, s4
.LBB277_14:
	s_delay_alu instid0(SALU_CYCLE_1)
	s_or_b32 exec_lo, exec_lo, s3
	s_cbranch_execnz .LBB277_24
.LBB277_15:
	v_mov_b64_e32 v[0:1], 0
	v_mov_b64_e32 v[14:15], 0
	;; [unrolled: 1-line block ×4, first 2 shown]
	s_and_saveexec_b32 s3, s2
	s_cbranch_execz .LBB277_23
; %bb.16:
	v_mul_u32_u24_e32 v0, 22, v11
	v_mul_lo_u32 v26, v29, 22
	s_mul_i32 s2, s12, 22
	v_mov_b64_e32 v[14:15], 0
	v_mov_b64_e32 v[16:17], 0
	v_mad_u32 v18, v18, 22, v0
	v_mov_b64_e32 v[0:1], 0
	v_mov_b64_e32 v[12:13], 0
	s_delay_alu instid0(VALU_DEP_3)
	v_subrev_nc_u32_e32 v27, s2, v18
	s_mov_b32 s2, 0
	s_branch .LBB277_18
.LBB277_17:                             ;   in Loop: Header=BB277_18 Depth=1
	v_add_nc_u32_e32 v29, 64, v29
	v_add_nc_u32_e32 v26, 0x580, v26
	;; [unrolled: 1-line block ×3, first 2 shown]
	s_delay_alu instid0(VALU_DEP_3) | instskip(SKIP_1) | instid1(SALU_CYCLE_1)
	v_cmp_ge_i32_e32 vcc_lo, v29, v28
	s_or_b32 s2, vcc_lo, s2
	s_and_not1_b32 exec_lo, exec_lo, s2
	s_cbranch_execz .LBB277_22
.LBB277_18:                             ; =>This Loop Header: Depth=1
                                        ;     Child Loop BB277_20 Depth 2
	global_load_b32 v18, v29, s[6:7] scale_offset
	v_mov_b64_e32 v[22:23], v[14:15]
	v_mov_b64_e32 v[24:25], v[16:17]
	;; [unrolled: 1-line block ×3, first 2 shown]
	s_mov_b32 s4, 0
	s_wait_loadcnt 0x0
	v_subrev_nc_u32_e32 v18, s12, v18
	s_delay_alu instid0(VALU_DEP_1)
	v_mul_lo_u32 v30, v18, 11
	v_mov_b64_e32 v[18:19], v[0:1]
	s_branch .LBB277_20
.LBB277_19:                             ;   in Loop: Header=BB277_20 Depth=2
	s_and_not1_b32 vcc_lo, exec_lo, s5
	s_cbranch_vccz .LBB277_17
.LBB277_20:                             ;   Parent Loop BB277_18 Depth=1
                                        ; =>  This Inner Loop Header: Depth=2
	v_dual_add_nc_u32 v31, s4, v26 :: v_dual_add_nc_u32 v0, s4, v27
	s_delay_alu instid0(VALU_DEP_3) | instskip(SKIP_2) | instid1(VALU_DEP_2)
	v_add_nc_u32_e32 v32, s4, v30
	s_cmp_eq_u32 s4, 8
	s_mov_b32 s5, -1
	v_add_nc_u32_e32 v1, 11, v31
	global_load_b128 v[12:15], v0, s[8:9] scale_offset
	global_load_b128 v[34:37], v32, s[10:11] scale_offset
	;; [unrolled: 1-line block ×3, first 2 shown]
	s_wait_xcnt 0x0
	v_dual_add_nc_u32 v1, 1, v32 :: v_dual_add_nc_u32 v16, 12, v31
	global_load_b128 v[42:45], v0, s[8:9] offset:16 scale_offset
	global_load_b128 v[46:49], v1, s[10:11] scale_offset
	global_load_b128 v[50:53], v16, s[8:9] scale_offset
	s_wait_xcnt 0x1
	v_dual_add_nc_u32 v0, 2, v31 :: v_dual_add_nc_u32 v1, 2, v32
	global_load_b128 v[54:57], v0, s[8:9] scale_offset
	global_load_b128 v[58:61], v1, s[10:11] scale_offset
	global_load_b128 v[62:65], v16, s[8:9] offset:16 scale_offset
	s_wait_loadcnt 0x7
	v_fmac_f64_e32 v[18:19], v[14:15], v[34:35]
	s_wait_loadcnt 0x6
	v_fmac_f64_e32 v[20:21], v[40:41], v[34:35]
	v_fmac_f64_e32 v[22:23], v[12:13], v[34:35]
	;; [unrolled: 1-line block ×3, first 2 shown]
	s_delay_alu instid0(VALU_DEP_4) | instskip(NEXT) | instid1(VALU_DEP_4)
	v_fmac_f64_e32 v[18:19], v[12:13], v[36:37]
	v_fmac_f64_e32 v[20:21], v[38:39], v[36:37]
	s_wait_xcnt 0x1
	s_delay_alu instid0(VALU_DEP_4) | instskip(NEXT) | instid1(VALU_DEP_4)
	v_fma_f64 v[0:1], -v[14:15], v[36:37], v[22:23]
	v_fma_f64 v[12:13], -v[40:41], v[36:37], v[24:25]
                                        ; implicit-def: $vgpr24_vgpr25
                                        ; implicit-def: $vgpr22_vgpr23
	s_wait_loadcnt 0x4
	s_delay_alu instid0(VALU_DEP_4) | instskip(SKIP_1) | instid1(VALU_DEP_4)
	v_fmac_f64_e32 v[18:19], v[44:45], v[46:47]
	s_wait_loadcnt 0x3
	v_fmac_f64_e32 v[20:21], v[52:53], v[46:47]
	s_delay_alu instid0(VALU_DEP_4) | instskip(NEXT) | instid1(VALU_DEP_4)
	v_fmac_f64_e32 v[0:1], v[42:43], v[46:47]
	v_fmac_f64_e32 v[12:13], v[50:51], v[46:47]
	s_delay_alu instid0(VALU_DEP_4) | instskip(NEXT) | instid1(VALU_DEP_4)
	v_fmac_f64_e32 v[18:19], v[42:43], v[48:49]
	v_fmac_f64_e32 v[20:21], v[50:51], v[48:49]
	s_delay_alu instid0(VALU_DEP_4) | instskip(SKIP_1) | instid1(VALU_DEP_4)
	v_fma_f64 v[14:15], -v[44:45], v[48:49], v[0:1]
	s_wait_xcnt 0x0
	v_fma_f64 v[16:17], -v[52:53], v[48:49], v[12:13]
	s_wait_loadcnt 0x1
	s_delay_alu instid0(VALU_DEP_4) | instskip(SKIP_1) | instid1(VALU_DEP_4)
	v_fmac_f64_e32 v[18:19], v[56:57], v[58:59]
	s_wait_loadcnt 0x0
	v_fmac_f64_e32 v[20:21], v[64:65], v[58:59]
	s_delay_alu instid0(VALU_DEP_4) | instskip(NEXT) | instid1(VALU_DEP_4)
	v_fmac_f64_e32 v[14:15], v[54:55], v[58:59]
	v_fmac_f64_e32 v[16:17], v[62:63], v[58:59]
	s_delay_alu instid0(VALU_DEP_4) | instskip(NEXT) | instid1(VALU_DEP_4)
	v_mov_b64_e32 v[0:1], v[18:19]
	v_mov_b64_e32 v[12:13], v[20:21]
	s_delay_alu instid0(VALU_DEP_4) | instskip(NEXT) | instid1(VALU_DEP_4)
	v_fma_f64 v[14:15], -v[56:57], v[60:61], v[14:15]
	v_fma_f64 v[16:17], -v[64:65], v[60:61], v[16:17]
                                        ; implicit-def: $vgpr20_vgpr21
                                        ; implicit-def: $vgpr18_vgpr19
	s_delay_alu instid0(VALU_DEP_4) | instskip(NEXT) | instid1(VALU_DEP_4)
	v_fmac_f64_e32 v[0:1], v[54:55], v[60:61]
	v_fmac_f64_e32 v[12:13], v[62:63], v[60:61]
	s_cbranch_scc1 .LBB277_19
; %bb.21:                               ;   in Loop: Header=BB277_20 Depth=2
	v_dual_add_nc_u32 v18, 3, v31 :: v_dual_add_nc_u32 v19, 3, v32
	v_add_nc_u32_e32 v20, 14, v31
	s_add_co_i32 s4, s4, 4
	s_mov_b32 s5, 0
	global_load_b128 v[32:35], v18, s[8:9] scale_offset
	global_load_b128 v[36:39], v19, s[10:11] scale_offset
	;; [unrolled: 1-line block ×3, first 2 shown]
	s_wait_loadcnt 0x1
	v_fma_f64 v[22:23], v[32:33], v[36:37], v[14:15]
	v_fma_f64 v[18:19], v[34:35], v[36:37], v[0:1]
	s_wait_loadcnt 0x0
	v_fma_f64 v[24:25], v[40:41], v[36:37], v[16:17]
	v_fma_f64 v[20:21], v[42:43], v[36:37], v[12:13]
	s_delay_alu instid0(VALU_DEP_4) | instskip(NEXT) | instid1(VALU_DEP_4)
	v_fma_f64 v[22:23], -v[34:35], v[38:39], v[22:23]
	v_fmac_f64_e32 v[18:19], v[32:33], v[38:39]
	s_delay_alu instid0(VALU_DEP_4) | instskip(NEXT) | instid1(VALU_DEP_4)
	v_fma_f64 v[24:25], -v[42:43], v[38:39], v[24:25]
	v_fmac_f64_e32 v[20:21], v[40:41], v[38:39]
	s_branch .LBB277_19
.LBB277_22:
	s_or_b32 exec_lo, exec_lo, s2
.LBB277_23:
	s_delay_alu instid0(SALU_CYCLE_1)
	s_or_b32 exec_lo, exec_lo, s3
.LBB277_24:
	v_mbcnt_lo_u32_b32 v28, -1, 0
	s_delay_alu instid0(VALU_DEP_1) | instskip(NEXT) | instid1(VALU_DEP_1)
	v_or_b32_e32 v18, 32, v28
	v_cmp_gt_i32_e32 vcc_lo, 32, v18
	v_cndmask_b32_e32 v18, v28, v18, vcc_lo
	s_delay_alu instid0(VALU_DEP_1)
	v_lshlrev_b32_e32 v25, 2, v18
	ds_bpermute_b32 v20, v25, v0
	ds_bpermute_b32 v21, v25, v1
	s_wait_dscnt 0x0
	v_add_f64_e32 v[0:1], v[0:1], v[20:21]
	ds_bpermute_b32 v18, v25, v14
	ds_bpermute_b32 v19, v25, v15
	;; [unrolled: 1-line block ×6, first 2 shown]
	s_wait_dscnt 0x4
	v_dual_add_f64 v[14:15], v[14:15], v[18:19] :: v_dual_bitop2_b32 v18, 16, v28 bitop3:0x14
	s_wait_dscnt 0x2
	v_add_f64_e32 v[16:17], v[16:17], v[22:23]
	s_delay_alu instid0(VALU_DEP_2) | instskip(SKIP_2) | instid1(VALU_DEP_1)
	v_cmp_gt_i32_e32 vcc_lo, 32, v18
	v_cndmask_b32_e32 v18, v28, v18, vcc_lo
	s_wait_dscnt 0x0
	v_dual_add_f64 v[12:13], v[12:13], v[24:25] :: v_dual_lshlrev_b32 v25, 2, v18
	ds_bpermute_b32 v20, v25, v0
	ds_bpermute_b32 v21, v25, v1
	;; [unrolled: 1-line block ×8, first 2 shown]
	s_wait_dscnt 0x4
	v_dual_add_f64 v[14:15], v[14:15], v[18:19] :: v_dual_bitop2_b32 v18, 8, v28 bitop3:0x14
	s_wait_dscnt 0x2
	v_add_f64_e32 v[16:17], v[16:17], v[22:23]
	s_delay_alu instid0(VALU_DEP_2) | instskip(SKIP_3) | instid1(VALU_DEP_2)
	v_cmp_gt_i32_e32 vcc_lo, 32, v18
	v_cndmask_b32_e32 v18, v28, v18, vcc_lo
	v_add_f64_e32 v[0:1], v[0:1], v[20:21]
	s_wait_dscnt 0x0
	v_dual_add_f64 v[12:13], v[12:13], v[24:25] :: v_dual_lshlrev_b32 v25, 2, v18
	ds_bpermute_b32 v18, v25, v14
	ds_bpermute_b32 v19, v25, v15
	;; [unrolled: 1-line block ×5, first 2 shown]
	s_wait_dscnt 0x3
	v_dual_add_f64 v[14:15], v[14:15], v[18:19] :: v_dual_bitop2_b32 v18, 4, v28 bitop3:0x14
	ds_bpermute_b32 v22, v25, v16
	ds_bpermute_b32 v23, v25, v17
	;; [unrolled: 1-line block ×3, first 2 shown]
	v_cmp_gt_i32_e32 vcc_lo, 32, v18
	v_cndmask_b32_e32 v18, v28, v18, vcc_lo
	s_wait_dscnt 0x4
	v_add_f64_e32 v[0:1], v[0:1], v[20:21]
	s_wait_dscnt 0x1
	v_add_f64_e32 v[16:17], v[16:17], v[22:23]
	s_wait_dscnt 0x0
	v_dual_add_f64 v[12:13], v[12:13], v[24:25] :: v_dual_lshlrev_b32 v25, 2, v18
	ds_bpermute_b32 v18, v25, v14
	ds_bpermute_b32 v19, v25, v15
	;; [unrolled: 1-line block ×4, first 2 shown]
	s_wait_dscnt 0x2
	v_add_f64_e32 v[14:15], v[14:15], v[18:19]
	ds_bpermute_b32 v22, v25, v16
	ds_bpermute_b32 v23, v25, v17
	;; [unrolled: 1-line block ×4, first 2 shown]
	s_wait_dscnt 0x4
	v_add_f64_e32 v[18:19], v[0:1], v[20:21]
	v_xor_b32_e32 v0, 2, v28
	s_delay_alu instid0(VALU_DEP_1)
	v_cmp_gt_i32_e32 vcc_lo, 32, v0
	s_wait_dscnt 0x2
	v_add_f64_e32 v[20:21], v[16:17], v[22:23]
	v_cndmask_b32_e32 v0, v28, v0, vcc_lo
	s_wait_dscnt 0x0
	v_add_f64_e32 v[22:23], v[12:13], v[24:25]
	s_delay_alu instid0(VALU_DEP_2)
	v_lshlrev_b32_e32 v16, 2, v0
	ds_bpermute_b32 v0, v16, v14
	ds_bpermute_b32 v1, v16, v15
	;; [unrolled: 1-line block ×8, first 2 shown]
	s_wait_dscnt 0x6
	v_add_f64_e32 v[0:1], v[14:15], v[0:1]
	s_wait_dscnt 0x4
	v_add_f64_e32 v[16:17], v[18:19], v[12:13]
	v_xor_b32_e32 v18, 1, v28
	s_delay_alu instid0(VALU_DEP_1)
	v_cmp_gt_i32_e32 vcc_lo, 32, v18
	s_wait_dscnt 0x2
	v_add_f64_e32 v[12:13], v[20:21], v[24:25]
	v_cndmask_b32_e32 v18, v28, v18, vcc_lo
	s_wait_dscnt 0x0
	v_add_f64_e32 v[14:15], v[22:23], v[26:27]
	v_cmp_eq_u32_e32 vcc_lo, 63, v11
	s_delay_alu instid0(VALU_DEP_3)
	v_lshlrev_b32_e32 v21, 2, v18
	ds_bpermute_b32 v24, v21, v0
	ds_bpermute_b32 v25, v21, v1
	;; [unrolled: 1-line block ×8, first 2 shown]
	s_and_b32 exec_lo, exec_lo, vcc_lo
	s_cbranch_execz .LBB277_29
; %bb.25:
	v_cmp_eq_f64_e32 vcc_lo, 0, v[6:7]
	v_cmp_eq_f64_e64 s2, 0, v[8:9]
	s_wait_dscnt 0x6
	v_add_f64_e32 v[0:1], v[0:1], v[24:25]
	s_wait_dscnt 0x4
	v_add_f64_e32 v[16:17], v[16:17], v[22:23]
	;; [unrolled: 2-line block ×4, first 2 shown]
	s_load_b64 s[0:1], s[0:1], 0x48
	s_and_b32 s2, vcc_lo, s2
	s_delay_alu instid0(SALU_CYCLE_1) | instskip(NEXT) | instid1(SALU_CYCLE_1)
	s_and_saveexec_b32 s3, s2
	s_xor_b32 s2, exec_lo, s3
	s_cbranch_execz .LBB277_27
; %bb.26:
	s_delay_alu instid0(VALU_DEP_3) | instskip(SKIP_1) | instid1(VALU_DEP_3)
	v_mul_f64_e64 v[6:7], v[16:17], -v[4:5]
	v_mul_f64_e32 v[8:9], v[2:3], v[16:17]
	v_mul_f64_e64 v[16:17], v[14:15], -v[4:5]
	v_mul_f64_e32 v[18:19], v[2:3], v[14:15]
                                        ; implicit-def: $vgpr14_vgpr15
	s_delay_alu instid0(VALU_DEP_4) | instskip(NEXT) | instid1(VALU_DEP_4)
	v_fmac_f64_e32 v[6:7], v[2:3], v[0:1]
	v_fmac_f64_e32 v[8:9], v[4:5], v[0:1]
	s_delay_alu instid0(VALU_DEP_4) | instskip(NEXT) | instid1(VALU_DEP_4)
	v_fmac_f64_e32 v[16:17], v[2:3], v[12:13]
	v_fmac_f64_e32 v[18:19], v[4:5], v[12:13]
	v_lshlrev_b32_e32 v0, 1, v10
                                        ; implicit-def: $vgpr10
                                        ; implicit-def: $vgpr12_vgpr13
                                        ; implicit-def: $vgpr4_vgpr5
	s_wait_kmcnt 0x0
	s_clause 0x1
	global_store_b128 v0, v[6:9], s[0:1] scale_offset
	global_store_b128 v0, v[16:19], s[0:1] offset:16 scale_offset
                                        ; implicit-def: $vgpr0_vgpr1
                                        ; implicit-def: $vgpr16_vgpr17
                                        ; implicit-def: $vgpr8_vgpr9
.LBB277_27:
	s_wait_xcnt 0x0
	s_and_not1_saveexec_b32 s2, s2
	s_cbranch_execz .LBB277_29
; %bb.28:
	s_delay_alu instid0(VALU_DEP_3) | instskip(SKIP_1) | instid1(VALU_DEP_3)
	v_dual_mul_f64 v[26:27], v[16:17], -v[4:5] :: v_dual_lshlrev_b32 v30, 1, v10
	v_mul_f64_e32 v[16:17], v[2:3], v[16:17]
	v_mul_f64_e64 v[28:29], v[14:15], -v[4:5]
	v_mul_f64_e32 v[10:11], v[2:3], v[14:15]
	s_wait_kmcnt 0x0
	s_clause 0x1
	global_load_b128 v[18:21], v30, s[0:1] scale_offset
	global_load_b128 v[22:25], v30, s[0:1] offset:16 scale_offset
	v_fmac_f64_e32 v[26:27], v[2:3], v[0:1]
	v_fmac_f64_e32 v[16:17], v[4:5], v[0:1]
	;; [unrolled: 1-line block ×4, first 2 shown]
	s_wait_loadcnt 0x1
	s_delay_alu instid0(VALU_DEP_4) | instskip(NEXT) | instid1(VALU_DEP_4)
	v_fmac_f64_e32 v[26:27], v[6:7], v[18:19]
	v_fmac_f64_e32 v[16:17], v[8:9], v[18:19]
	s_wait_loadcnt 0x0
	s_delay_alu instid0(VALU_DEP_4) | instskip(NEXT) | instid1(VALU_DEP_4)
	v_fmac_f64_e32 v[28:29], v[6:7], v[22:23]
	v_fmac_f64_e32 v[10:11], v[8:9], v[22:23]
	s_delay_alu instid0(VALU_DEP_4) | instskip(NEXT) | instid1(VALU_DEP_4)
	v_fma_f64 v[14:15], -v[8:9], v[20:21], v[26:27]
	v_fmac_f64_e32 v[16:17], v[6:7], v[20:21]
	s_delay_alu instid0(VALU_DEP_4) | instskip(NEXT) | instid1(VALU_DEP_4)
	v_fma_f64 v[8:9], -v[8:9], v[24:25], v[28:29]
	v_fmac_f64_e32 v[10:11], v[6:7], v[24:25]
	s_clause 0x1
	global_store_b128 v30, v[14:17], s[0:1] scale_offset
	global_store_b128 v30, v[8:11], s[0:1] offset:16 scale_offset
.LBB277_29:
	s_sendmsg sendmsg(MSG_DEALLOC_VGPRS)
	s_endpgm
	.section	.rodata,"a",@progbits
	.p2align	6, 0x0
	.amdhsa_kernel _ZN9rocsparseL19gebsrmvn_2xn_kernelILj128ELj11ELj64E21rocsparse_complex_numIdEEEvi20rocsparse_direction_NS_24const_host_device_scalarIT2_EEPKiS8_PKS5_SA_S6_PS5_21rocsparse_index_base_b
		.amdhsa_group_segment_fixed_size 0
		.amdhsa_private_segment_fixed_size 0
		.amdhsa_kernarg_size 88
		.amdhsa_user_sgpr_count 2
		.amdhsa_user_sgpr_dispatch_ptr 0
		.amdhsa_user_sgpr_queue_ptr 0
		.amdhsa_user_sgpr_kernarg_segment_ptr 1
		.amdhsa_user_sgpr_dispatch_id 0
		.amdhsa_user_sgpr_kernarg_preload_length 0
		.amdhsa_user_sgpr_kernarg_preload_offset 0
		.amdhsa_user_sgpr_private_segment_size 0
		.amdhsa_wavefront_size32 1
		.amdhsa_uses_dynamic_stack 0
		.amdhsa_enable_private_segment 0
		.amdhsa_system_sgpr_workgroup_id_x 1
		.amdhsa_system_sgpr_workgroup_id_y 0
		.amdhsa_system_sgpr_workgroup_id_z 0
		.amdhsa_system_sgpr_workgroup_info 0
		.amdhsa_system_vgpr_workitem_id 0
		.amdhsa_next_free_vgpr 66
		.amdhsa_next_free_sgpr 14
		.amdhsa_named_barrier_count 0
		.amdhsa_reserve_vcc 1
		.amdhsa_float_round_mode_32 0
		.amdhsa_float_round_mode_16_64 0
		.amdhsa_float_denorm_mode_32 3
		.amdhsa_float_denorm_mode_16_64 3
		.amdhsa_fp16_overflow 0
		.amdhsa_memory_ordered 1
		.amdhsa_forward_progress 1
		.amdhsa_inst_pref_size 23
		.amdhsa_round_robin_scheduling 0
		.amdhsa_exception_fp_ieee_invalid_op 0
		.amdhsa_exception_fp_denorm_src 0
		.amdhsa_exception_fp_ieee_div_zero 0
		.amdhsa_exception_fp_ieee_overflow 0
		.amdhsa_exception_fp_ieee_underflow 0
		.amdhsa_exception_fp_ieee_inexact 0
		.amdhsa_exception_int_div_zero 0
	.end_amdhsa_kernel
	.section	.text._ZN9rocsparseL19gebsrmvn_2xn_kernelILj128ELj11ELj64E21rocsparse_complex_numIdEEEvi20rocsparse_direction_NS_24const_host_device_scalarIT2_EEPKiS8_PKS5_SA_S6_PS5_21rocsparse_index_base_b,"axG",@progbits,_ZN9rocsparseL19gebsrmvn_2xn_kernelILj128ELj11ELj64E21rocsparse_complex_numIdEEEvi20rocsparse_direction_NS_24const_host_device_scalarIT2_EEPKiS8_PKS5_SA_S6_PS5_21rocsparse_index_base_b,comdat
.Lfunc_end277:
	.size	_ZN9rocsparseL19gebsrmvn_2xn_kernelILj128ELj11ELj64E21rocsparse_complex_numIdEEEvi20rocsparse_direction_NS_24const_host_device_scalarIT2_EEPKiS8_PKS5_SA_S6_PS5_21rocsparse_index_base_b, .Lfunc_end277-_ZN9rocsparseL19gebsrmvn_2xn_kernelILj128ELj11ELj64E21rocsparse_complex_numIdEEEvi20rocsparse_direction_NS_24const_host_device_scalarIT2_EEPKiS8_PKS5_SA_S6_PS5_21rocsparse_index_base_b
                                        ; -- End function
	.set _ZN9rocsparseL19gebsrmvn_2xn_kernelILj128ELj11ELj64E21rocsparse_complex_numIdEEEvi20rocsparse_direction_NS_24const_host_device_scalarIT2_EEPKiS8_PKS5_SA_S6_PS5_21rocsparse_index_base_b.num_vgpr, 66
	.set _ZN9rocsparseL19gebsrmvn_2xn_kernelILj128ELj11ELj64E21rocsparse_complex_numIdEEEvi20rocsparse_direction_NS_24const_host_device_scalarIT2_EEPKiS8_PKS5_SA_S6_PS5_21rocsparse_index_base_b.num_agpr, 0
	.set _ZN9rocsparseL19gebsrmvn_2xn_kernelILj128ELj11ELj64E21rocsparse_complex_numIdEEEvi20rocsparse_direction_NS_24const_host_device_scalarIT2_EEPKiS8_PKS5_SA_S6_PS5_21rocsparse_index_base_b.numbered_sgpr, 14
	.set _ZN9rocsparseL19gebsrmvn_2xn_kernelILj128ELj11ELj64E21rocsparse_complex_numIdEEEvi20rocsparse_direction_NS_24const_host_device_scalarIT2_EEPKiS8_PKS5_SA_S6_PS5_21rocsparse_index_base_b.num_named_barrier, 0
	.set _ZN9rocsparseL19gebsrmvn_2xn_kernelILj128ELj11ELj64E21rocsparse_complex_numIdEEEvi20rocsparse_direction_NS_24const_host_device_scalarIT2_EEPKiS8_PKS5_SA_S6_PS5_21rocsparse_index_base_b.private_seg_size, 0
	.set _ZN9rocsparseL19gebsrmvn_2xn_kernelILj128ELj11ELj64E21rocsparse_complex_numIdEEEvi20rocsparse_direction_NS_24const_host_device_scalarIT2_EEPKiS8_PKS5_SA_S6_PS5_21rocsparse_index_base_b.uses_vcc, 1
	.set _ZN9rocsparseL19gebsrmvn_2xn_kernelILj128ELj11ELj64E21rocsparse_complex_numIdEEEvi20rocsparse_direction_NS_24const_host_device_scalarIT2_EEPKiS8_PKS5_SA_S6_PS5_21rocsparse_index_base_b.uses_flat_scratch, 0
	.set _ZN9rocsparseL19gebsrmvn_2xn_kernelILj128ELj11ELj64E21rocsparse_complex_numIdEEEvi20rocsparse_direction_NS_24const_host_device_scalarIT2_EEPKiS8_PKS5_SA_S6_PS5_21rocsparse_index_base_b.has_dyn_sized_stack, 0
	.set _ZN9rocsparseL19gebsrmvn_2xn_kernelILj128ELj11ELj64E21rocsparse_complex_numIdEEEvi20rocsparse_direction_NS_24const_host_device_scalarIT2_EEPKiS8_PKS5_SA_S6_PS5_21rocsparse_index_base_b.has_recursion, 0
	.set _ZN9rocsparseL19gebsrmvn_2xn_kernelILj128ELj11ELj64E21rocsparse_complex_numIdEEEvi20rocsparse_direction_NS_24const_host_device_scalarIT2_EEPKiS8_PKS5_SA_S6_PS5_21rocsparse_index_base_b.has_indirect_call, 0
	.section	.AMDGPU.csdata,"",@progbits
; Kernel info:
; codeLenInByte = 2828
; TotalNumSgprs: 16
; NumVgprs: 66
; ScratchSize: 0
; MemoryBound: 0
; FloatMode: 240
; IeeeMode: 1
; LDSByteSize: 0 bytes/workgroup (compile time only)
; SGPRBlocks: 0
; VGPRBlocks: 4
; NumSGPRsForWavesPerEU: 16
; NumVGPRsForWavesPerEU: 66
; NamedBarCnt: 0
; Occupancy: 12
; WaveLimiterHint : 1
; COMPUTE_PGM_RSRC2:SCRATCH_EN: 0
; COMPUTE_PGM_RSRC2:USER_SGPR: 2
; COMPUTE_PGM_RSRC2:TRAP_HANDLER: 0
; COMPUTE_PGM_RSRC2:TGID_X_EN: 1
; COMPUTE_PGM_RSRC2:TGID_Y_EN: 0
; COMPUTE_PGM_RSRC2:TGID_Z_EN: 0
; COMPUTE_PGM_RSRC2:TIDIG_COMP_CNT: 0
	.section	.text._ZN9rocsparseL19gebsrmvn_2xn_kernelILj128ELj12ELj4E21rocsparse_complex_numIdEEEvi20rocsparse_direction_NS_24const_host_device_scalarIT2_EEPKiS8_PKS5_SA_S6_PS5_21rocsparse_index_base_b,"axG",@progbits,_ZN9rocsparseL19gebsrmvn_2xn_kernelILj128ELj12ELj4E21rocsparse_complex_numIdEEEvi20rocsparse_direction_NS_24const_host_device_scalarIT2_EEPKiS8_PKS5_SA_S6_PS5_21rocsparse_index_base_b,comdat
	.globl	_ZN9rocsparseL19gebsrmvn_2xn_kernelILj128ELj12ELj4E21rocsparse_complex_numIdEEEvi20rocsparse_direction_NS_24const_host_device_scalarIT2_EEPKiS8_PKS5_SA_S6_PS5_21rocsparse_index_base_b ; -- Begin function _ZN9rocsparseL19gebsrmvn_2xn_kernelILj128ELj12ELj4E21rocsparse_complex_numIdEEEvi20rocsparse_direction_NS_24const_host_device_scalarIT2_EEPKiS8_PKS5_SA_S6_PS5_21rocsparse_index_base_b
	.p2align	8
	.type	_ZN9rocsparseL19gebsrmvn_2xn_kernelILj128ELj12ELj4E21rocsparse_complex_numIdEEEvi20rocsparse_direction_NS_24const_host_device_scalarIT2_EEPKiS8_PKS5_SA_S6_PS5_21rocsparse_index_base_b,@function
_ZN9rocsparseL19gebsrmvn_2xn_kernelILj128ELj12ELj4E21rocsparse_complex_numIdEEEvi20rocsparse_direction_NS_24const_host_device_scalarIT2_EEPKiS8_PKS5_SA_S6_PS5_21rocsparse_index_base_b: ; @_ZN9rocsparseL19gebsrmvn_2xn_kernelILj128ELj12ELj4E21rocsparse_complex_numIdEEEvi20rocsparse_direction_NS_24const_host_device_scalarIT2_EEPKiS8_PKS5_SA_S6_PS5_21rocsparse_index_base_b
; %bb.0:
	s_clause 0x1
	s_load_b64 s[12:13], s[0:1], 0x50
	s_load_b64 s[2:3], s[0:1], 0x8
	v_mov_b32_e32 v1, 0
	s_add_nc_u64 s[4:5], s[0:1], 8
	s_load_b64 s[6:7], s[0:1], 0x38
	s_wait_kmcnt 0x0
	s_bitcmp1_b32 s13, 0
	s_cselect_b32 s3, s5, s3
	s_cselect_b32 s2, s4, s2
	flat_load_b128 v[2:5], v1, s[2:3]
	s_wait_xcnt 0x0
	s_add_nc_u64 s[2:3], s[0:1], 56
	s_delay_alu instid0(SALU_CYCLE_1)
	s_cselect_b32 s3, s3, s7
	s_cselect_b32 s2, s2, s6
	flat_load_b128 v[6:9], v1, s[2:3]
	s_wait_loadcnt_dscnt 0x101
	v_cmp_eq_f64_e32 vcc_lo, 0, v[2:3]
	s_wait_xcnt 0x0
	v_cmp_eq_f64_e64 s2, 0, v[4:5]
	s_and_b32 s4, vcc_lo, s2
	s_mov_b32 s2, -1
	s_and_saveexec_b32 s3, s4
	s_cbranch_execz .LBB278_2
; %bb.1:
	s_wait_loadcnt_dscnt 0x0
	v_cmp_neq_f64_e32 vcc_lo, 1.0, v[6:7]
	v_cmp_neq_f64_e64 s2, 0, v[8:9]
	s_or_b32 s2, vcc_lo, s2
	s_delay_alu instid0(SALU_CYCLE_1)
	s_or_not1_b32 s2, s2, exec_lo
.LBB278_2:
	s_or_b32 exec_lo, exec_lo, s3
	s_and_saveexec_b32 s3, s2
	s_cbranch_execz .LBB278_25
; %bb.3:
	s_load_b64 s[2:3], s[0:1], 0x0
	s_bfe_u32 s4, ttmp6, 0x4000c
	s_and_b32 s5, ttmp6, 15
	s_add_co_i32 s4, s4, 1
	s_getreg_b32 s6, hwreg(HW_REG_IB_STS2, 6, 4)
	s_mul_i32 s4, ttmp9, s4
	v_lshrrev_b32_e32 v1, 2, v0
	s_add_co_i32 s5, s5, s4
	s_cmp_eq_u32 s6, 0
	s_cselect_b32 s4, ttmp9, s5
	s_delay_alu instid0(VALU_DEP_1) | instid1(SALU_CYCLE_1)
	v_lshl_or_b32 v10, s4, 5, v1
	s_wait_kmcnt 0x0
	s_delay_alu instid0(VALU_DEP_1)
	v_cmp_gt_i32_e32 vcc_lo, s2, v10
	s_and_b32 exec_lo, exec_lo, vcc_lo
	s_cbranch_execz .LBB278_25
; %bb.4:
	s_load_b256 s[4:11], s[0:1], 0x18
	v_ashrrev_i32_e32 v11, 31, v10
	s_cmp_lg_u32 s3, 0
	s_wait_kmcnt 0x0
	s_delay_alu instid0(VALU_DEP_1)
	v_lshl_add_u64 v[12:13], v[10:11], 2, s[4:5]
	v_and_b32_e32 v11, 3, v0
	global_load_b64 v[18:19], v[12:13], off
	s_wait_loadcnt 0x0
	v_subrev_nc_u32_e32 v0, s12, v18
	v_subrev_nc_u32_e32 v19, s12, v19
	s_delay_alu instid0(VALU_DEP_2) | instskip(NEXT) | instid1(VALU_DEP_1)
	v_add_nc_u32_e32 v20, v0, v11
	v_cmp_lt_i32_e64 s2, v20, v19
	s_cbranch_scc0 .LBB278_12
; %bb.5:
	v_mov_b64_e32 v[0:1], 0
	v_mov_b64_e32 v[14:15], 0
	;; [unrolled: 1-line block ×4, first 2 shown]
	s_and_saveexec_b32 s3, s2
	s_cbranch_execz .LBB278_11
; %bb.6:
	v_mul_u32_u24_e32 v0, 24, v11
	v_mul_lo_u32 v21, v20, 24
	s_mul_i32 s4, s12, 24
	v_mov_b64_e32 v[14:15], 0
	v_mov_b64_e32 v[16:17], 0
	v_mad_u32 v22, v18, 24, v0
	v_mov_b64_e32 v[0:1], 0
	v_mov_b64_e32 v[12:13], 0
	v_mov_b32_e32 v23, v20
	s_delay_alu instid0(VALU_DEP_4)
	v_subrev_nc_u32_e32 v22, s4, v22
	s_mov_b32 s4, 0
.LBB278_7:                              ; =>This Loop Header: Depth=1
                                        ;     Child Loop BB278_8 Depth 2
	global_load_b32 v24, v23, s[6:7] scale_offset
	s_mov_b32 s5, 0
	s_wait_loadcnt 0x0
	v_subrev_nc_u32_e32 v24, s12, v24
	s_delay_alu instid0(VALU_DEP_1)
	v_mul_lo_u32 v24, v24, 12
.LBB278_8:                              ;   Parent Loop BB278_7 Depth=1
                                        ; =>  This Inner Loop Header: Depth=2
	v_add_nc_u32_e32 v25, s5, v22
	s_clause 0x1
	global_load_b128 v[26:29], v24, s[10:11] offset:16 scale_offset
	global_load_b128 v[30:33], v24, s[10:11] scale_offset
	s_clause 0x3
	global_load_b128 v[34:37], v25, s[8:9] scale_offset
	global_load_b128 v[38:41], v25, s[8:9] offset:16 scale_offset
	global_load_b128 v[42:45], v25, s[8:9] offset:32 scale_offset
	;; [unrolled: 1-line block ×3, first 2 shown]
	s_wait_xcnt 0x0
	v_add3_u32 v25, v21, s5, 4
	s_add_co_i32 s5, s5, 8
	s_clause 0x1
	global_load_b128 v[50:53], v24, s[10:11] offset:48 scale_offset
	global_load_b128 v[54:57], v24, s[10:11] offset:32 scale_offset
	s_clause 0x3
	global_load_b128 v[58:61], v25, s[8:9] scale_offset
	global_load_b128 v[62:65], v25, s[8:9] offset:16 scale_offset
	global_load_b128 v[66:69], v25, s[8:9] offset:32 scale_offset
	;; [unrolled: 1-line block ×3, first 2 shown]
	s_wait_xcnt 0x4
	v_add_nc_u32_e32 v24, 4, v24
	s_cmp_eq_u32 s5, 24
	s_wait_loadcnt 0x9
	v_fmac_f64_e32 v[14:15], v[34:35], v[30:31]
	v_fmac_f64_e32 v[0:1], v[36:37], v[30:31]
	s_wait_loadcnt 0x8
	v_fmac_f64_e32 v[16:17], v[38:39], v[30:31]
	v_fmac_f64_e32 v[12:13], v[40:41], v[30:31]
	s_delay_alu instid0(VALU_DEP_4) | instskip(NEXT) | instid1(VALU_DEP_4)
	v_fma_f64 v[14:15], -v[36:37], v[32:33], v[14:15]
	v_fmac_f64_e32 v[0:1], v[34:35], v[32:33]
	s_delay_alu instid0(VALU_DEP_4) | instskip(NEXT) | instid1(VALU_DEP_4)
	v_fma_f64 v[16:17], -v[40:41], v[32:33], v[16:17]
	v_fmac_f64_e32 v[12:13], v[38:39], v[32:33]
	s_wait_loadcnt 0x7
	s_delay_alu instid0(VALU_DEP_4) | instskip(NEXT) | instid1(VALU_DEP_4)
	v_fmac_f64_e32 v[14:15], v[42:43], v[26:27]
	v_fmac_f64_e32 v[0:1], v[44:45], v[26:27]
	s_wait_loadcnt 0x6
	s_delay_alu instid0(VALU_DEP_4) | instskip(NEXT) | instid1(VALU_DEP_4)
	v_fmac_f64_e32 v[16:17], v[46:47], v[26:27]
	v_fmac_f64_e32 v[12:13], v[48:49], v[26:27]
	s_delay_alu instid0(VALU_DEP_4) | instskip(NEXT) | instid1(VALU_DEP_4)
	v_fma_f64 v[14:15], -v[44:45], v[28:29], v[14:15]
	v_fmac_f64_e32 v[0:1], v[42:43], v[28:29]
	s_delay_alu instid0(VALU_DEP_4) | instskip(NEXT) | instid1(VALU_DEP_4)
	v_fma_f64 v[16:17], -v[48:49], v[28:29], v[16:17]
	v_fmac_f64_e32 v[12:13], v[46:47], v[28:29]
	s_wait_loadcnt 0x3
	s_delay_alu instid0(VALU_DEP_4) | instskip(NEXT) | instid1(VALU_DEP_4)
	v_fmac_f64_e32 v[14:15], v[58:59], v[54:55]
	v_fmac_f64_e32 v[0:1], v[60:61], v[54:55]
	s_wait_loadcnt 0x2
	s_delay_alu instid0(VALU_DEP_4) | instskip(NEXT) | instid1(VALU_DEP_4)
	;; [unrolled: 14-line block ×3, first 2 shown]
	v_fmac_f64_e32 v[16:17], v[70:71], v[50:51]
	v_fmac_f64_e32 v[12:13], v[72:73], v[50:51]
	s_delay_alu instid0(VALU_DEP_4) | instskip(NEXT) | instid1(VALU_DEP_4)
	v_fma_f64 v[14:15], -v[68:69], v[52:53], v[14:15]
	v_fmac_f64_e32 v[0:1], v[66:67], v[52:53]
	s_delay_alu instid0(VALU_DEP_4) | instskip(NEXT) | instid1(VALU_DEP_4)
	v_fma_f64 v[16:17], -v[72:73], v[52:53], v[16:17]
	v_fmac_f64_e32 v[12:13], v[70:71], v[52:53]
	s_cbranch_scc0 .LBB278_8
; %bb.9:                                ;   in Loop: Header=BB278_7 Depth=1
	v_add_nc_u32_e32 v23, 4, v23
	v_add_nc_u32_e32 v21, 0x60, v21
	;; [unrolled: 1-line block ×3, first 2 shown]
	s_delay_alu instid0(VALU_DEP_3) | instskip(SKIP_1) | instid1(SALU_CYCLE_1)
	v_cmp_ge_i32_e32 vcc_lo, v23, v19
	s_or_b32 s4, vcc_lo, s4
	s_and_not1_b32 exec_lo, exec_lo, s4
	s_cbranch_execnz .LBB278_7
; %bb.10:
	s_or_b32 exec_lo, exec_lo, s4
.LBB278_11:
	s_delay_alu instid0(SALU_CYCLE_1)
	s_or_b32 exec_lo, exec_lo, s3
	s_cbranch_execz .LBB278_13
	s_branch .LBB278_20
.LBB278_12:
                                        ; implicit-def: $vgpr0_vgpr1
                                        ; implicit-def: $vgpr14_vgpr15
                                        ; implicit-def: $vgpr16_vgpr17
                                        ; implicit-def: $vgpr12_vgpr13
.LBB278_13:
	v_mov_b64_e32 v[0:1], 0
	v_mov_b64_e32 v[14:15], 0
	;; [unrolled: 1-line block ×4, first 2 shown]
	s_and_saveexec_b32 s3, s2
	s_cbranch_execz .LBB278_19
; %bb.14:
	v_mul_u32_u24_e32 v0, 24, v11
	s_mul_i32 s2, s12, 24
	v_mov_b64_e32 v[14:15], 0
	v_mov_b64_e32 v[16:17], 0
	;; [unrolled: 1-line block ×3, first 2 shown]
	v_mad_u32 v21, v18, 24, v0
	v_mul_lo_u32 v18, v20, 24
	v_mov_b64_e32 v[0:1], 0
	s_delay_alu instid0(VALU_DEP_3)
	v_subrev_nc_u32_e32 v21, s2, v21
	s_mov_b32 s2, 0
.LBB278_15:                             ; =>This Loop Header: Depth=1
                                        ;     Child Loop BB278_16 Depth 2
	global_load_b32 v22, v20, s[6:7] scale_offset
	s_mov_b32 s4, 0
	s_wait_loadcnt 0x0
	v_subrev_nc_u32_e32 v22, s12, v22
	s_delay_alu instid0(VALU_DEP_1)
	v_mul_lo_u32 v22, v22, 12
.LBB278_16:                             ;   Parent Loop BB278_15 Depth=1
                                        ; =>  This Inner Loop Header: Depth=2
	s_delay_alu instid0(VALU_DEP_1)
	v_dual_add_nc_u32 v23, s4, v21 :: v_dual_add_nc_u32 v72, s4, v22
	v_add3_u32 v73, v18, s4, 12
	s_add_co_i32 s4, s4, 4
	global_load_b128 v[24:27], v23, s[8:9] scale_offset
	global_load_b128 v[28:31], v72, s[10:11] scale_offset
	s_clause 0x1
	global_load_b128 v[32:35], v73, s[8:9] scale_offset
	global_load_b128 v[36:39], v23, s[8:9] offset:16 scale_offset
	global_load_b128 v[40:43], v72, s[10:11] offset:16 scale_offset
	s_clause 0x1
	global_load_b128 v[44:47], v73, s[8:9] offset:16 scale_offset
	global_load_b128 v[48:51], v23, s[8:9] offset:32 scale_offset
	;; [unrolled: 1-line block ×3, first 2 shown]
	s_clause 0x1
	global_load_b128 v[56:59], v73, s[8:9] offset:32 scale_offset
	global_load_b128 v[60:63], v23, s[8:9] offset:48 scale_offset
	;; [unrolled: 1-line block ×4, first 2 shown]
	s_cmp_eq_u32 s4, 12
	s_wait_loadcnt 0xa
	v_fmac_f64_e32 v[14:15], v[24:25], v[28:29]
	v_fmac_f64_e32 v[0:1], v[26:27], v[28:29]
	s_wait_loadcnt 0x9
	v_fmac_f64_e32 v[16:17], v[32:33], v[28:29]
	v_fmac_f64_e32 v[12:13], v[34:35], v[28:29]
	s_delay_alu instid0(VALU_DEP_4) | instskip(NEXT) | instid1(VALU_DEP_4)
	v_fma_f64 v[14:15], -v[26:27], v[30:31], v[14:15]
	v_fmac_f64_e32 v[0:1], v[24:25], v[30:31]
	s_delay_alu instid0(VALU_DEP_4) | instskip(NEXT) | instid1(VALU_DEP_4)
	v_fma_f64 v[16:17], -v[34:35], v[30:31], v[16:17]
	v_fmac_f64_e32 v[12:13], v[32:33], v[30:31]
	s_wait_loadcnt 0x7
	s_delay_alu instid0(VALU_DEP_4) | instskip(NEXT) | instid1(VALU_DEP_4)
	v_fmac_f64_e32 v[14:15], v[36:37], v[40:41]
	v_fmac_f64_e32 v[0:1], v[38:39], v[40:41]
	s_wait_loadcnt 0x6
	s_delay_alu instid0(VALU_DEP_4) | instskip(NEXT) | instid1(VALU_DEP_4)
	v_fmac_f64_e32 v[16:17], v[44:45], v[40:41]
	v_fmac_f64_e32 v[12:13], v[46:47], v[40:41]
	s_delay_alu instid0(VALU_DEP_4) | instskip(NEXT) | instid1(VALU_DEP_4)
	v_fma_f64 v[14:15], -v[38:39], v[42:43], v[14:15]
	v_fmac_f64_e32 v[0:1], v[36:37], v[42:43]
	s_delay_alu instid0(VALU_DEP_4) | instskip(NEXT) | instid1(VALU_DEP_4)
	v_fma_f64 v[16:17], -v[46:47], v[42:43], v[16:17]
	v_fmac_f64_e32 v[12:13], v[44:45], v[42:43]
	s_wait_loadcnt 0x4
	s_delay_alu instid0(VALU_DEP_4) | instskip(NEXT) | instid1(VALU_DEP_4)
	v_fmac_f64_e32 v[14:15], v[48:49], v[52:53]
	v_fmac_f64_e32 v[0:1], v[50:51], v[52:53]
	s_wait_loadcnt 0x3
	s_delay_alu instid0(VALU_DEP_4) | instskip(NEXT) | instid1(VALU_DEP_4)
	;; [unrolled: 14-line block ×3, first 2 shown]
	v_fmac_f64_e32 v[16:17], v[68:69], v[64:65]
	v_fmac_f64_e32 v[12:13], v[70:71], v[64:65]
	s_delay_alu instid0(VALU_DEP_4) | instskip(NEXT) | instid1(VALU_DEP_4)
	v_fma_f64 v[14:15], -v[62:63], v[66:67], v[14:15]
	v_fmac_f64_e32 v[0:1], v[60:61], v[66:67]
	s_delay_alu instid0(VALU_DEP_4) | instskip(NEXT) | instid1(VALU_DEP_4)
	v_fma_f64 v[16:17], -v[70:71], v[66:67], v[16:17]
	v_fmac_f64_e32 v[12:13], v[68:69], v[66:67]
	s_cbranch_scc0 .LBB278_16
; %bb.17:                               ;   in Loop: Header=BB278_15 Depth=1
	v_add_nc_u32_e32 v20, 4, v20
	v_add_nc_u32_e32 v18, 0x60, v18
	;; [unrolled: 1-line block ×3, first 2 shown]
	s_delay_alu instid0(VALU_DEP_3) | instskip(SKIP_1) | instid1(SALU_CYCLE_1)
	v_cmp_ge_i32_e32 vcc_lo, v20, v19
	s_or_b32 s2, vcc_lo, s2
	s_and_not1_b32 exec_lo, exec_lo, s2
	s_cbranch_execnz .LBB278_15
; %bb.18:
	s_or_b32 exec_lo, exec_lo, s2
.LBB278_19:
	s_delay_alu instid0(SALU_CYCLE_1)
	s_or_b32 exec_lo, exec_lo, s3
.LBB278_20:
	v_mbcnt_lo_u32_b32 v28, -1, 0
	s_delay_alu instid0(VALU_DEP_1) | instskip(NEXT) | instid1(VALU_DEP_1)
	v_xor_b32_e32 v18, 2, v28
	v_cmp_gt_i32_e32 vcc_lo, 32, v18
	v_cndmask_b32_e32 v18, v28, v18, vcc_lo
	s_delay_alu instid0(VALU_DEP_1)
	v_lshlrev_b32_e32 v22, 2, v18
	ds_bpermute_b32 v20, v22, v0
	ds_bpermute_b32 v21, v22, v1
	s_wait_dscnt 0x0
	v_add_f64_e32 v[20:21], v[0:1], v[20:21]
	ds_bpermute_b32 v18, v22, v14
	ds_bpermute_b32 v19, v22, v15
	ds_bpermute_b32 v24, v22, v16
	ds_bpermute_b32 v25, v22, v17
	ds_bpermute_b32 v26, v22, v12
	ds_bpermute_b32 v27, v22, v13
	v_xor_b32_e32 v0, 1, v28
	s_delay_alu instid0(VALU_DEP_1)
	v_cmp_gt_i32_e32 vcc_lo, 32, v0
	v_cndmask_b32_e32 v0, v28, v0, vcc_lo
	v_cmp_eq_u32_e32 vcc_lo, 3, v11
	s_wait_dscnt 0x4
	v_add_f64_e32 v[22:23], v[14:15], v[18:19]
	s_wait_dscnt 0x2
	v_add_f64_e32 v[14:15], v[16:17], v[24:25]
	s_wait_dscnt 0x0
	v_dual_add_f64 v[18:19], v[12:13], v[26:27] :: v_dual_lshlrev_b32 v25, 2, v0
	ds_bpermute_b32 v16, v25, v20
	ds_bpermute_b32 v17, v25, v21
	;; [unrolled: 1-line block ×8, first 2 shown]
	s_and_b32 exec_lo, exec_lo, vcc_lo
	s_cbranch_execz .LBB278_25
; %bb.21:
	v_cmp_eq_f64_e32 vcc_lo, 0, v[6:7]
	v_cmp_eq_f64_e64 s2, 0, v[8:9]
	s_wait_dscnt 0x4
	v_add_f64_e32 v[0:1], v[22:23], v[0:1]
	v_add_f64_e32 v[16:17], v[20:21], v[16:17]
	s_wait_dscnt 0x2
	v_add_f64_e32 v[12:13], v[14:15], v[12:13]
	s_wait_dscnt 0x0
	v_add_f64_e32 v[14:15], v[18:19], v[24:25]
	s_load_b64 s[0:1], s[0:1], 0x48
	s_and_b32 s2, vcc_lo, s2
	s_delay_alu instid0(SALU_CYCLE_1) | instskip(NEXT) | instid1(SALU_CYCLE_1)
	s_and_saveexec_b32 s3, s2
	s_xor_b32 s2, exec_lo, s3
	s_cbranch_execz .LBB278_23
; %bb.22:
	s_delay_alu instid0(VALU_DEP_3) | instskip(SKIP_1) | instid1(VALU_DEP_3)
	v_mul_f64_e64 v[6:7], v[16:17], -v[4:5]
	v_mul_f64_e32 v[8:9], v[2:3], v[16:17]
	v_mul_f64_e64 v[16:17], v[14:15], -v[4:5]
	v_mul_f64_e32 v[18:19], v[2:3], v[14:15]
                                        ; implicit-def: $vgpr14_vgpr15
	s_delay_alu instid0(VALU_DEP_4) | instskip(NEXT) | instid1(VALU_DEP_4)
	v_fmac_f64_e32 v[6:7], v[2:3], v[0:1]
	v_fmac_f64_e32 v[8:9], v[4:5], v[0:1]
	s_delay_alu instid0(VALU_DEP_4) | instskip(NEXT) | instid1(VALU_DEP_4)
	v_fmac_f64_e32 v[16:17], v[2:3], v[12:13]
	v_fmac_f64_e32 v[18:19], v[4:5], v[12:13]
	v_lshlrev_b32_e32 v0, 1, v10
                                        ; implicit-def: $vgpr10
                                        ; implicit-def: $vgpr12_vgpr13
                                        ; implicit-def: $vgpr4_vgpr5
	s_wait_kmcnt 0x0
	s_clause 0x1
	global_store_b128 v0, v[6:9], s[0:1] scale_offset
	global_store_b128 v0, v[16:19], s[0:1] offset:16 scale_offset
                                        ; implicit-def: $vgpr0_vgpr1
                                        ; implicit-def: $vgpr16_vgpr17
                                        ; implicit-def: $vgpr8_vgpr9
.LBB278_23:
	s_wait_xcnt 0x0
	s_and_not1_saveexec_b32 s2, s2
	s_cbranch_execz .LBB278_25
; %bb.24:
	s_delay_alu instid0(VALU_DEP_3) | instskip(SKIP_1) | instid1(VALU_DEP_3)
	v_dual_mul_f64 v[26:27], v[16:17], -v[4:5] :: v_dual_lshlrev_b32 v30, 1, v10
	v_mul_f64_e32 v[16:17], v[2:3], v[16:17]
	v_mul_f64_e64 v[28:29], v[14:15], -v[4:5]
	v_mul_f64_e32 v[10:11], v[2:3], v[14:15]
	s_wait_kmcnt 0x0
	s_clause 0x1
	global_load_b128 v[18:21], v30, s[0:1] scale_offset
	global_load_b128 v[22:25], v30, s[0:1] offset:16 scale_offset
	v_fmac_f64_e32 v[26:27], v[2:3], v[0:1]
	v_fmac_f64_e32 v[16:17], v[4:5], v[0:1]
	;; [unrolled: 1-line block ×4, first 2 shown]
	s_wait_loadcnt 0x1
	s_delay_alu instid0(VALU_DEP_4) | instskip(NEXT) | instid1(VALU_DEP_4)
	v_fmac_f64_e32 v[26:27], v[6:7], v[18:19]
	v_fmac_f64_e32 v[16:17], v[8:9], v[18:19]
	s_wait_loadcnt 0x0
	s_delay_alu instid0(VALU_DEP_4) | instskip(NEXT) | instid1(VALU_DEP_4)
	v_fmac_f64_e32 v[28:29], v[6:7], v[22:23]
	v_fmac_f64_e32 v[10:11], v[8:9], v[22:23]
	s_delay_alu instid0(VALU_DEP_4) | instskip(NEXT) | instid1(VALU_DEP_4)
	v_fma_f64 v[14:15], -v[8:9], v[20:21], v[26:27]
	v_fmac_f64_e32 v[16:17], v[6:7], v[20:21]
	s_delay_alu instid0(VALU_DEP_4) | instskip(NEXT) | instid1(VALU_DEP_4)
	v_fma_f64 v[8:9], -v[8:9], v[24:25], v[28:29]
	v_fmac_f64_e32 v[10:11], v[6:7], v[24:25]
	s_clause 0x1
	global_store_b128 v30, v[14:17], s[0:1] scale_offset
	global_store_b128 v30, v[8:11], s[0:1] offset:16 scale_offset
.LBB278_25:
	s_sendmsg sendmsg(MSG_DEALLOC_VGPRS)
	s_endpgm
	.section	.rodata,"a",@progbits
	.p2align	6, 0x0
	.amdhsa_kernel _ZN9rocsparseL19gebsrmvn_2xn_kernelILj128ELj12ELj4E21rocsparse_complex_numIdEEEvi20rocsparse_direction_NS_24const_host_device_scalarIT2_EEPKiS8_PKS5_SA_S6_PS5_21rocsparse_index_base_b
		.amdhsa_group_segment_fixed_size 0
		.amdhsa_private_segment_fixed_size 0
		.amdhsa_kernarg_size 88
		.amdhsa_user_sgpr_count 2
		.amdhsa_user_sgpr_dispatch_ptr 0
		.amdhsa_user_sgpr_queue_ptr 0
		.amdhsa_user_sgpr_kernarg_segment_ptr 1
		.amdhsa_user_sgpr_dispatch_id 0
		.amdhsa_user_sgpr_kernarg_preload_length 0
		.amdhsa_user_sgpr_kernarg_preload_offset 0
		.amdhsa_user_sgpr_private_segment_size 0
		.amdhsa_wavefront_size32 1
		.amdhsa_uses_dynamic_stack 0
		.amdhsa_enable_private_segment 0
		.amdhsa_system_sgpr_workgroup_id_x 1
		.amdhsa_system_sgpr_workgroup_id_y 0
		.amdhsa_system_sgpr_workgroup_id_z 0
		.amdhsa_system_sgpr_workgroup_info 0
		.amdhsa_system_vgpr_workitem_id 0
		.amdhsa_next_free_vgpr 74
		.amdhsa_next_free_sgpr 14
		.amdhsa_named_barrier_count 0
		.amdhsa_reserve_vcc 1
		.amdhsa_float_round_mode_32 0
		.amdhsa_float_round_mode_16_64 0
		.amdhsa_float_denorm_mode_32 3
		.amdhsa_float_denorm_mode_16_64 3
		.amdhsa_fp16_overflow 0
		.amdhsa_memory_ordered 1
		.amdhsa_forward_progress 1
		.amdhsa_inst_pref_size 17
		.amdhsa_round_robin_scheduling 0
		.amdhsa_exception_fp_ieee_invalid_op 0
		.amdhsa_exception_fp_denorm_src 0
		.amdhsa_exception_fp_ieee_div_zero 0
		.amdhsa_exception_fp_ieee_overflow 0
		.amdhsa_exception_fp_ieee_underflow 0
		.amdhsa_exception_fp_ieee_inexact 0
		.amdhsa_exception_int_div_zero 0
	.end_amdhsa_kernel
	.section	.text._ZN9rocsparseL19gebsrmvn_2xn_kernelILj128ELj12ELj4E21rocsparse_complex_numIdEEEvi20rocsparse_direction_NS_24const_host_device_scalarIT2_EEPKiS8_PKS5_SA_S6_PS5_21rocsparse_index_base_b,"axG",@progbits,_ZN9rocsparseL19gebsrmvn_2xn_kernelILj128ELj12ELj4E21rocsparse_complex_numIdEEEvi20rocsparse_direction_NS_24const_host_device_scalarIT2_EEPKiS8_PKS5_SA_S6_PS5_21rocsparse_index_base_b,comdat
.Lfunc_end278:
	.size	_ZN9rocsparseL19gebsrmvn_2xn_kernelILj128ELj12ELj4E21rocsparse_complex_numIdEEEvi20rocsparse_direction_NS_24const_host_device_scalarIT2_EEPKiS8_PKS5_SA_S6_PS5_21rocsparse_index_base_b, .Lfunc_end278-_ZN9rocsparseL19gebsrmvn_2xn_kernelILj128ELj12ELj4E21rocsparse_complex_numIdEEEvi20rocsparse_direction_NS_24const_host_device_scalarIT2_EEPKiS8_PKS5_SA_S6_PS5_21rocsparse_index_base_b
                                        ; -- End function
	.set _ZN9rocsparseL19gebsrmvn_2xn_kernelILj128ELj12ELj4E21rocsparse_complex_numIdEEEvi20rocsparse_direction_NS_24const_host_device_scalarIT2_EEPKiS8_PKS5_SA_S6_PS5_21rocsparse_index_base_b.num_vgpr, 74
	.set _ZN9rocsparseL19gebsrmvn_2xn_kernelILj128ELj12ELj4E21rocsparse_complex_numIdEEEvi20rocsparse_direction_NS_24const_host_device_scalarIT2_EEPKiS8_PKS5_SA_S6_PS5_21rocsparse_index_base_b.num_agpr, 0
	.set _ZN9rocsparseL19gebsrmvn_2xn_kernelILj128ELj12ELj4E21rocsparse_complex_numIdEEEvi20rocsparse_direction_NS_24const_host_device_scalarIT2_EEPKiS8_PKS5_SA_S6_PS5_21rocsparse_index_base_b.numbered_sgpr, 14
	.set _ZN9rocsparseL19gebsrmvn_2xn_kernelILj128ELj12ELj4E21rocsparse_complex_numIdEEEvi20rocsparse_direction_NS_24const_host_device_scalarIT2_EEPKiS8_PKS5_SA_S6_PS5_21rocsparse_index_base_b.num_named_barrier, 0
	.set _ZN9rocsparseL19gebsrmvn_2xn_kernelILj128ELj12ELj4E21rocsparse_complex_numIdEEEvi20rocsparse_direction_NS_24const_host_device_scalarIT2_EEPKiS8_PKS5_SA_S6_PS5_21rocsparse_index_base_b.private_seg_size, 0
	.set _ZN9rocsparseL19gebsrmvn_2xn_kernelILj128ELj12ELj4E21rocsparse_complex_numIdEEEvi20rocsparse_direction_NS_24const_host_device_scalarIT2_EEPKiS8_PKS5_SA_S6_PS5_21rocsparse_index_base_b.uses_vcc, 1
	.set _ZN9rocsparseL19gebsrmvn_2xn_kernelILj128ELj12ELj4E21rocsparse_complex_numIdEEEvi20rocsparse_direction_NS_24const_host_device_scalarIT2_EEPKiS8_PKS5_SA_S6_PS5_21rocsparse_index_base_b.uses_flat_scratch, 0
	.set _ZN9rocsparseL19gebsrmvn_2xn_kernelILj128ELj12ELj4E21rocsparse_complex_numIdEEEvi20rocsparse_direction_NS_24const_host_device_scalarIT2_EEPKiS8_PKS5_SA_S6_PS5_21rocsparse_index_base_b.has_dyn_sized_stack, 0
	.set _ZN9rocsparseL19gebsrmvn_2xn_kernelILj128ELj12ELj4E21rocsparse_complex_numIdEEEvi20rocsparse_direction_NS_24const_host_device_scalarIT2_EEPKiS8_PKS5_SA_S6_PS5_21rocsparse_index_base_b.has_recursion, 0
	.set _ZN9rocsparseL19gebsrmvn_2xn_kernelILj128ELj12ELj4E21rocsparse_complex_numIdEEEvi20rocsparse_direction_NS_24const_host_device_scalarIT2_EEPKiS8_PKS5_SA_S6_PS5_21rocsparse_index_base_b.has_indirect_call, 0
	.section	.AMDGPU.csdata,"",@progbits
; Kernel info:
; codeLenInByte = 2132
; TotalNumSgprs: 16
; NumVgprs: 74
; ScratchSize: 0
; MemoryBound: 1
; FloatMode: 240
; IeeeMode: 1
; LDSByteSize: 0 bytes/workgroup (compile time only)
; SGPRBlocks: 0
; VGPRBlocks: 4
; NumSGPRsForWavesPerEU: 16
; NumVGPRsForWavesPerEU: 74
; NamedBarCnt: 0
; Occupancy: 12
; WaveLimiterHint : 1
; COMPUTE_PGM_RSRC2:SCRATCH_EN: 0
; COMPUTE_PGM_RSRC2:USER_SGPR: 2
; COMPUTE_PGM_RSRC2:TRAP_HANDLER: 0
; COMPUTE_PGM_RSRC2:TGID_X_EN: 1
; COMPUTE_PGM_RSRC2:TGID_Y_EN: 0
; COMPUTE_PGM_RSRC2:TGID_Z_EN: 0
; COMPUTE_PGM_RSRC2:TIDIG_COMP_CNT: 0
	.section	.text._ZN9rocsparseL19gebsrmvn_2xn_kernelILj128ELj12ELj8E21rocsparse_complex_numIdEEEvi20rocsparse_direction_NS_24const_host_device_scalarIT2_EEPKiS8_PKS5_SA_S6_PS5_21rocsparse_index_base_b,"axG",@progbits,_ZN9rocsparseL19gebsrmvn_2xn_kernelILj128ELj12ELj8E21rocsparse_complex_numIdEEEvi20rocsparse_direction_NS_24const_host_device_scalarIT2_EEPKiS8_PKS5_SA_S6_PS5_21rocsparse_index_base_b,comdat
	.globl	_ZN9rocsparseL19gebsrmvn_2xn_kernelILj128ELj12ELj8E21rocsparse_complex_numIdEEEvi20rocsparse_direction_NS_24const_host_device_scalarIT2_EEPKiS8_PKS5_SA_S6_PS5_21rocsparse_index_base_b ; -- Begin function _ZN9rocsparseL19gebsrmvn_2xn_kernelILj128ELj12ELj8E21rocsparse_complex_numIdEEEvi20rocsparse_direction_NS_24const_host_device_scalarIT2_EEPKiS8_PKS5_SA_S6_PS5_21rocsparse_index_base_b
	.p2align	8
	.type	_ZN9rocsparseL19gebsrmvn_2xn_kernelILj128ELj12ELj8E21rocsparse_complex_numIdEEEvi20rocsparse_direction_NS_24const_host_device_scalarIT2_EEPKiS8_PKS5_SA_S6_PS5_21rocsparse_index_base_b,@function
_ZN9rocsparseL19gebsrmvn_2xn_kernelILj128ELj12ELj8E21rocsparse_complex_numIdEEEvi20rocsparse_direction_NS_24const_host_device_scalarIT2_EEPKiS8_PKS5_SA_S6_PS5_21rocsparse_index_base_b: ; @_ZN9rocsparseL19gebsrmvn_2xn_kernelILj128ELj12ELj8E21rocsparse_complex_numIdEEEvi20rocsparse_direction_NS_24const_host_device_scalarIT2_EEPKiS8_PKS5_SA_S6_PS5_21rocsparse_index_base_b
; %bb.0:
	s_clause 0x1
	s_load_b64 s[12:13], s[0:1], 0x50
	s_load_b64 s[2:3], s[0:1], 0x8
	v_mov_b32_e32 v1, 0
	s_add_nc_u64 s[4:5], s[0:1], 8
	s_load_b64 s[6:7], s[0:1], 0x38
	s_wait_kmcnt 0x0
	s_bitcmp1_b32 s13, 0
	s_cselect_b32 s3, s5, s3
	s_cselect_b32 s2, s4, s2
	flat_load_b128 v[2:5], v1, s[2:3]
	s_wait_xcnt 0x0
	s_add_nc_u64 s[2:3], s[0:1], 56
	s_delay_alu instid0(SALU_CYCLE_1)
	s_cselect_b32 s3, s3, s7
	s_cselect_b32 s2, s2, s6
	flat_load_b128 v[6:9], v1, s[2:3]
	s_wait_loadcnt_dscnt 0x101
	v_cmp_eq_f64_e32 vcc_lo, 0, v[2:3]
	s_wait_xcnt 0x0
	v_cmp_eq_f64_e64 s2, 0, v[4:5]
	s_and_b32 s4, vcc_lo, s2
	s_mov_b32 s2, -1
	s_and_saveexec_b32 s3, s4
	s_cbranch_execz .LBB279_2
; %bb.1:
	s_wait_loadcnt_dscnt 0x0
	v_cmp_neq_f64_e32 vcc_lo, 1.0, v[6:7]
	v_cmp_neq_f64_e64 s2, 0, v[8:9]
	s_or_b32 s2, vcc_lo, s2
	s_delay_alu instid0(SALU_CYCLE_1)
	s_or_not1_b32 s2, s2, exec_lo
.LBB279_2:
	s_or_b32 exec_lo, exec_lo, s3
	s_and_saveexec_b32 s3, s2
	s_cbranch_execz .LBB279_25
; %bb.3:
	s_load_b64 s[2:3], s[0:1], 0x0
	s_bfe_u32 s4, ttmp6, 0x4000c
	s_and_b32 s5, ttmp6, 15
	s_add_co_i32 s4, s4, 1
	s_getreg_b32 s6, hwreg(HW_REG_IB_STS2, 6, 4)
	s_mul_i32 s4, ttmp9, s4
	v_lshrrev_b32_e32 v1, 3, v0
	s_add_co_i32 s5, s5, s4
	s_cmp_eq_u32 s6, 0
	s_cselect_b32 s4, ttmp9, s5
	s_delay_alu instid0(VALU_DEP_1) | instid1(SALU_CYCLE_1)
	v_lshl_or_b32 v10, s4, 4, v1
	s_wait_kmcnt 0x0
	s_delay_alu instid0(VALU_DEP_1)
	v_cmp_gt_i32_e32 vcc_lo, s2, v10
	s_and_b32 exec_lo, exec_lo, vcc_lo
	s_cbranch_execz .LBB279_25
; %bb.4:
	s_load_b256 s[4:11], s[0:1], 0x18
	v_ashrrev_i32_e32 v11, 31, v10
	s_cmp_lg_u32 s3, 0
	s_wait_kmcnt 0x0
	s_delay_alu instid0(VALU_DEP_1)
	v_lshl_add_u64 v[12:13], v[10:11], 2, s[4:5]
	v_and_b32_e32 v11, 7, v0
	global_load_b64 v[18:19], v[12:13], off
	s_wait_loadcnt 0x0
	v_subrev_nc_u32_e32 v0, s12, v18
	v_subrev_nc_u32_e32 v19, s12, v19
	s_delay_alu instid0(VALU_DEP_2) | instskip(NEXT) | instid1(VALU_DEP_1)
	v_add_nc_u32_e32 v20, v0, v11
	v_cmp_lt_i32_e64 s2, v20, v19
	s_cbranch_scc0 .LBB279_12
; %bb.5:
	v_mov_b64_e32 v[0:1], 0
	v_mov_b64_e32 v[14:15], 0
	;; [unrolled: 1-line block ×4, first 2 shown]
	s_and_saveexec_b32 s3, s2
	s_cbranch_execz .LBB279_11
; %bb.6:
	v_mul_u32_u24_e32 v0, 24, v11
	v_mul_lo_u32 v21, v20, 24
	s_mul_i32 s4, s12, 24
	v_mov_b64_e32 v[14:15], 0
	v_mov_b64_e32 v[16:17], 0
	v_mad_u32 v22, v18, 24, v0
	v_mov_b64_e32 v[0:1], 0
	v_mov_b64_e32 v[12:13], 0
	v_mov_b32_e32 v23, v20
	s_delay_alu instid0(VALU_DEP_4)
	v_subrev_nc_u32_e32 v22, s4, v22
	s_mov_b32 s4, 0
.LBB279_7:                              ; =>This Loop Header: Depth=1
                                        ;     Child Loop BB279_8 Depth 2
	global_load_b32 v24, v23, s[6:7] scale_offset
	s_mov_b32 s5, 0
	s_wait_loadcnt 0x0
	v_subrev_nc_u32_e32 v24, s12, v24
	s_delay_alu instid0(VALU_DEP_1)
	v_mul_lo_u32 v24, v24, 12
.LBB279_8:                              ;   Parent Loop BB279_7 Depth=1
                                        ; =>  This Inner Loop Header: Depth=2
	v_add_nc_u32_e32 v25, s5, v22
	s_clause 0x1
	global_load_b128 v[26:29], v24, s[10:11] offset:16 scale_offset
	global_load_b128 v[30:33], v24, s[10:11] scale_offset
	s_clause 0x3
	global_load_b128 v[34:37], v25, s[8:9] scale_offset
	global_load_b128 v[38:41], v25, s[8:9] offset:16 scale_offset
	global_load_b128 v[42:45], v25, s[8:9] offset:32 scale_offset
	;; [unrolled: 1-line block ×3, first 2 shown]
	s_wait_xcnt 0x0
	v_add3_u32 v25, v21, s5, 4
	s_add_co_i32 s5, s5, 8
	s_clause 0x1
	global_load_b128 v[50:53], v24, s[10:11] offset:48 scale_offset
	global_load_b128 v[54:57], v24, s[10:11] offset:32 scale_offset
	s_clause 0x3
	global_load_b128 v[58:61], v25, s[8:9] scale_offset
	global_load_b128 v[62:65], v25, s[8:9] offset:16 scale_offset
	global_load_b128 v[66:69], v25, s[8:9] offset:32 scale_offset
	global_load_b128 v[70:73], v25, s[8:9] offset:48 scale_offset
	s_wait_xcnt 0x4
	v_add_nc_u32_e32 v24, 4, v24
	s_cmp_eq_u32 s5, 24
	s_wait_loadcnt 0x9
	v_fmac_f64_e32 v[14:15], v[34:35], v[30:31]
	v_fmac_f64_e32 v[0:1], v[36:37], v[30:31]
	s_wait_loadcnt 0x8
	v_fmac_f64_e32 v[16:17], v[38:39], v[30:31]
	v_fmac_f64_e32 v[12:13], v[40:41], v[30:31]
	s_delay_alu instid0(VALU_DEP_4) | instskip(NEXT) | instid1(VALU_DEP_4)
	v_fma_f64 v[14:15], -v[36:37], v[32:33], v[14:15]
	v_fmac_f64_e32 v[0:1], v[34:35], v[32:33]
	s_delay_alu instid0(VALU_DEP_4) | instskip(NEXT) | instid1(VALU_DEP_4)
	v_fma_f64 v[16:17], -v[40:41], v[32:33], v[16:17]
	v_fmac_f64_e32 v[12:13], v[38:39], v[32:33]
	s_wait_loadcnt 0x7
	s_delay_alu instid0(VALU_DEP_4) | instskip(NEXT) | instid1(VALU_DEP_4)
	v_fmac_f64_e32 v[14:15], v[42:43], v[26:27]
	v_fmac_f64_e32 v[0:1], v[44:45], v[26:27]
	s_wait_loadcnt 0x6
	s_delay_alu instid0(VALU_DEP_4) | instskip(NEXT) | instid1(VALU_DEP_4)
	v_fmac_f64_e32 v[16:17], v[46:47], v[26:27]
	v_fmac_f64_e32 v[12:13], v[48:49], v[26:27]
	s_delay_alu instid0(VALU_DEP_4) | instskip(NEXT) | instid1(VALU_DEP_4)
	v_fma_f64 v[14:15], -v[44:45], v[28:29], v[14:15]
	v_fmac_f64_e32 v[0:1], v[42:43], v[28:29]
	s_delay_alu instid0(VALU_DEP_4) | instskip(NEXT) | instid1(VALU_DEP_4)
	v_fma_f64 v[16:17], -v[48:49], v[28:29], v[16:17]
	v_fmac_f64_e32 v[12:13], v[46:47], v[28:29]
	s_wait_loadcnt 0x3
	s_delay_alu instid0(VALU_DEP_4) | instskip(NEXT) | instid1(VALU_DEP_4)
	v_fmac_f64_e32 v[14:15], v[58:59], v[54:55]
	v_fmac_f64_e32 v[0:1], v[60:61], v[54:55]
	s_wait_loadcnt 0x2
	s_delay_alu instid0(VALU_DEP_4) | instskip(NEXT) | instid1(VALU_DEP_4)
	;; [unrolled: 14-line block ×3, first 2 shown]
	v_fmac_f64_e32 v[16:17], v[70:71], v[50:51]
	v_fmac_f64_e32 v[12:13], v[72:73], v[50:51]
	s_delay_alu instid0(VALU_DEP_4) | instskip(NEXT) | instid1(VALU_DEP_4)
	v_fma_f64 v[14:15], -v[68:69], v[52:53], v[14:15]
	v_fmac_f64_e32 v[0:1], v[66:67], v[52:53]
	s_delay_alu instid0(VALU_DEP_4) | instskip(NEXT) | instid1(VALU_DEP_4)
	v_fma_f64 v[16:17], -v[72:73], v[52:53], v[16:17]
	v_fmac_f64_e32 v[12:13], v[70:71], v[52:53]
	s_cbranch_scc0 .LBB279_8
; %bb.9:                                ;   in Loop: Header=BB279_7 Depth=1
	v_add_nc_u32_e32 v23, 8, v23
	v_add_nc_u32_e32 v21, 0xc0, v21
	;; [unrolled: 1-line block ×3, first 2 shown]
	s_delay_alu instid0(VALU_DEP_3) | instskip(SKIP_1) | instid1(SALU_CYCLE_1)
	v_cmp_ge_i32_e32 vcc_lo, v23, v19
	s_or_b32 s4, vcc_lo, s4
	s_and_not1_b32 exec_lo, exec_lo, s4
	s_cbranch_execnz .LBB279_7
; %bb.10:
	s_or_b32 exec_lo, exec_lo, s4
.LBB279_11:
	s_delay_alu instid0(SALU_CYCLE_1)
	s_or_b32 exec_lo, exec_lo, s3
	s_cbranch_execz .LBB279_13
	s_branch .LBB279_20
.LBB279_12:
                                        ; implicit-def: $vgpr0_vgpr1
                                        ; implicit-def: $vgpr14_vgpr15
                                        ; implicit-def: $vgpr16_vgpr17
                                        ; implicit-def: $vgpr12_vgpr13
.LBB279_13:
	v_mov_b64_e32 v[0:1], 0
	v_mov_b64_e32 v[14:15], 0
	;; [unrolled: 1-line block ×4, first 2 shown]
	s_and_saveexec_b32 s3, s2
	s_cbranch_execz .LBB279_19
; %bb.14:
	v_mul_u32_u24_e32 v0, 24, v11
	s_mul_i32 s2, s12, 24
	v_mov_b64_e32 v[14:15], 0
	v_mov_b64_e32 v[16:17], 0
	;; [unrolled: 1-line block ×3, first 2 shown]
	v_mad_u32 v21, v18, 24, v0
	v_mul_lo_u32 v18, v20, 24
	v_mov_b64_e32 v[0:1], 0
	s_delay_alu instid0(VALU_DEP_3)
	v_subrev_nc_u32_e32 v21, s2, v21
	s_mov_b32 s2, 0
.LBB279_15:                             ; =>This Loop Header: Depth=1
                                        ;     Child Loop BB279_16 Depth 2
	global_load_b32 v22, v20, s[6:7] scale_offset
	s_mov_b32 s4, 0
	s_wait_loadcnt 0x0
	v_subrev_nc_u32_e32 v22, s12, v22
	s_delay_alu instid0(VALU_DEP_1)
	v_mul_lo_u32 v22, v22, 12
.LBB279_16:                             ;   Parent Loop BB279_15 Depth=1
                                        ; =>  This Inner Loop Header: Depth=2
	s_delay_alu instid0(VALU_DEP_1)
	v_dual_add_nc_u32 v23, s4, v21 :: v_dual_add_nc_u32 v72, s4, v22
	v_add3_u32 v73, v18, s4, 12
	s_add_co_i32 s4, s4, 4
	global_load_b128 v[24:27], v23, s[8:9] scale_offset
	global_load_b128 v[28:31], v72, s[10:11] scale_offset
	s_clause 0x1
	global_load_b128 v[32:35], v73, s[8:9] scale_offset
	global_load_b128 v[36:39], v23, s[8:9] offset:16 scale_offset
	global_load_b128 v[40:43], v72, s[10:11] offset:16 scale_offset
	s_clause 0x1
	global_load_b128 v[44:47], v73, s[8:9] offset:16 scale_offset
	global_load_b128 v[48:51], v23, s[8:9] offset:32 scale_offset
	;; [unrolled: 1-line block ×3, first 2 shown]
	s_clause 0x1
	global_load_b128 v[56:59], v73, s[8:9] offset:32 scale_offset
	global_load_b128 v[60:63], v23, s[8:9] offset:48 scale_offset
	;; [unrolled: 1-line block ×4, first 2 shown]
	s_cmp_eq_u32 s4, 12
	s_wait_loadcnt 0xa
	v_fmac_f64_e32 v[14:15], v[24:25], v[28:29]
	v_fmac_f64_e32 v[0:1], v[26:27], v[28:29]
	s_wait_loadcnt 0x9
	v_fmac_f64_e32 v[16:17], v[32:33], v[28:29]
	v_fmac_f64_e32 v[12:13], v[34:35], v[28:29]
	s_delay_alu instid0(VALU_DEP_4) | instskip(NEXT) | instid1(VALU_DEP_4)
	v_fma_f64 v[14:15], -v[26:27], v[30:31], v[14:15]
	v_fmac_f64_e32 v[0:1], v[24:25], v[30:31]
	s_delay_alu instid0(VALU_DEP_4) | instskip(NEXT) | instid1(VALU_DEP_4)
	v_fma_f64 v[16:17], -v[34:35], v[30:31], v[16:17]
	v_fmac_f64_e32 v[12:13], v[32:33], v[30:31]
	s_wait_loadcnt 0x7
	s_delay_alu instid0(VALU_DEP_4) | instskip(NEXT) | instid1(VALU_DEP_4)
	v_fmac_f64_e32 v[14:15], v[36:37], v[40:41]
	v_fmac_f64_e32 v[0:1], v[38:39], v[40:41]
	s_wait_loadcnt 0x6
	s_delay_alu instid0(VALU_DEP_4) | instskip(NEXT) | instid1(VALU_DEP_4)
	v_fmac_f64_e32 v[16:17], v[44:45], v[40:41]
	v_fmac_f64_e32 v[12:13], v[46:47], v[40:41]
	s_delay_alu instid0(VALU_DEP_4) | instskip(NEXT) | instid1(VALU_DEP_4)
	v_fma_f64 v[14:15], -v[38:39], v[42:43], v[14:15]
	v_fmac_f64_e32 v[0:1], v[36:37], v[42:43]
	s_delay_alu instid0(VALU_DEP_4) | instskip(NEXT) | instid1(VALU_DEP_4)
	v_fma_f64 v[16:17], -v[46:47], v[42:43], v[16:17]
	v_fmac_f64_e32 v[12:13], v[44:45], v[42:43]
	s_wait_loadcnt 0x4
	s_delay_alu instid0(VALU_DEP_4) | instskip(NEXT) | instid1(VALU_DEP_4)
	v_fmac_f64_e32 v[14:15], v[48:49], v[52:53]
	v_fmac_f64_e32 v[0:1], v[50:51], v[52:53]
	s_wait_loadcnt 0x3
	s_delay_alu instid0(VALU_DEP_4) | instskip(NEXT) | instid1(VALU_DEP_4)
	;; [unrolled: 14-line block ×3, first 2 shown]
	v_fmac_f64_e32 v[16:17], v[68:69], v[64:65]
	v_fmac_f64_e32 v[12:13], v[70:71], v[64:65]
	s_delay_alu instid0(VALU_DEP_4) | instskip(NEXT) | instid1(VALU_DEP_4)
	v_fma_f64 v[14:15], -v[62:63], v[66:67], v[14:15]
	v_fmac_f64_e32 v[0:1], v[60:61], v[66:67]
	s_delay_alu instid0(VALU_DEP_4) | instskip(NEXT) | instid1(VALU_DEP_4)
	v_fma_f64 v[16:17], -v[70:71], v[66:67], v[16:17]
	v_fmac_f64_e32 v[12:13], v[68:69], v[66:67]
	s_cbranch_scc0 .LBB279_16
; %bb.17:                               ;   in Loop: Header=BB279_15 Depth=1
	v_add_nc_u32_e32 v20, 8, v20
	v_add_nc_u32_e32 v18, 0xc0, v18
	;; [unrolled: 1-line block ×3, first 2 shown]
	s_delay_alu instid0(VALU_DEP_3) | instskip(SKIP_1) | instid1(SALU_CYCLE_1)
	v_cmp_ge_i32_e32 vcc_lo, v20, v19
	s_or_b32 s2, vcc_lo, s2
	s_and_not1_b32 exec_lo, exec_lo, s2
	s_cbranch_execnz .LBB279_15
; %bb.18:
	s_or_b32 exec_lo, exec_lo, s2
.LBB279_19:
	s_delay_alu instid0(SALU_CYCLE_1)
	s_or_b32 exec_lo, exec_lo, s3
.LBB279_20:
	v_mbcnt_lo_u32_b32 v28, -1, 0
	s_delay_alu instid0(VALU_DEP_1) | instskip(NEXT) | instid1(VALU_DEP_1)
	v_xor_b32_e32 v18, 4, v28
	v_cmp_gt_i32_e32 vcc_lo, 32, v18
	v_cndmask_b32_e32 v18, v28, v18, vcc_lo
	s_delay_alu instid0(VALU_DEP_1)
	v_lshlrev_b32_e32 v25, 2, v18
	ds_bpermute_b32 v18, v25, v14
	ds_bpermute_b32 v19, v25, v15
	;; [unrolled: 1-line block ×4, first 2 shown]
	s_wait_dscnt 0x2
	v_add_f64_e32 v[14:15], v[14:15], v[18:19]
	s_wait_dscnt 0x0
	v_add_f64_e32 v[18:19], v[0:1], v[20:21]
	ds_bpermute_b32 v22, v25, v16
	ds_bpermute_b32 v23, v25, v17
	;; [unrolled: 1-line block ×4, first 2 shown]
	v_xor_b32_e32 v0, 2, v28
	s_delay_alu instid0(VALU_DEP_1)
	v_cmp_gt_i32_e32 vcc_lo, 32, v0
	v_cndmask_b32_e32 v0, v28, v0, vcc_lo
	s_wait_dscnt 0x2
	v_add_f64_e32 v[20:21], v[16:17], v[22:23]
	s_wait_dscnt 0x0
	v_add_f64_e32 v[22:23], v[12:13], v[24:25]
	v_lshlrev_b32_e32 v16, 2, v0
	ds_bpermute_b32 v0, v16, v14
	ds_bpermute_b32 v1, v16, v15
	;; [unrolled: 1-line block ×8, first 2 shown]
	s_wait_dscnt 0x4
	v_add_f64_e32 v[16:17], v[18:19], v[12:13]
	v_xor_b32_e32 v18, 1, v28
	s_delay_alu instid0(VALU_DEP_1) | instskip(SKIP_3) | instid1(VALU_DEP_2)
	v_cmp_gt_i32_e32 vcc_lo, 32, v18
	v_dual_add_f64 v[0:1], v[14:15], v[0:1] :: v_dual_cndmask_b32 v18, v28, v18, vcc_lo
	v_cmp_eq_u32_e32 vcc_lo, 7, v11
	s_wait_dscnt 0x2
	v_dual_add_f64 v[12:13], v[20:21], v[24:25] :: v_dual_lshlrev_b32 v21, 2, v18
	s_wait_dscnt 0x0
	v_add_f64_e32 v[14:15], v[22:23], v[26:27]
	ds_bpermute_b32 v22, v21, v16
	ds_bpermute_b32 v23, v21, v17
	ds_bpermute_b32 v24, v21, v0
	ds_bpermute_b32 v25, v21, v1
	ds_bpermute_b32 v18, v21, v12
	ds_bpermute_b32 v19, v21, v13
	ds_bpermute_b32 v20, v21, v14
	ds_bpermute_b32 v21, v21, v15
	s_and_b32 exec_lo, exec_lo, vcc_lo
	s_cbranch_execz .LBB279_25
; %bb.21:
	v_cmp_eq_f64_e32 vcc_lo, 0, v[6:7]
	v_cmp_eq_f64_e64 s2, 0, v[8:9]
	s_wait_dscnt 0x4
	v_add_f64_e32 v[0:1], v[0:1], v[24:25]
	v_add_f64_e32 v[16:17], v[16:17], v[22:23]
	s_wait_dscnt 0x2
	v_add_f64_e32 v[12:13], v[12:13], v[18:19]
	s_wait_dscnt 0x0
	v_add_f64_e32 v[14:15], v[14:15], v[20:21]
	s_load_b64 s[0:1], s[0:1], 0x48
	s_and_b32 s2, vcc_lo, s2
	s_delay_alu instid0(SALU_CYCLE_1) | instskip(NEXT) | instid1(SALU_CYCLE_1)
	s_and_saveexec_b32 s3, s2
	s_xor_b32 s2, exec_lo, s3
	s_cbranch_execz .LBB279_23
; %bb.22:
	s_delay_alu instid0(VALU_DEP_3) | instskip(SKIP_1) | instid1(VALU_DEP_3)
	v_mul_f64_e64 v[6:7], v[16:17], -v[4:5]
	v_mul_f64_e32 v[8:9], v[2:3], v[16:17]
	v_mul_f64_e64 v[16:17], v[14:15], -v[4:5]
	v_mul_f64_e32 v[18:19], v[2:3], v[14:15]
                                        ; implicit-def: $vgpr14_vgpr15
	s_delay_alu instid0(VALU_DEP_4) | instskip(NEXT) | instid1(VALU_DEP_4)
	v_fmac_f64_e32 v[6:7], v[2:3], v[0:1]
	v_fmac_f64_e32 v[8:9], v[4:5], v[0:1]
	s_delay_alu instid0(VALU_DEP_4) | instskip(NEXT) | instid1(VALU_DEP_4)
	v_fmac_f64_e32 v[16:17], v[2:3], v[12:13]
	v_fmac_f64_e32 v[18:19], v[4:5], v[12:13]
	v_lshlrev_b32_e32 v0, 1, v10
                                        ; implicit-def: $vgpr10
                                        ; implicit-def: $vgpr12_vgpr13
                                        ; implicit-def: $vgpr4_vgpr5
	s_wait_kmcnt 0x0
	s_clause 0x1
	global_store_b128 v0, v[6:9], s[0:1] scale_offset
	global_store_b128 v0, v[16:19], s[0:1] offset:16 scale_offset
                                        ; implicit-def: $vgpr0_vgpr1
                                        ; implicit-def: $vgpr16_vgpr17
                                        ; implicit-def: $vgpr8_vgpr9
.LBB279_23:
	s_wait_xcnt 0x0
	s_and_not1_saveexec_b32 s2, s2
	s_cbranch_execz .LBB279_25
; %bb.24:
	s_delay_alu instid0(VALU_DEP_3) | instskip(SKIP_1) | instid1(VALU_DEP_3)
	v_dual_mul_f64 v[26:27], v[16:17], -v[4:5] :: v_dual_lshlrev_b32 v30, 1, v10
	v_mul_f64_e32 v[16:17], v[2:3], v[16:17]
	v_mul_f64_e64 v[28:29], v[14:15], -v[4:5]
	v_mul_f64_e32 v[10:11], v[2:3], v[14:15]
	s_wait_kmcnt 0x0
	s_clause 0x1
	global_load_b128 v[18:21], v30, s[0:1] scale_offset
	global_load_b128 v[22:25], v30, s[0:1] offset:16 scale_offset
	v_fmac_f64_e32 v[26:27], v[2:3], v[0:1]
	v_fmac_f64_e32 v[16:17], v[4:5], v[0:1]
	;; [unrolled: 1-line block ×4, first 2 shown]
	s_wait_loadcnt 0x1
	s_delay_alu instid0(VALU_DEP_4) | instskip(NEXT) | instid1(VALU_DEP_4)
	v_fmac_f64_e32 v[26:27], v[6:7], v[18:19]
	v_fmac_f64_e32 v[16:17], v[8:9], v[18:19]
	s_wait_loadcnt 0x0
	s_delay_alu instid0(VALU_DEP_4) | instskip(NEXT) | instid1(VALU_DEP_4)
	v_fmac_f64_e32 v[28:29], v[6:7], v[22:23]
	v_fmac_f64_e32 v[10:11], v[8:9], v[22:23]
	s_delay_alu instid0(VALU_DEP_4) | instskip(NEXT) | instid1(VALU_DEP_4)
	v_fma_f64 v[14:15], -v[8:9], v[20:21], v[26:27]
	v_fmac_f64_e32 v[16:17], v[6:7], v[20:21]
	s_delay_alu instid0(VALU_DEP_4) | instskip(NEXT) | instid1(VALU_DEP_4)
	v_fma_f64 v[8:9], -v[8:9], v[24:25], v[28:29]
	v_fmac_f64_e32 v[10:11], v[6:7], v[24:25]
	s_clause 0x1
	global_store_b128 v30, v[14:17], s[0:1] scale_offset
	global_store_b128 v30, v[8:11], s[0:1] offset:16 scale_offset
.LBB279_25:
	s_sendmsg sendmsg(MSG_DEALLOC_VGPRS)
	s_endpgm
	.section	.rodata,"a",@progbits
	.p2align	6, 0x0
	.amdhsa_kernel _ZN9rocsparseL19gebsrmvn_2xn_kernelILj128ELj12ELj8E21rocsparse_complex_numIdEEEvi20rocsparse_direction_NS_24const_host_device_scalarIT2_EEPKiS8_PKS5_SA_S6_PS5_21rocsparse_index_base_b
		.amdhsa_group_segment_fixed_size 0
		.amdhsa_private_segment_fixed_size 0
		.amdhsa_kernarg_size 88
		.amdhsa_user_sgpr_count 2
		.amdhsa_user_sgpr_dispatch_ptr 0
		.amdhsa_user_sgpr_queue_ptr 0
		.amdhsa_user_sgpr_kernarg_segment_ptr 1
		.amdhsa_user_sgpr_dispatch_id 0
		.amdhsa_user_sgpr_kernarg_preload_length 0
		.amdhsa_user_sgpr_kernarg_preload_offset 0
		.amdhsa_user_sgpr_private_segment_size 0
		.amdhsa_wavefront_size32 1
		.amdhsa_uses_dynamic_stack 0
		.amdhsa_enable_private_segment 0
		.amdhsa_system_sgpr_workgroup_id_x 1
		.amdhsa_system_sgpr_workgroup_id_y 0
		.amdhsa_system_sgpr_workgroup_id_z 0
		.amdhsa_system_sgpr_workgroup_info 0
		.amdhsa_system_vgpr_workitem_id 0
		.amdhsa_next_free_vgpr 74
		.amdhsa_next_free_sgpr 14
		.amdhsa_named_barrier_count 0
		.amdhsa_reserve_vcc 1
		.amdhsa_float_round_mode_32 0
		.amdhsa_float_round_mode_16_64 0
		.amdhsa_float_denorm_mode_32 3
		.amdhsa_float_denorm_mode_16_64 3
		.amdhsa_fp16_overflow 0
		.amdhsa_memory_ordered 1
		.amdhsa_forward_progress 1
		.amdhsa_inst_pref_size 18
		.amdhsa_round_robin_scheduling 0
		.amdhsa_exception_fp_ieee_invalid_op 0
		.amdhsa_exception_fp_denorm_src 0
		.amdhsa_exception_fp_ieee_div_zero 0
		.amdhsa_exception_fp_ieee_overflow 0
		.amdhsa_exception_fp_ieee_underflow 0
		.amdhsa_exception_fp_ieee_inexact 0
		.amdhsa_exception_int_div_zero 0
	.end_amdhsa_kernel
	.section	.text._ZN9rocsparseL19gebsrmvn_2xn_kernelILj128ELj12ELj8E21rocsparse_complex_numIdEEEvi20rocsparse_direction_NS_24const_host_device_scalarIT2_EEPKiS8_PKS5_SA_S6_PS5_21rocsparse_index_base_b,"axG",@progbits,_ZN9rocsparseL19gebsrmvn_2xn_kernelILj128ELj12ELj8E21rocsparse_complex_numIdEEEvi20rocsparse_direction_NS_24const_host_device_scalarIT2_EEPKiS8_PKS5_SA_S6_PS5_21rocsparse_index_base_b,comdat
.Lfunc_end279:
	.size	_ZN9rocsparseL19gebsrmvn_2xn_kernelILj128ELj12ELj8E21rocsparse_complex_numIdEEEvi20rocsparse_direction_NS_24const_host_device_scalarIT2_EEPKiS8_PKS5_SA_S6_PS5_21rocsparse_index_base_b, .Lfunc_end279-_ZN9rocsparseL19gebsrmvn_2xn_kernelILj128ELj12ELj8E21rocsparse_complex_numIdEEEvi20rocsparse_direction_NS_24const_host_device_scalarIT2_EEPKiS8_PKS5_SA_S6_PS5_21rocsparse_index_base_b
                                        ; -- End function
	.set _ZN9rocsparseL19gebsrmvn_2xn_kernelILj128ELj12ELj8E21rocsparse_complex_numIdEEEvi20rocsparse_direction_NS_24const_host_device_scalarIT2_EEPKiS8_PKS5_SA_S6_PS5_21rocsparse_index_base_b.num_vgpr, 74
	.set _ZN9rocsparseL19gebsrmvn_2xn_kernelILj128ELj12ELj8E21rocsparse_complex_numIdEEEvi20rocsparse_direction_NS_24const_host_device_scalarIT2_EEPKiS8_PKS5_SA_S6_PS5_21rocsparse_index_base_b.num_agpr, 0
	.set _ZN9rocsparseL19gebsrmvn_2xn_kernelILj128ELj12ELj8E21rocsparse_complex_numIdEEEvi20rocsparse_direction_NS_24const_host_device_scalarIT2_EEPKiS8_PKS5_SA_S6_PS5_21rocsparse_index_base_b.numbered_sgpr, 14
	.set _ZN9rocsparseL19gebsrmvn_2xn_kernelILj128ELj12ELj8E21rocsparse_complex_numIdEEEvi20rocsparse_direction_NS_24const_host_device_scalarIT2_EEPKiS8_PKS5_SA_S6_PS5_21rocsparse_index_base_b.num_named_barrier, 0
	.set _ZN9rocsparseL19gebsrmvn_2xn_kernelILj128ELj12ELj8E21rocsparse_complex_numIdEEEvi20rocsparse_direction_NS_24const_host_device_scalarIT2_EEPKiS8_PKS5_SA_S6_PS5_21rocsparse_index_base_b.private_seg_size, 0
	.set _ZN9rocsparseL19gebsrmvn_2xn_kernelILj128ELj12ELj8E21rocsparse_complex_numIdEEEvi20rocsparse_direction_NS_24const_host_device_scalarIT2_EEPKiS8_PKS5_SA_S6_PS5_21rocsparse_index_base_b.uses_vcc, 1
	.set _ZN9rocsparseL19gebsrmvn_2xn_kernelILj128ELj12ELj8E21rocsparse_complex_numIdEEEvi20rocsparse_direction_NS_24const_host_device_scalarIT2_EEPKiS8_PKS5_SA_S6_PS5_21rocsparse_index_base_b.uses_flat_scratch, 0
	.set _ZN9rocsparseL19gebsrmvn_2xn_kernelILj128ELj12ELj8E21rocsparse_complex_numIdEEEvi20rocsparse_direction_NS_24const_host_device_scalarIT2_EEPKiS8_PKS5_SA_S6_PS5_21rocsparse_index_base_b.has_dyn_sized_stack, 0
	.set _ZN9rocsparseL19gebsrmvn_2xn_kernelILj128ELj12ELj8E21rocsparse_complex_numIdEEEvi20rocsparse_direction_NS_24const_host_device_scalarIT2_EEPKiS8_PKS5_SA_S6_PS5_21rocsparse_index_base_b.has_recursion, 0
	.set _ZN9rocsparseL19gebsrmvn_2xn_kernelILj128ELj12ELj8E21rocsparse_complex_numIdEEEvi20rocsparse_direction_NS_24const_host_device_scalarIT2_EEPKiS8_PKS5_SA_S6_PS5_21rocsparse_index_base_b.has_indirect_call, 0
	.section	.AMDGPU.csdata,"",@progbits
; Kernel info:
; codeLenInByte = 2248
; TotalNumSgprs: 16
; NumVgprs: 74
; ScratchSize: 0
; MemoryBound: 1
; FloatMode: 240
; IeeeMode: 1
; LDSByteSize: 0 bytes/workgroup (compile time only)
; SGPRBlocks: 0
; VGPRBlocks: 4
; NumSGPRsForWavesPerEU: 16
; NumVGPRsForWavesPerEU: 74
; NamedBarCnt: 0
; Occupancy: 12
; WaveLimiterHint : 1
; COMPUTE_PGM_RSRC2:SCRATCH_EN: 0
; COMPUTE_PGM_RSRC2:USER_SGPR: 2
; COMPUTE_PGM_RSRC2:TRAP_HANDLER: 0
; COMPUTE_PGM_RSRC2:TGID_X_EN: 1
; COMPUTE_PGM_RSRC2:TGID_Y_EN: 0
; COMPUTE_PGM_RSRC2:TGID_Z_EN: 0
; COMPUTE_PGM_RSRC2:TIDIG_COMP_CNT: 0
	.section	.text._ZN9rocsparseL19gebsrmvn_2xn_kernelILj128ELj12ELj16E21rocsparse_complex_numIdEEEvi20rocsparse_direction_NS_24const_host_device_scalarIT2_EEPKiS8_PKS5_SA_S6_PS5_21rocsparse_index_base_b,"axG",@progbits,_ZN9rocsparseL19gebsrmvn_2xn_kernelILj128ELj12ELj16E21rocsparse_complex_numIdEEEvi20rocsparse_direction_NS_24const_host_device_scalarIT2_EEPKiS8_PKS5_SA_S6_PS5_21rocsparse_index_base_b,comdat
	.globl	_ZN9rocsparseL19gebsrmvn_2xn_kernelILj128ELj12ELj16E21rocsparse_complex_numIdEEEvi20rocsparse_direction_NS_24const_host_device_scalarIT2_EEPKiS8_PKS5_SA_S6_PS5_21rocsparse_index_base_b ; -- Begin function _ZN9rocsparseL19gebsrmvn_2xn_kernelILj128ELj12ELj16E21rocsparse_complex_numIdEEEvi20rocsparse_direction_NS_24const_host_device_scalarIT2_EEPKiS8_PKS5_SA_S6_PS5_21rocsparse_index_base_b
	.p2align	8
	.type	_ZN9rocsparseL19gebsrmvn_2xn_kernelILj128ELj12ELj16E21rocsparse_complex_numIdEEEvi20rocsparse_direction_NS_24const_host_device_scalarIT2_EEPKiS8_PKS5_SA_S6_PS5_21rocsparse_index_base_b,@function
_ZN9rocsparseL19gebsrmvn_2xn_kernelILj128ELj12ELj16E21rocsparse_complex_numIdEEEvi20rocsparse_direction_NS_24const_host_device_scalarIT2_EEPKiS8_PKS5_SA_S6_PS5_21rocsparse_index_base_b: ; @_ZN9rocsparseL19gebsrmvn_2xn_kernelILj128ELj12ELj16E21rocsparse_complex_numIdEEEvi20rocsparse_direction_NS_24const_host_device_scalarIT2_EEPKiS8_PKS5_SA_S6_PS5_21rocsparse_index_base_b
; %bb.0:
	s_clause 0x1
	s_load_b64 s[12:13], s[0:1], 0x50
	s_load_b64 s[2:3], s[0:1], 0x8
	v_mov_b32_e32 v1, 0
	s_add_nc_u64 s[4:5], s[0:1], 8
	s_load_b64 s[6:7], s[0:1], 0x38
	s_wait_kmcnt 0x0
	s_bitcmp1_b32 s13, 0
	s_cselect_b32 s3, s5, s3
	s_cselect_b32 s2, s4, s2
	flat_load_b128 v[2:5], v1, s[2:3]
	s_wait_xcnt 0x0
	s_add_nc_u64 s[2:3], s[0:1], 56
	s_delay_alu instid0(SALU_CYCLE_1)
	s_cselect_b32 s3, s3, s7
	s_cselect_b32 s2, s2, s6
	flat_load_b128 v[6:9], v1, s[2:3]
	s_wait_loadcnt_dscnt 0x101
	v_cmp_eq_f64_e32 vcc_lo, 0, v[2:3]
	s_wait_xcnt 0x0
	v_cmp_eq_f64_e64 s2, 0, v[4:5]
	s_and_b32 s4, vcc_lo, s2
	s_mov_b32 s2, -1
	s_and_saveexec_b32 s3, s4
	s_cbranch_execz .LBB280_2
; %bb.1:
	s_wait_loadcnt_dscnt 0x0
	v_cmp_neq_f64_e32 vcc_lo, 1.0, v[6:7]
	v_cmp_neq_f64_e64 s2, 0, v[8:9]
	s_or_b32 s2, vcc_lo, s2
	s_delay_alu instid0(SALU_CYCLE_1)
	s_or_not1_b32 s2, s2, exec_lo
.LBB280_2:
	s_or_b32 exec_lo, exec_lo, s3
	s_and_saveexec_b32 s3, s2
	s_cbranch_execz .LBB280_25
; %bb.3:
	s_load_b64 s[2:3], s[0:1], 0x0
	s_bfe_u32 s4, ttmp6, 0x4000c
	s_and_b32 s5, ttmp6, 15
	s_add_co_i32 s4, s4, 1
	s_getreg_b32 s6, hwreg(HW_REG_IB_STS2, 6, 4)
	s_mul_i32 s4, ttmp9, s4
	v_lshrrev_b32_e32 v1, 4, v0
	s_add_co_i32 s5, s5, s4
	s_cmp_eq_u32 s6, 0
	s_cselect_b32 s4, ttmp9, s5
	s_delay_alu instid0(VALU_DEP_1) | instid1(SALU_CYCLE_1)
	v_lshl_or_b32 v10, s4, 3, v1
	s_wait_kmcnt 0x0
	s_delay_alu instid0(VALU_DEP_1)
	v_cmp_gt_i32_e32 vcc_lo, s2, v10
	s_and_b32 exec_lo, exec_lo, vcc_lo
	s_cbranch_execz .LBB280_25
; %bb.4:
	s_load_b256 s[4:11], s[0:1], 0x18
	v_ashrrev_i32_e32 v11, 31, v10
	s_cmp_lg_u32 s3, 0
	s_wait_kmcnt 0x0
	s_delay_alu instid0(VALU_DEP_1)
	v_lshl_add_u64 v[12:13], v[10:11], 2, s[4:5]
	v_and_b32_e32 v11, 15, v0
	global_load_b64 v[18:19], v[12:13], off
	s_wait_loadcnt 0x0
	v_subrev_nc_u32_e32 v0, s12, v18
	v_subrev_nc_u32_e32 v19, s12, v19
	s_delay_alu instid0(VALU_DEP_2) | instskip(NEXT) | instid1(VALU_DEP_1)
	v_add_nc_u32_e32 v20, v0, v11
	v_cmp_lt_i32_e64 s2, v20, v19
	s_cbranch_scc0 .LBB280_12
; %bb.5:
	v_mov_b64_e32 v[0:1], 0
	v_mov_b64_e32 v[14:15], 0
	;; [unrolled: 1-line block ×4, first 2 shown]
	s_and_saveexec_b32 s3, s2
	s_cbranch_execz .LBB280_11
; %bb.6:
	v_mul_u32_u24_e32 v0, 24, v11
	v_mul_lo_u32 v21, v20, 24
	s_mul_i32 s4, s12, 24
	v_mov_b64_e32 v[14:15], 0
	v_mov_b64_e32 v[16:17], 0
	v_mad_u32 v22, v18, 24, v0
	v_mov_b64_e32 v[0:1], 0
	v_mov_b64_e32 v[12:13], 0
	v_mov_b32_e32 v23, v20
	s_delay_alu instid0(VALU_DEP_4)
	v_subrev_nc_u32_e32 v22, s4, v22
	s_mov_b32 s4, 0
.LBB280_7:                              ; =>This Loop Header: Depth=1
                                        ;     Child Loop BB280_8 Depth 2
	global_load_b32 v24, v23, s[6:7] scale_offset
	s_mov_b32 s5, 0
	s_wait_loadcnt 0x0
	v_subrev_nc_u32_e32 v24, s12, v24
	s_delay_alu instid0(VALU_DEP_1)
	v_mul_lo_u32 v24, v24, 12
.LBB280_8:                              ;   Parent Loop BB280_7 Depth=1
                                        ; =>  This Inner Loop Header: Depth=2
	v_add_nc_u32_e32 v25, s5, v22
	s_clause 0x1
	global_load_b128 v[26:29], v24, s[10:11] offset:16 scale_offset
	global_load_b128 v[30:33], v24, s[10:11] scale_offset
	s_clause 0x3
	global_load_b128 v[34:37], v25, s[8:9] scale_offset
	global_load_b128 v[38:41], v25, s[8:9] offset:16 scale_offset
	global_load_b128 v[42:45], v25, s[8:9] offset:32 scale_offset
	;; [unrolled: 1-line block ×3, first 2 shown]
	s_wait_xcnt 0x0
	v_add3_u32 v25, v21, s5, 4
	s_add_co_i32 s5, s5, 8
	s_clause 0x1
	global_load_b128 v[50:53], v24, s[10:11] offset:48 scale_offset
	global_load_b128 v[54:57], v24, s[10:11] offset:32 scale_offset
	s_clause 0x3
	global_load_b128 v[58:61], v25, s[8:9] scale_offset
	global_load_b128 v[62:65], v25, s[8:9] offset:16 scale_offset
	global_load_b128 v[66:69], v25, s[8:9] offset:32 scale_offset
	;; [unrolled: 1-line block ×3, first 2 shown]
	s_wait_xcnt 0x4
	v_add_nc_u32_e32 v24, 4, v24
	s_cmp_eq_u32 s5, 24
	s_wait_loadcnt 0x9
	v_fmac_f64_e32 v[14:15], v[34:35], v[30:31]
	v_fmac_f64_e32 v[0:1], v[36:37], v[30:31]
	s_wait_loadcnt 0x8
	v_fmac_f64_e32 v[16:17], v[38:39], v[30:31]
	v_fmac_f64_e32 v[12:13], v[40:41], v[30:31]
	s_delay_alu instid0(VALU_DEP_4) | instskip(NEXT) | instid1(VALU_DEP_4)
	v_fma_f64 v[14:15], -v[36:37], v[32:33], v[14:15]
	v_fmac_f64_e32 v[0:1], v[34:35], v[32:33]
	s_delay_alu instid0(VALU_DEP_4) | instskip(NEXT) | instid1(VALU_DEP_4)
	v_fma_f64 v[16:17], -v[40:41], v[32:33], v[16:17]
	v_fmac_f64_e32 v[12:13], v[38:39], v[32:33]
	s_wait_loadcnt 0x7
	s_delay_alu instid0(VALU_DEP_4) | instskip(NEXT) | instid1(VALU_DEP_4)
	v_fmac_f64_e32 v[14:15], v[42:43], v[26:27]
	v_fmac_f64_e32 v[0:1], v[44:45], v[26:27]
	s_wait_loadcnt 0x6
	s_delay_alu instid0(VALU_DEP_4) | instskip(NEXT) | instid1(VALU_DEP_4)
	v_fmac_f64_e32 v[16:17], v[46:47], v[26:27]
	v_fmac_f64_e32 v[12:13], v[48:49], v[26:27]
	s_delay_alu instid0(VALU_DEP_4) | instskip(NEXT) | instid1(VALU_DEP_4)
	v_fma_f64 v[14:15], -v[44:45], v[28:29], v[14:15]
	v_fmac_f64_e32 v[0:1], v[42:43], v[28:29]
	s_delay_alu instid0(VALU_DEP_4) | instskip(NEXT) | instid1(VALU_DEP_4)
	v_fma_f64 v[16:17], -v[48:49], v[28:29], v[16:17]
	v_fmac_f64_e32 v[12:13], v[46:47], v[28:29]
	s_wait_loadcnt 0x3
	s_delay_alu instid0(VALU_DEP_4) | instskip(NEXT) | instid1(VALU_DEP_4)
	v_fmac_f64_e32 v[14:15], v[58:59], v[54:55]
	v_fmac_f64_e32 v[0:1], v[60:61], v[54:55]
	s_wait_loadcnt 0x2
	s_delay_alu instid0(VALU_DEP_4) | instskip(NEXT) | instid1(VALU_DEP_4)
	;; [unrolled: 14-line block ×3, first 2 shown]
	v_fmac_f64_e32 v[16:17], v[70:71], v[50:51]
	v_fmac_f64_e32 v[12:13], v[72:73], v[50:51]
	s_delay_alu instid0(VALU_DEP_4) | instskip(NEXT) | instid1(VALU_DEP_4)
	v_fma_f64 v[14:15], -v[68:69], v[52:53], v[14:15]
	v_fmac_f64_e32 v[0:1], v[66:67], v[52:53]
	s_delay_alu instid0(VALU_DEP_4) | instskip(NEXT) | instid1(VALU_DEP_4)
	v_fma_f64 v[16:17], -v[72:73], v[52:53], v[16:17]
	v_fmac_f64_e32 v[12:13], v[70:71], v[52:53]
	s_cbranch_scc0 .LBB280_8
; %bb.9:                                ;   in Loop: Header=BB280_7 Depth=1
	v_add_nc_u32_e32 v23, 16, v23
	v_add_nc_u32_e32 v21, 0x180, v21
	;; [unrolled: 1-line block ×3, first 2 shown]
	s_delay_alu instid0(VALU_DEP_3) | instskip(SKIP_1) | instid1(SALU_CYCLE_1)
	v_cmp_ge_i32_e32 vcc_lo, v23, v19
	s_or_b32 s4, vcc_lo, s4
	s_and_not1_b32 exec_lo, exec_lo, s4
	s_cbranch_execnz .LBB280_7
; %bb.10:
	s_or_b32 exec_lo, exec_lo, s4
.LBB280_11:
	s_delay_alu instid0(SALU_CYCLE_1)
	s_or_b32 exec_lo, exec_lo, s3
	s_cbranch_execz .LBB280_13
	s_branch .LBB280_20
.LBB280_12:
                                        ; implicit-def: $vgpr0_vgpr1
                                        ; implicit-def: $vgpr14_vgpr15
                                        ; implicit-def: $vgpr16_vgpr17
                                        ; implicit-def: $vgpr12_vgpr13
.LBB280_13:
	v_mov_b64_e32 v[0:1], 0
	v_mov_b64_e32 v[14:15], 0
	;; [unrolled: 1-line block ×4, first 2 shown]
	s_and_saveexec_b32 s3, s2
	s_cbranch_execz .LBB280_19
; %bb.14:
	v_mul_u32_u24_e32 v0, 24, v11
	s_mul_i32 s2, s12, 24
	v_mov_b64_e32 v[14:15], 0
	v_mov_b64_e32 v[16:17], 0
	;; [unrolled: 1-line block ×3, first 2 shown]
	v_mad_u32 v21, v18, 24, v0
	v_mul_lo_u32 v18, v20, 24
	v_mov_b64_e32 v[0:1], 0
	s_delay_alu instid0(VALU_DEP_3)
	v_subrev_nc_u32_e32 v21, s2, v21
	s_mov_b32 s2, 0
.LBB280_15:                             ; =>This Loop Header: Depth=1
                                        ;     Child Loop BB280_16 Depth 2
	global_load_b32 v22, v20, s[6:7] scale_offset
	s_mov_b32 s4, 0
	s_wait_loadcnt 0x0
	v_subrev_nc_u32_e32 v22, s12, v22
	s_delay_alu instid0(VALU_DEP_1)
	v_mul_lo_u32 v22, v22, 12
.LBB280_16:                             ;   Parent Loop BB280_15 Depth=1
                                        ; =>  This Inner Loop Header: Depth=2
	s_delay_alu instid0(VALU_DEP_1)
	v_dual_add_nc_u32 v23, s4, v21 :: v_dual_add_nc_u32 v72, s4, v22
	v_add3_u32 v73, v18, s4, 12
	s_add_co_i32 s4, s4, 4
	global_load_b128 v[24:27], v23, s[8:9] scale_offset
	global_load_b128 v[28:31], v72, s[10:11] scale_offset
	s_clause 0x1
	global_load_b128 v[32:35], v73, s[8:9] scale_offset
	global_load_b128 v[36:39], v23, s[8:9] offset:16 scale_offset
	global_load_b128 v[40:43], v72, s[10:11] offset:16 scale_offset
	s_clause 0x1
	global_load_b128 v[44:47], v73, s[8:9] offset:16 scale_offset
	global_load_b128 v[48:51], v23, s[8:9] offset:32 scale_offset
	;; [unrolled: 1-line block ×3, first 2 shown]
	s_clause 0x1
	global_load_b128 v[56:59], v73, s[8:9] offset:32 scale_offset
	global_load_b128 v[60:63], v23, s[8:9] offset:48 scale_offset
	;; [unrolled: 1-line block ×4, first 2 shown]
	s_cmp_eq_u32 s4, 12
	s_wait_loadcnt 0xa
	v_fmac_f64_e32 v[14:15], v[24:25], v[28:29]
	v_fmac_f64_e32 v[0:1], v[26:27], v[28:29]
	s_wait_loadcnt 0x9
	v_fmac_f64_e32 v[16:17], v[32:33], v[28:29]
	v_fmac_f64_e32 v[12:13], v[34:35], v[28:29]
	s_delay_alu instid0(VALU_DEP_4) | instskip(NEXT) | instid1(VALU_DEP_4)
	v_fma_f64 v[14:15], -v[26:27], v[30:31], v[14:15]
	v_fmac_f64_e32 v[0:1], v[24:25], v[30:31]
	s_delay_alu instid0(VALU_DEP_4) | instskip(NEXT) | instid1(VALU_DEP_4)
	v_fma_f64 v[16:17], -v[34:35], v[30:31], v[16:17]
	v_fmac_f64_e32 v[12:13], v[32:33], v[30:31]
	s_wait_loadcnt 0x7
	s_delay_alu instid0(VALU_DEP_4) | instskip(NEXT) | instid1(VALU_DEP_4)
	v_fmac_f64_e32 v[14:15], v[36:37], v[40:41]
	v_fmac_f64_e32 v[0:1], v[38:39], v[40:41]
	s_wait_loadcnt 0x6
	s_delay_alu instid0(VALU_DEP_4) | instskip(NEXT) | instid1(VALU_DEP_4)
	v_fmac_f64_e32 v[16:17], v[44:45], v[40:41]
	v_fmac_f64_e32 v[12:13], v[46:47], v[40:41]
	s_delay_alu instid0(VALU_DEP_4) | instskip(NEXT) | instid1(VALU_DEP_4)
	v_fma_f64 v[14:15], -v[38:39], v[42:43], v[14:15]
	v_fmac_f64_e32 v[0:1], v[36:37], v[42:43]
	s_delay_alu instid0(VALU_DEP_4) | instskip(NEXT) | instid1(VALU_DEP_4)
	v_fma_f64 v[16:17], -v[46:47], v[42:43], v[16:17]
	v_fmac_f64_e32 v[12:13], v[44:45], v[42:43]
	s_wait_loadcnt 0x4
	s_delay_alu instid0(VALU_DEP_4) | instskip(NEXT) | instid1(VALU_DEP_4)
	v_fmac_f64_e32 v[14:15], v[48:49], v[52:53]
	v_fmac_f64_e32 v[0:1], v[50:51], v[52:53]
	s_wait_loadcnt 0x3
	s_delay_alu instid0(VALU_DEP_4) | instskip(NEXT) | instid1(VALU_DEP_4)
	;; [unrolled: 14-line block ×3, first 2 shown]
	v_fmac_f64_e32 v[16:17], v[68:69], v[64:65]
	v_fmac_f64_e32 v[12:13], v[70:71], v[64:65]
	s_delay_alu instid0(VALU_DEP_4) | instskip(NEXT) | instid1(VALU_DEP_4)
	v_fma_f64 v[14:15], -v[62:63], v[66:67], v[14:15]
	v_fmac_f64_e32 v[0:1], v[60:61], v[66:67]
	s_delay_alu instid0(VALU_DEP_4) | instskip(NEXT) | instid1(VALU_DEP_4)
	v_fma_f64 v[16:17], -v[70:71], v[66:67], v[16:17]
	v_fmac_f64_e32 v[12:13], v[68:69], v[66:67]
	s_cbranch_scc0 .LBB280_16
; %bb.17:                               ;   in Loop: Header=BB280_15 Depth=1
	v_add_nc_u32_e32 v20, 16, v20
	v_add_nc_u32_e32 v18, 0x180, v18
	;; [unrolled: 1-line block ×3, first 2 shown]
	s_delay_alu instid0(VALU_DEP_3) | instskip(SKIP_1) | instid1(SALU_CYCLE_1)
	v_cmp_ge_i32_e32 vcc_lo, v20, v19
	s_or_b32 s2, vcc_lo, s2
	s_and_not1_b32 exec_lo, exec_lo, s2
	s_cbranch_execnz .LBB280_15
; %bb.18:
	s_or_b32 exec_lo, exec_lo, s2
.LBB280_19:
	s_delay_alu instid0(SALU_CYCLE_1)
	s_or_b32 exec_lo, exec_lo, s3
.LBB280_20:
	v_mbcnt_lo_u32_b32 v28, -1, 0
	s_delay_alu instid0(VALU_DEP_1) | instskip(NEXT) | instid1(VALU_DEP_1)
	v_xor_b32_e32 v18, 8, v28
	v_cmp_gt_i32_e32 vcc_lo, 32, v18
	v_cndmask_b32_e32 v18, v28, v18, vcc_lo
	s_delay_alu instid0(VALU_DEP_1)
	v_lshlrev_b32_e32 v25, 2, v18
	ds_bpermute_b32 v20, v25, v0
	ds_bpermute_b32 v21, v25, v1
	s_wait_dscnt 0x0
	v_add_f64_e32 v[0:1], v[0:1], v[20:21]
	ds_bpermute_b32 v18, v25, v14
	ds_bpermute_b32 v19, v25, v15
	;; [unrolled: 1-line block ×6, first 2 shown]
	s_wait_dscnt 0x4
	v_dual_add_f64 v[14:15], v[14:15], v[18:19] :: v_dual_bitop2_b32 v18, 4, v28 bitop3:0x14
	s_wait_dscnt 0x2
	v_add_f64_e32 v[16:17], v[16:17], v[22:23]
	s_delay_alu instid0(VALU_DEP_2) | instskip(SKIP_2) | instid1(VALU_DEP_1)
	v_cmp_gt_i32_e32 vcc_lo, 32, v18
	v_cndmask_b32_e32 v18, v28, v18, vcc_lo
	s_wait_dscnt 0x0
	v_dual_add_f64 v[12:13], v[12:13], v[24:25] :: v_dual_lshlrev_b32 v25, 2, v18
	ds_bpermute_b32 v20, v25, v0
	ds_bpermute_b32 v21, v25, v1
	;; [unrolled: 1-line block ×8, first 2 shown]
	s_wait_dscnt 0x4
	v_add_f64_e32 v[14:15], v[14:15], v[18:19]
	v_add_f64_e32 v[18:19], v[0:1], v[20:21]
	s_wait_dscnt 0x2
	v_dual_add_f64 v[20:21], v[16:17], v[22:23] :: v_dual_bitop2_b32 v0, 2, v28 bitop3:0x14
	s_delay_alu instid0(VALU_DEP_1) | instskip(SKIP_3) | instid1(VALU_DEP_1)
	v_cmp_gt_i32_e32 vcc_lo, 32, v0
	s_wait_dscnt 0x0
	v_add_f64_e32 v[22:23], v[12:13], v[24:25]
	v_cndmask_b32_e32 v0, v28, v0, vcc_lo
	v_lshlrev_b32_e32 v16, 2, v0
	ds_bpermute_b32 v0, v16, v14
	ds_bpermute_b32 v12, v16, v18
	;; [unrolled: 1-line block ×8, first 2 shown]
	s_wait_dscnt 0x5
	v_add_f64_e32 v[16:17], v[18:19], v[12:13]
	v_xor_b32_e32 v18, 1, v28
	s_wait_dscnt 0x2
	v_add_f64_e32 v[12:13], v[20:21], v[24:25]
	s_delay_alu instid0(VALU_DEP_2) | instskip(SKIP_2) | instid1(VALU_DEP_2)
	v_cmp_gt_i32_e32 vcc_lo, 32, v18
	v_dual_add_f64 v[0:1], v[14:15], v[0:1] :: v_dual_cndmask_b32 v18, v28, v18, vcc_lo
	v_cmp_eq_u32_e32 vcc_lo, 15, v11
	v_lshlrev_b32_e32 v21, 2, v18
	s_wait_dscnt 0x0
	v_add_f64_e32 v[14:15], v[22:23], v[26:27]
	ds_bpermute_b32 v22, v21, v16
	ds_bpermute_b32 v23, v21, v17
	;; [unrolled: 1-line block ×8, first 2 shown]
	s_and_b32 exec_lo, exec_lo, vcc_lo
	s_cbranch_execz .LBB280_25
; %bb.21:
	v_cmp_eq_f64_e32 vcc_lo, 0, v[6:7]
	v_cmp_eq_f64_e64 s2, 0, v[8:9]
	s_wait_dscnt 0x2
	v_add_f64_e32 v[0:1], v[0:1], v[24:25]
	v_add_f64_e32 v[16:17], v[16:17], v[22:23]
	;; [unrolled: 1-line block ×3, first 2 shown]
	s_wait_dscnt 0x0
	v_add_f64_e32 v[14:15], v[14:15], v[20:21]
	s_load_b64 s[0:1], s[0:1], 0x48
	s_and_b32 s2, vcc_lo, s2
	s_delay_alu instid0(SALU_CYCLE_1) | instskip(NEXT) | instid1(SALU_CYCLE_1)
	s_and_saveexec_b32 s3, s2
	s_xor_b32 s2, exec_lo, s3
	s_cbranch_execz .LBB280_23
; %bb.22:
	s_delay_alu instid0(VALU_DEP_3) | instskip(SKIP_1) | instid1(VALU_DEP_3)
	v_mul_f64_e64 v[6:7], v[16:17], -v[4:5]
	v_mul_f64_e32 v[8:9], v[2:3], v[16:17]
	v_mul_f64_e64 v[16:17], v[14:15], -v[4:5]
	v_mul_f64_e32 v[18:19], v[2:3], v[14:15]
                                        ; implicit-def: $vgpr14_vgpr15
	s_delay_alu instid0(VALU_DEP_4) | instskip(NEXT) | instid1(VALU_DEP_4)
	v_fmac_f64_e32 v[6:7], v[2:3], v[0:1]
	v_fmac_f64_e32 v[8:9], v[4:5], v[0:1]
	s_delay_alu instid0(VALU_DEP_4) | instskip(NEXT) | instid1(VALU_DEP_4)
	v_fmac_f64_e32 v[16:17], v[2:3], v[12:13]
	v_fmac_f64_e32 v[18:19], v[4:5], v[12:13]
	v_lshlrev_b32_e32 v0, 1, v10
                                        ; implicit-def: $vgpr10
                                        ; implicit-def: $vgpr12_vgpr13
                                        ; implicit-def: $vgpr4_vgpr5
	s_wait_kmcnt 0x0
	s_clause 0x1
	global_store_b128 v0, v[6:9], s[0:1] scale_offset
	global_store_b128 v0, v[16:19], s[0:1] offset:16 scale_offset
                                        ; implicit-def: $vgpr0_vgpr1
                                        ; implicit-def: $vgpr16_vgpr17
                                        ; implicit-def: $vgpr8_vgpr9
.LBB280_23:
	s_wait_xcnt 0x0
	s_and_not1_saveexec_b32 s2, s2
	s_cbranch_execz .LBB280_25
; %bb.24:
	s_delay_alu instid0(VALU_DEP_3) | instskip(SKIP_1) | instid1(VALU_DEP_3)
	v_dual_mul_f64 v[26:27], v[16:17], -v[4:5] :: v_dual_lshlrev_b32 v30, 1, v10
	v_mul_f64_e32 v[16:17], v[2:3], v[16:17]
	v_mul_f64_e64 v[28:29], v[14:15], -v[4:5]
	v_mul_f64_e32 v[10:11], v[2:3], v[14:15]
	s_wait_kmcnt 0x0
	s_clause 0x1
	global_load_b128 v[18:21], v30, s[0:1] scale_offset
	global_load_b128 v[22:25], v30, s[0:1] offset:16 scale_offset
	v_fmac_f64_e32 v[26:27], v[2:3], v[0:1]
	v_fmac_f64_e32 v[16:17], v[4:5], v[0:1]
	;; [unrolled: 1-line block ×4, first 2 shown]
	s_wait_loadcnt 0x1
	s_delay_alu instid0(VALU_DEP_4) | instskip(NEXT) | instid1(VALU_DEP_4)
	v_fmac_f64_e32 v[26:27], v[6:7], v[18:19]
	v_fmac_f64_e32 v[16:17], v[8:9], v[18:19]
	s_wait_loadcnt 0x0
	s_delay_alu instid0(VALU_DEP_4) | instskip(NEXT) | instid1(VALU_DEP_4)
	v_fmac_f64_e32 v[28:29], v[6:7], v[22:23]
	v_fmac_f64_e32 v[10:11], v[8:9], v[22:23]
	s_delay_alu instid0(VALU_DEP_4) | instskip(NEXT) | instid1(VALU_DEP_4)
	v_fma_f64 v[14:15], -v[8:9], v[20:21], v[26:27]
	v_fmac_f64_e32 v[16:17], v[6:7], v[20:21]
	s_delay_alu instid0(VALU_DEP_4) | instskip(NEXT) | instid1(VALU_DEP_4)
	v_fma_f64 v[8:9], -v[8:9], v[24:25], v[28:29]
	v_fmac_f64_e32 v[10:11], v[6:7], v[24:25]
	s_clause 0x1
	global_store_b128 v30, v[14:17], s[0:1] scale_offset
	global_store_b128 v30, v[8:11], s[0:1] offset:16 scale_offset
.LBB280_25:
	s_sendmsg sendmsg(MSG_DEALLOC_VGPRS)
	s_endpgm
	.section	.rodata,"a",@progbits
	.p2align	6, 0x0
	.amdhsa_kernel _ZN9rocsparseL19gebsrmvn_2xn_kernelILj128ELj12ELj16E21rocsparse_complex_numIdEEEvi20rocsparse_direction_NS_24const_host_device_scalarIT2_EEPKiS8_PKS5_SA_S6_PS5_21rocsparse_index_base_b
		.amdhsa_group_segment_fixed_size 0
		.amdhsa_private_segment_fixed_size 0
		.amdhsa_kernarg_size 88
		.amdhsa_user_sgpr_count 2
		.amdhsa_user_sgpr_dispatch_ptr 0
		.amdhsa_user_sgpr_queue_ptr 0
		.amdhsa_user_sgpr_kernarg_segment_ptr 1
		.amdhsa_user_sgpr_dispatch_id 0
		.amdhsa_user_sgpr_kernarg_preload_length 0
		.amdhsa_user_sgpr_kernarg_preload_offset 0
		.amdhsa_user_sgpr_private_segment_size 0
		.amdhsa_wavefront_size32 1
		.amdhsa_uses_dynamic_stack 0
		.amdhsa_enable_private_segment 0
		.amdhsa_system_sgpr_workgroup_id_x 1
		.amdhsa_system_sgpr_workgroup_id_y 0
		.amdhsa_system_sgpr_workgroup_id_z 0
		.amdhsa_system_sgpr_workgroup_info 0
		.amdhsa_system_vgpr_workitem_id 0
		.amdhsa_next_free_vgpr 74
		.amdhsa_next_free_sgpr 14
		.amdhsa_named_barrier_count 0
		.amdhsa_reserve_vcc 1
		.amdhsa_float_round_mode_32 0
		.amdhsa_float_round_mode_16_64 0
		.amdhsa_float_denorm_mode_32 3
		.amdhsa_float_denorm_mode_16_64 3
		.amdhsa_fp16_overflow 0
		.amdhsa_memory_ordered 1
		.amdhsa_forward_progress 1
		.amdhsa_inst_pref_size 19
		.amdhsa_round_robin_scheduling 0
		.amdhsa_exception_fp_ieee_invalid_op 0
		.amdhsa_exception_fp_denorm_src 0
		.amdhsa_exception_fp_ieee_div_zero 0
		.amdhsa_exception_fp_ieee_overflow 0
		.amdhsa_exception_fp_ieee_underflow 0
		.amdhsa_exception_fp_ieee_inexact 0
		.amdhsa_exception_int_div_zero 0
	.end_amdhsa_kernel
	.section	.text._ZN9rocsparseL19gebsrmvn_2xn_kernelILj128ELj12ELj16E21rocsparse_complex_numIdEEEvi20rocsparse_direction_NS_24const_host_device_scalarIT2_EEPKiS8_PKS5_SA_S6_PS5_21rocsparse_index_base_b,"axG",@progbits,_ZN9rocsparseL19gebsrmvn_2xn_kernelILj128ELj12ELj16E21rocsparse_complex_numIdEEEvi20rocsparse_direction_NS_24const_host_device_scalarIT2_EEPKiS8_PKS5_SA_S6_PS5_21rocsparse_index_base_b,comdat
.Lfunc_end280:
	.size	_ZN9rocsparseL19gebsrmvn_2xn_kernelILj128ELj12ELj16E21rocsparse_complex_numIdEEEvi20rocsparse_direction_NS_24const_host_device_scalarIT2_EEPKiS8_PKS5_SA_S6_PS5_21rocsparse_index_base_b, .Lfunc_end280-_ZN9rocsparseL19gebsrmvn_2xn_kernelILj128ELj12ELj16E21rocsparse_complex_numIdEEEvi20rocsparse_direction_NS_24const_host_device_scalarIT2_EEPKiS8_PKS5_SA_S6_PS5_21rocsparse_index_base_b
                                        ; -- End function
	.set _ZN9rocsparseL19gebsrmvn_2xn_kernelILj128ELj12ELj16E21rocsparse_complex_numIdEEEvi20rocsparse_direction_NS_24const_host_device_scalarIT2_EEPKiS8_PKS5_SA_S6_PS5_21rocsparse_index_base_b.num_vgpr, 74
	.set _ZN9rocsparseL19gebsrmvn_2xn_kernelILj128ELj12ELj16E21rocsparse_complex_numIdEEEvi20rocsparse_direction_NS_24const_host_device_scalarIT2_EEPKiS8_PKS5_SA_S6_PS5_21rocsparse_index_base_b.num_agpr, 0
	.set _ZN9rocsparseL19gebsrmvn_2xn_kernelILj128ELj12ELj16E21rocsparse_complex_numIdEEEvi20rocsparse_direction_NS_24const_host_device_scalarIT2_EEPKiS8_PKS5_SA_S6_PS5_21rocsparse_index_base_b.numbered_sgpr, 14
	.set _ZN9rocsparseL19gebsrmvn_2xn_kernelILj128ELj12ELj16E21rocsparse_complex_numIdEEEvi20rocsparse_direction_NS_24const_host_device_scalarIT2_EEPKiS8_PKS5_SA_S6_PS5_21rocsparse_index_base_b.num_named_barrier, 0
	.set _ZN9rocsparseL19gebsrmvn_2xn_kernelILj128ELj12ELj16E21rocsparse_complex_numIdEEEvi20rocsparse_direction_NS_24const_host_device_scalarIT2_EEPKiS8_PKS5_SA_S6_PS5_21rocsparse_index_base_b.private_seg_size, 0
	.set _ZN9rocsparseL19gebsrmvn_2xn_kernelILj128ELj12ELj16E21rocsparse_complex_numIdEEEvi20rocsparse_direction_NS_24const_host_device_scalarIT2_EEPKiS8_PKS5_SA_S6_PS5_21rocsparse_index_base_b.uses_vcc, 1
	.set _ZN9rocsparseL19gebsrmvn_2xn_kernelILj128ELj12ELj16E21rocsparse_complex_numIdEEEvi20rocsparse_direction_NS_24const_host_device_scalarIT2_EEPKiS8_PKS5_SA_S6_PS5_21rocsparse_index_base_b.uses_flat_scratch, 0
	.set _ZN9rocsparseL19gebsrmvn_2xn_kernelILj128ELj12ELj16E21rocsparse_complex_numIdEEEvi20rocsparse_direction_NS_24const_host_device_scalarIT2_EEPKiS8_PKS5_SA_S6_PS5_21rocsparse_index_base_b.has_dyn_sized_stack, 0
	.set _ZN9rocsparseL19gebsrmvn_2xn_kernelILj128ELj12ELj16E21rocsparse_complex_numIdEEEvi20rocsparse_direction_NS_24const_host_device_scalarIT2_EEPKiS8_PKS5_SA_S6_PS5_21rocsparse_index_base_b.has_recursion, 0
	.set _ZN9rocsparseL19gebsrmvn_2xn_kernelILj128ELj12ELj16E21rocsparse_complex_numIdEEEvi20rocsparse_direction_NS_24const_host_device_scalarIT2_EEPKiS8_PKS5_SA_S6_PS5_21rocsparse_index_base_b.has_indirect_call, 0
	.section	.AMDGPU.csdata,"",@progbits
; Kernel info:
; codeLenInByte = 2364
; TotalNumSgprs: 16
; NumVgprs: 74
; ScratchSize: 0
; MemoryBound: 1
; FloatMode: 240
; IeeeMode: 1
; LDSByteSize: 0 bytes/workgroup (compile time only)
; SGPRBlocks: 0
; VGPRBlocks: 4
; NumSGPRsForWavesPerEU: 16
; NumVGPRsForWavesPerEU: 74
; NamedBarCnt: 0
; Occupancy: 12
; WaveLimiterHint : 1
; COMPUTE_PGM_RSRC2:SCRATCH_EN: 0
; COMPUTE_PGM_RSRC2:USER_SGPR: 2
; COMPUTE_PGM_RSRC2:TRAP_HANDLER: 0
; COMPUTE_PGM_RSRC2:TGID_X_EN: 1
; COMPUTE_PGM_RSRC2:TGID_Y_EN: 0
; COMPUTE_PGM_RSRC2:TGID_Z_EN: 0
; COMPUTE_PGM_RSRC2:TIDIG_COMP_CNT: 0
	.section	.text._ZN9rocsparseL19gebsrmvn_2xn_kernelILj128ELj12ELj32E21rocsparse_complex_numIdEEEvi20rocsparse_direction_NS_24const_host_device_scalarIT2_EEPKiS8_PKS5_SA_S6_PS5_21rocsparse_index_base_b,"axG",@progbits,_ZN9rocsparseL19gebsrmvn_2xn_kernelILj128ELj12ELj32E21rocsparse_complex_numIdEEEvi20rocsparse_direction_NS_24const_host_device_scalarIT2_EEPKiS8_PKS5_SA_S6_PS5_21rocsparse_index_base_b,comdat
	.globl	_ZN9rocsparseL19gebsrmvn_2xn_kernelILj128ELj12ELj32E21rocsparse_complex_numIdEEEvi20rocsparse_direction_NS_24const_host_device_scalarIT2_EEPKiS8_PKS5_SA_S6_PS5_21rocsparse_index_base_b ; -- Begin function _ZN9rocsparseL19gebsrmvn_2xn_kernelILj128ELj12ELj32E21rocsparse_complex_numIdEEEvi20rocsparse_direction_NS_24const_host_device_scalarIT2_EEPKiS8_PKS5_SA_S6_PS5_21rocsparse_index_base_b
	.p2align	8
	.type	_ZN9rocsparseL19gebsrmvn_2xn_kernelILj128ELj12ELj32E21rocsparse_complex_numIdEEEvi20rocsparse_direction_NS_24const_host_device_scalarIT2_EEPKiS8_PKS5_SA_S6_PS5_21rocsparse_index_base_b,@function
_ZN9rocsparseL19gebsrmvn_2xn_kernelILj128ELj12ELj32E21rocsparse_complex_numIdEEEvi20rocsparse_direction_NS_24const_host_device_scalarIT2_EEPKiS8_PKS5_SA_S6_PS5_21rocsparse_index_base_b: ; @_ZN9rocsparseL19gebsrmvn_2xn_kernelILj128ELj12ELj32E21rocsparse_complex_numIdEEEvi20rocsparse_direction_NS_24const_host_device_scalarIT2_EEPKiS8_PKS5_SA_S6_PS5_21rocsparse_index_base_b
; %bb.0:
	s_clause 0x1
	s_load_b64 s[12:13], s[0:1], 0x50
	s_load_b64 s[2:3], s[0:1], 0x8
	v_mov_b32_e32 v1, 0
	s_add_nc_u64 s[4:5], s[0:1], 8
	s_load_b64 s[6:7], s[0:1], 0x38
	s_wait_kmcnt 0x0
	s_bitcmp1_b32 s13, 0
	s_cselect_b32 s3, s5, s3
	s_cselect_b32 s2, s4, s2
	flat_load_b128 v[2:5], v1, s[2:3]
	s_wait_xcnt 0x0
	s_add_nc_u64 s[2:3], s[0:1], 56
	s_delay_alu instid0(SALU_CYCLE_1)
	s_cselect_b32 s3, s3, s7
	s_cselect_b32 s2, s2, s6
	flat_load_b128 v[6:9], v1, s[2:3]
	s_wait_loadcnt_dscnt 0x101
	v_cmp_eq_f64_e32 vcc_lo, 0, v[2:3]
	s_wait_xcnt 0x0
	v_cmp_eq_f64_e64 s2, 0, v[4:5]
	s_and_b32 s4, vcc_lo, s2
	s_mov_b32 s2, -1
	s_and_saveexec_b32 s3, s4
	s_cbranch_execz .LBB281_2
; %bb.1:
	s_wait_loadcnt_dscnt 0x0
	v_cmp_neq_f64_e32 vcc_lo, 1.0, v[6:7]
	v_cmp_neq_f64_e64 s2, 0, v[8:9]
	s_or_b32 s2, vcc_lo, s2
	s_delay_alu instid0(SALU_CYCLE_1)
	s_or_not1_b32 s2, s2, exec_lo
.LBB281_2:
	s_or_b32 exec_lo, exec_lo, s3
	s_and_saveexec_b32 s3, s2
	s_cbranch_execz .LBB281_25
; %bb.3:
	s_load_b64 s[2:3], s[0:1], 0x0
	s_bfe_u32 s4, ttmp6, 0x4000c
	s_and_b32 s5, ttmp6, 15
	s_add_co_i32 s4, s4, 1
	s_getreg_b32 s6, hwreg(HW_REG_IB_STS2, 6, 4)
	s_mul_i32 s4, ttmp9, s4
	v_lshrrev_b32_e32 v1, 5, v0
	s_add_co_i32 s5, s5, s4
	s_cmp_eq_u32 s6, 0
	s_cselect_b32 s4, ttmp9, s5
	s_delay_alu instid0(VALU_DEP_1) | instid1(SALU_CYCLE_1)
	v_lshl_or_b32 v10, s4, 2, v1
	s_wait_kmcnt 0x0
	s_delay_alu instid0(VALU_DEP_1)
	v_cmp_gt_i32_e32 vcc_lo, s2, v10
	s_and_b32 exec_lo, exec_lo, vcc_lo
	s_cbranch_execz .LBB281_25
; %bb.4:
	s_load_b256 s[4:11], s[0:1], 0x18
	v_ashrrev_i32_e32 v11, 31, v10
	s_cmp_lg_u32 s3, 0
	s_wait_kmcnt 0x0
	s_delay_alu instid0(VALU_DEP_1)
	v_lshl_add_u64 v[12:13], v[10:11], 2, s[4:5]
	v_and_b32_e32 v11, 31, v0
	global_load_b64 v[18:19], v[12:13], off
	s_wait_loadcnt 0x0
	v_subrev_nc_u32_e32 v0, s12, v18
	v_subrev_nc_u32_e32 v19, s12, v19
	s_delay_alu instid0(VALU_DEP_2) | instskip(NEXT) | instid1(VALU_DEP_1)
	v_add_nc_u32_e32 v20, v0, v11
	v_cmp_lt_i32_e64 s2, v20, v19
	s_cbranch_scc0 .LBB281_12
; %bb.5:
	v_mov_b64_e32 v[0:1], 0
	v_mov_b64_e32 v[14:15], 0
	;; [unrolled: 1-line block ×4, first 2 shown]
	s_and_saveexec_b32 s3, s2
	s_cbranch_execz .LBB281_11
; %bb.6:
	v_mul_u32_u24_e32 v0, 24, v11
	v_mul_lo_u32 v21, v20, 24
	s_mul_i32 s4, s12, 24
	v_mov_b64_e32 v[14:15], 0
	v_mov_b64_e32 v[16:17], 0
	v_mad_u32 v22, v18, 24, v0
	v_mov_b64_e32 v[0:1], 0
	v_mov_b64_e32 v[12:13], 0
	v_mov_b32_e32 v23, v20
	s_delay_alu instid0(VALU_DEP_4)
	v_subrev_nc_u32_e32 v22, s4, v22
	s_mov_b32 s4, 0
.LBB281_7:                              ; =>This Loop Header: Depth=1
                                        ;     Child Loop BB281_8 Depth 2
	global_load_b32 v24, v23, s[6:7] scale_offset
	s_mov_b32 s5, 0
	s_wait_loadcnt 0x0
	v_subrev_nc_u32_e32 v24, s12, v24
	s_delay_alu instid0(VALU_DEP_1)
	v_mul_lo_u32 v24, v24, 12
.LBB281_8:                              ;   Parent Loop BB281_7 Depth=1
                                        ; =>  This Inner Loop Header: Depth=2
	v_add_nc_u32_e32 v25, s5, v22
	s_clause 0x1
	global_load_b128 v[26:29], v24, s[10:11] offset:16 scale_offset
	global_load_b128 v[30:33], v24, s[10:11] scale_offset
	s_clause 0x3
	global_load_b128 v[34:37], v25, s[8:9] scale_offset
	global_load_b128 v[38:41], v25, s[8:9] offset:16 scale_offset
	global_load_b128 v[42:45], v25, s[8:9] offset:32 scale_offset
	;; [unrolled: 1-line block ×3, first 2 shown]
	s_wait_xcnt 0x0
	v_add3_u32 v25, v21, s5, 4
	s_add_co_i32 s5, s5, 8
	s_clause 0x1
	global_load_b128 v[50:53], v24, s[10:11] offset:48 scale_offset
	global_load_b128 v[54:57], v24, s[10:11] offset:32 scale_offset
	s_clause 0x3
	global_load_b128 v[58:61], v25, s[8:9] scale_offset
	global_load_b128 v[62:65], v25, s[8:9] offset:16 scale_offset
	global_load_b128 v[66:69], v25, s[8:9] offset:32 scale_offset
	;; [unrolled: 1-line block ×3, first 2 shown]
	s_wait_xcnt 0x4
	v_add_nc_u32_e32 v24, 4, v24
	s_cmp_eq_u32 s5, 24
	s_wait_loadcnt 0x9
	v_fmac_f64_e32 v[14:15], v[34:35], v[30:31]
	v_fmac_f64_e32 v[0:1], v[36:37], v[30:31]
	s_wait_loadcnt 0x8
	v_fmac_f64_e32 v[16:17], v[38:39], v[30:31]
	v_fmac_f64_e32 v[12:13], v[40:41], v[30:31]
	s_delay_alu instid0(VALU_DEP_4) | instskip(NEXT) | instid1(VALU_DEP_4)
	v_fma_f64 v[14:15], -v[36:37], v[32:33], v[14:15]
	v_fmac_f64_e32 v[0:1], v[34:35], v[32:33]
	s_delay_alu instid0(VALU_DEP_4) | instskip(NEXT) | instid1(VALU_DEP_4)
	v_fma_f64 v[16:17], -v[40:41], v[32:33], v[16:17]
	v_fmac_f64_e32 v[12:13], v[38:39], v[32:33]
	s_wait_loadcnt 0x7
	s_delay_alu instid0(VALU_DEP_4) | instskip(NEXT) | instid1(VALU_DEP_4)
	v_fmac_f64_e32 v[14:15], v[42:43], v[26:27]
	v_fmac_f64_e32 v[0:1], v[44:45], v[26:27]
	s_wait_loadcnt 0x6
	s_delay_alu instid0(VALU_DEP_4) | instskip(NEXT) | instid1(VALU_DEP_4)
	v_fmac_f64_e32 v[16:17], v[46:47], v[26:27]
	v_fmac_f64_e32 v[12:13], v[48:49], v[26:27]
	s_delay_alu instid0(VALU_DEP_4) | instskip(NEXT) | instid1(VALU_DEP_4)
	v_fma_f64 v[14:15], -v[44:45], v[28:29], v[14:15]
	v_fmac_f64_e32 v[0:1], v[42:43], v[28:29]
	s_delay_alu instid0(VALU_DEP_4) | instskip(NEXT) | instid1(VALU_DEP_4)
	v_fma_f64 v[16:17], -v[48:49], v[28:29], v[16:17]
	v_fmac_f64_e32 v[12:13], v[46:47], v[28:29]
	s_wait_loadcnt 0x3
	s_delay_alu instid0(VALU_DEP_4) | instskip(NEXT) | instid1(VALU_DEP_4)
	v_fmac_f64_e32 v[14:15], v[58:59], v[54:55]
	v_fmac_f64_e32 v[0:1], v[60:61], v[54:55]
	s_wait_loadcnt 0x2
	s_delay_alu instid0(VALU_DEP_4) | instskip(NEXT) | instid1(VALU_DEP_4)
	;; [unrolled: 14-line block ×3, first 2 shown]
	v_fmac_f64_e32 v[16:17], v[70:71], v[50:51]
	v_fmac_f64_e32 v[12:13], v[72:73], v[50:51]
	s_delay_alu instid0(VALU_DEP_4) | instskip(NEXT) | instid1(VALU_DEP_4)
	v_fma_f64 v[14:15], -v[68:69], v[52:53], v[14:15]
	v_fmac_f64_e32 v[0:1], v[66:67], v[52:53]
	s_delay_alu instid0(VALU_DEP_4) | instskip(NEXT) | instid1(VALU_DEP_4)
	v_fma_f64 v[16:17], -v[72:73], v[52:53], v[16:17]
	v_fmac_f64_e32 v[12:13], v[70:71], v[52:53]
	s_cbranch_scc0 .LBB281_8
; %bb.9:                                ;   in Loop: Header=BB281_7 Depth=1
	v_add_nc_u32_e32 v23, 32, v23
	v_add_nc_u32_e32 v21, 0x300, v21
	v_add_nc_u32_e32 v22, 0x300, v22
	s_delay_alu instid0(VALU_DEP_3) | instskip(SKIP_1) | instid1(SALU_CYCLE_1)
	v_cmp_ge_i32_e32 vcc_lo, v23, v19
	s_or_b32 s4, vcc_lo, s4
	s_and_not1_b32 exec_lo, exec_lo, s4
	s_cbranch_execnz .LBB281_7
; %bb.10:
	s_or_b32 exec_lo, exec_lo, s4
.LBB281_11:
	s_delay_alu instid0(SALU_CYCLE_1)
	s_or_b32 exec_lo, exec_lo, s3
	s_cbranch_execz .LBB281_13
	s_branch .LBB281_20
.LBB281_12:
                                        ; implicit-def: $vgpr0_vgpr1
                                        ; implicit-def: $vgpr14_vgpr15
                                        ; implicit-def: $vgpr16_vgpr17
                                        ; implicit-def: $vgpr12_vgpr13
.LBB281_13:
	v_mov_b64_e32 v[0:1], 0
	v_mov_b64_e32 v[14:15], 0
	;; [unrolled: 1-line block ×4, first 2 shown]
	s_and_saveexec_b32 s3, s2
	s_cbranch_execz .LBB281_19
; %bb.14:
	v_mul_u32_u24_e32 v0, 24, v11
	s_mul_i32 s2, s12, 24
	v_mov_b64_e32 v[14:15], 0
	v_mov_b64_e32 v[16:17], 0
	;; [unrolled: 1-line block ×3, first 2 shown]
	v_mad_u32 v21, v18, 24, v0
	v_mul_lo_u32 v18, v20, 24
	v_mov_b64_e32 v[0:1], 0
	s_delay_alu instid0(VALU_DEP_3)
	v_subrev_nc_u32_e32 v21, s2, v21
	s_mov_b32 s2, 0
.LBB281_15:                             ; =>This Loop Header: Depth=1
                                        ;     Child Loop BB281_16 Depth 2
	global_load_b32 v22, v20, s[6:7] scale_offset
	s_mov_b32 s4, 0
	s_wait_loadcnt 0x0
	v_subrev_nc_u32_e32 v22, s12, v22
	s_delay_alu instid0(VALU_DEP_1)
	v_mul_lo_u32 v22, v22, 12
.LBB281_16:                             ;   Parent Loop BB281_15 Depth=1
                                        ; =>  This Inner Loop Header: Depth=2
	s_delay_alu instid0(VALU_DEP_1)
	v_dual_add_nc_u32 v23, s4, v21 :: v_dual_add_nc_u32 v72, s4, v22
	v_add3_u32 v73, v18, s4, 12
	s_add_co_i32 s4, s4, 4
	global_load_b128 v[24:27], v23, s[8:9] scale_offset
	global_load_b128 v[28:31], v72, s[10:11] scale_offset
	s_clause 0x1
	global_load_b128 v[32:35], v73, s[8:9] scale_offset
	global_load_b128 v[36:39], v23, s[8:9] offset:16 scale_offset
	global_load_b128 v[40:43], v72, s[10:11] offset:16 scale_offset
	s_clause 0x1
	global_load_b128 v[44:47], v73, s[8:9] offset:16 scale_offset
	global_load_b128 v[48:51], v23, s[8:9] offset:32 scale_offset
	;; [unrolled: 1-line block ×3, first 2 shown]
	s_clause 0x1
	global_load_b128 v[56:59], v73, s[8:9] offset:32 scale_offset
	global_load_b128 v[60:63], v23, s[8:9] offset:48 scale_offset
	;; [unrolled: 1-line block ×4, first 2 shown]
	s_cmp_eq_u32 s4, 12
	s_wait_loadcnt 0xa
	v_fmac_f64_e32 v[14:15], v[24:25], v[28:29]
	v_fmac_f64_e32 v[0:1], v[26:27], v[28:29]
	s_wait_loadcnt 0x9
	v_fmac_f64_e32 v[16:17], v[32:33], v[28:29]
	v_fmac_f64_e32 v[12:13], v[34:35], v[28:29]
	s_delay_alu instid0(VALU_DEP_4) | instskip(NEXT) | instid1(VALU_DEP_4)
	v_fma_f64 v[14:15], -v[26:27], v[30:31], v[14:15]
	v_fmac_f64_e32 v[0:1], v[24:25], v[30:31]
	s_delay_alu instid0(VALU_DEP_4) | instskip(NEXT) | instid1(VALU_DEP_4)
	v_fma_f64 v[16:17], -v[34:35], v[30:31], v[16:17]
	v_fmac_f64_e32 v[12:13], v[32:33], v[30:31]
	s_wait_loadcnt 0x7
	s_delay_alu instid0(VALU_DEP_4) | instskip(NEXT) | instid1(VALU_DEP_4)
	v_fmac_f64_e32 v[14:15], v[36:37], v[40:41]
	v_fmac_f64_e32 v[0:1], v[38:39], v[40:41]
	s_wait_loadcnt 0x6
	s_delay_alu instid0(VALU_DEP_4) | instskip(NEXT) | instid1(VALU_DEP_4)
	v_fmac_f64_e32 v[16:17], v[44:45], v[40:41]
	v_fmac_f64_e32 v[12:13], v[46:47], v[40:41]
	s_delay_alu instid0(VALU_DEP_4) | instskip(NEXT) | instid1(VALU_DEP_4)
	v_fma_f64 v[14:15], -v[38:39], v[42:43], v[14:15]
	v_fmac_f64_e32 v[0:1], v[36:37], v[42:43]
	s_delay_alu instid0(VALU_DEP_4) | instskip(NEXT) | instid1(VALU_DEP_4)
	v_fma_f64 v[16:17], -v[46:47], v[42:43], v[16:17]
	v_fmac_f64_e32 v[12:13], v[44:45], v[42:43]
	s_wait_loadcnt 0x4
	s_delay_alu instid0(VALU_DEP_4) | instskip(NEXT) | instid1(VALU_DEP_4)
	v_fmac_f64_e32 v[14:15], v[48:49], v[52:53]
	v_fmac_f64_e32 v[0:1], v[50:51], v[52:53]
	s_wait_loadcnt 0x3
	s_delay_alu instid0(VALU_DEP_4) | instskip(NEXT) | instid1(VALU_DEP_4)
	;; [unrolled: 14-line block ×3, first 2 shown]
	v_fmac_f64_e32 v[16:17], v[68:69], v[64:65]
	v_fmac_f64_e32 v[12:13], v[70:71], v[64:65]
	s_delay_alu instid0(VALU_DEP_4) | instskip(NEXT) | instid1(VALU_DEP_4)
	v_fma_f64 v[14:15], -v[62:63], v[66:67], v[14:15]
	v_fmac_f64_e32 v[0:1], v[60:61], v[66:67]
	s_delay_alu instid0(VALU_DEP_4) | instskip(NEXT) | instid1(VALU_DEP_4)
	v_fma_f64 v[16:17], -v[70:71], v[66:67], v[16:17]
	v_fmac_f64_e32 v[12:13], v[68:69], v[66:67]
	s_cbranch_scc0 .LBB281_16
; %bb.17:                               ;   in Loop: Header=BB281_15 Depth=1
	v_add_nc_u32_e32 v20, 32, v20
	v_add_nc_u32_e32 v18, 0x300, v18
	;; [unrolled: 1-line block ×3, first 2 shown]
	s_delay_alu instid0(VALU_DEP_3) | instskip(SKIP_1) | instid1(SALU_CYCLE_1)
	v_cmp_ge_i32_e32 vcc_lo, v20, v19
	s_or_b32 s2, vcc_lo, s2
	s_and_not1_b32 exec_lo, exec_lo, s2
	s_cbranch_execnz .LBB281_15
; %bb.18:
	s_or_b32 exec_lo, exec_lo, s2
.LBB281_19:
	s_delay_alu instid0(SALU_CYCLE_1)
	s_or_b32 exec_lo, exec_lo, s3
.LBB281_20:
	v_mbcnt_lo_u32_b32 v28, -1, 0
	s_delay_alu instid0(VALU_DEP_1) | instskip(NEXT) | instid1(VALU_DEP_1)
	v_xor_b32_e32 v18, 16, v28
	v_cmp_gt_i32_e32 vcc_lo, 32, v18
	v_cndmask_b32_e32 v18, v28, v18, vcc_lo
	s_delay_alu instid0(VALU_DEP_1)
	v_lshlrev_b32_e32 v25, 2, v18
	ds_bpermute_b32 v20, v25, v0
	ds_bpermute_b32 v21, v25, v1
	s_wait_dscnt 0x0
	v_add_f64_e32 v[0:1], v[0:1], v[20:21]
	ds_bpermute_b32 v18, v25, v14
	ds_bpermute_b32 v19, v25, v15
	;; [unrolled: 1-line block ×6, first 2 shown]
	s_wait_dscnt 0x4
	v_dual_add_f64 v[14:15], v[14:15], v[18:19] :: v_dual_bitop2_b32 v18, 8, v28 bitop3:0x14
	s_wait_dscnt 0x2
	v_add_f64_e32 v[16:17], v[16:17], v[22:23]
	s_delay_alu instid0(VALU_DEP_2) | instskip(SKIP_2) | instid1(VALU_DEP_1)
	v_cmp_gt_i32_e32 vcc_lo, 32, v18
	v_cndmask_b32_e32 v18, v28, v18, vcc_lo
	s_wait_dscnt 0x0
	v_dual_add_f64 v[12:13], v[12:13], v[24:25] :: v_dual_lshlrev_b32 v25, 2, v18
	ds_bpermute_b32 v20, v25, v0
	ds_bpermute_b32 v21, v25, v1
	;; [unrolled: 1-line block ×8, first 2 shown]
	s_wait_dscnt 0x4
	v_dual_add_f64 v[14:15], v[14:15], v[18:19] :: v_dual_bitop2_b32 v18, 4, v28 bitop3:0x14
	s_wait_dscnt 0x2
	v_add_f64_e32 v[16:17], v[16:17], v[22:23]
	s_delay_alu instid0(VALU_DEP_2) | instskip(SKIP_3) | instid1(VALU_DEP_2)
	v_cmp_gt_i32_e32 vcc_lo, 32, v18
	v_cndmask_b32_e32 v18, v28, v18, vcc_lo
	v_add_f64_e32 v[0:1], v[0:1], v[20:21]
	s_wait_dscnt 0x0
	v_dual_add_f64 v[12:13], v[12:13], v[24:25] :: v_dual_lshlrev_b32 v25, 2, v18
	ds_bpermute_b32 v18, v25, v14
	ds_bpermute_b32 v19, v25, v15
	;; [unrolled: 1-line block ×8, first 2 shown]
	s_wait_dscnt 0x6
	v_add_f64_e32 v[14:15], v[14:15], v[18:19]
	s_wait_dscnt 0x2
	v_add_f64_e32 v[18:19], v[0:1], v[20:21]
	v_add_f64_e32 v[20:21], v[16:17], v[22:23]
	s_wait_dscnt 0x0
	v_add_f64_e32 v[22:23], v[12:13], v[24:25]
	v_xor_b32_e32 v0, 2, v28
	s_delay_alu instid0(VALU_DEP_1) | instskip(SKIP_1) | instid1(VALU_DEP_1)
	v_cmp_gt_i32_e32 vcc_lo, 32, v0
	v_cndmask_b32_e32 v0, v28, v0, vcc_lo
	v_lshlrev_b32_e32 v16, 2, v0
	ds_bpermute_b32 v0, v16, v14
	ds_bpermute_b32 v1, v16, v15
	;; [unrolled: 1-line block ×8, first 2 shown]
	s_wait_dscnt 0x4
	v_add_f64_e32 v[16:17], v[18:19], v[12:13]
	v_xor_b32_e32 v18, 1, v28
	s_wait_dscnt 0x2
	v_add_f64_e32 v[12:13], v[20:21], v[24:25]
	s_delay_alu instid0(VALU_DEP_2)
	v_cmp_gt_i32_e32 vcc_lo, 32, v18
	v_add_f64_e32 v[0:1], v[14:15], v[0:1]
	s_wait_dscnt 0x0
	v_add_f64_e32 v[14:15], v[22:23], v[26:27]
	v_cndmask_b32_e32 v18, v28, v18, vcc_lo
	v_cmp_eq_u32_e32 vcc_lo, 31, v11
	s_delay_alu instid0(VALU_DEP_2)
	v_lshlrev_b32_e32 v21, 2, v18
	ds_bpermute_b32 v22, v21, v16
	ds_bpermute_b32 v23, v21, v17
	;; [unrolled: 1-line block ×8, first 2 shown]
	s_and_b32 exec_lo, exec_lo, vcc_lo
	s_cbranch_execz .LBB281_25
; %bb.21:
	v_cmp_eq_f64_e32 vcc_lo, 0, v[6:7]
	v_cmp_eq_f64_e64 s2, 0, v[8:9]
	s_wait_dscnt 0x2
	v_add_f64_e32 v[0:1], v[0:1], v[24:25]
	v_add_f64_e32 v[16:17], v[16:17], v[22:23]
	;; [unrolled: 1-line block ×3, first 2 shown]
	s_wait_dscnt 0x0
	v_add_f64_e32 v[14:15], v[14:15], v[20:21]
	s_load_b64 s[0:1], s[0:1], 0x48
	s_and_b32 s2, vcc_lo, s2
	s_delay_alu instid0(SALU_CYCLE_1) | instskip(NEXT) | instid1(SALU_CYCLE_1)
	s_and_saveexec_b32 s3, s2
	s_xor_b32 s2, exec_lo, s3
	s_cbranch_execz .LBB281_23
; %bb.22:
	s_delay_alu instid0(VALU_DEP_3) | instskip(SKIP_1) | instid1(VALU_DEP_3)
	v_mul_f64_e64 v[6:7], v[16:17], -v[4:5]
	v_mul_f64_e32 v[8:9], v[2:3], v[16:17]
	v_mul_f64_e64 v[16:17], v[14:15], -v[4:5]
	v_mul_f64_e32 v[18:19], v[2:3], v[14:15]
                                        ; implicit-def: $vgpr14_vgpr15
	s_delay_alu instid0(VALU_DEP_4) | instskip(NEXT) | instid1(VALU_DEP_4)
	v_fmac_f64_e32 v[6:7], v[2:3], v[0:1]
	v_fmac_f64_e32 v[8:9], v[4:5], v[0:1]
	s_delay_alu instid0(VALU_DEP_4) | instskip(NEXT) | instid1(VALU_DEP_4)
	v_fmac_f64_e32 v[16:17], v[2:3], v[12:13]
	v_fmac_f64_e32 v[18:19], v[4:5], v[12:13]
	v_lshlrev_b32_e32 v0, 1, v10
                                        ; implicit-def: $vgpr10
                                        ; implicit-def: $vgpr12_vgpr13
                                        ; implicit-def: $vgpr4_vgpr5
	s_wait_kmcnt 0x0
	s_clause 0x1
	global_store_b128 v0, v[6:9], s[0:1] scale_offset
	global_store_b128 v0, v[16:19], s[0:1] offset:16 scale_offset
                                        ; implicit-def: $vgpr0_vgpr1
                                        ; implicit-def: $vgpr16_vgpr17
                                        ; implicit-def: $vgpr8_vgpr9
.LBB281_23:
	s_wait_xcnt 0x0
	s_and_not1_saveexec_b32 s2, s2
	s_cbranch_execz .LBB281_25
; %bb.24:
	s_delay_alu instid0(VALU_DEP_3) | instskip(SKIP_1) | instid1(VALU_DEP_3)
	v_dual_mul_f64 v[26:27], v[16:17], -v[4:5] :: v_dual_lshlrev_b32 v30, 1, v10
	v_mul_f64_e32 v[16:17], v[2:3], v[16:17]
	v_mul_f64_e64 v[28:29], v[14:15], -v[4:5]
	v_mul_f64_e32 v[10:11], v[2:3], v[14:15]
	s_wait_kmcnt 0x0
	s_clause 0x1
	global_load_b128 v[18:21], v30, s[0:1] scale_offset
	global_load_b128 v[22:25], v30, s[0:1] offset:16 scale_offset
	v_fmac_f64_e32 v[26:27], v[2:3], v[0:1]
	v_fmac_f64_e32 v[16:17], v[4:5], v[0:1]
	;; [unrolled: 1-line block ×4, first 2 shown]
	s_wait_loadcnt 0x1
	s_delay_alu instid0(VALU_DEP_4) | instskip(NEXT) | instid1(VALU_DEP_4)
	v_fmac_f64_e32 v[26:27], v[6:7], v[18:19]
	v_fmac_f64_e32 v[16:17], v[8:9], v[18:19]
	s_wait_loadcnt 0x0
	s_delay_alu instid0(VALU_DEP_4) | instskip(NEXT) | instid1(VALU_DEP_4)
	v_fmac_f64_e32 v[28:29], v[6:7], v[22:23]
	v_fmac_f64_e32 v[10:11], v[8:9], v[22:23]
	s_delay_alu instid0(VALU_DEP_4) | instskip(NEXT) | instid1(VALU_DEP_4)
	v_fma_f64 v[14:15], -v[8:9], v[20:21], v[26:27]
	v_fmac_f64_e32 v[16:17], v[6:7], v[20:21]
	s_delay_alu instid0(VALU_DEP_4) | instskip(NEXT) | instid1(VALU_DEP_4)
	v_fma_f64 v[8:9], -v[8:9], v[24:25], v[28:29]
	v_fmac_f64_e32 v[10:11], v[6:7], v[24:25]
	s_clause 0x1
	global_store_b128 v30, v[14:17], s[0:1] scale_offset
	global_store_b128 v30, v[8:11], s[0:1] offset:16 scale_offset
.LBB281_25:
	s_sendmsg sendmsg(MSG_DEALLOC_VGPRS)
	s_endpgm
	.section	.rodata,"a",@progbits
	.p2align	6, 0x0
	.amdhsa_kernel _ZN9rocsparseL19gebsrmvn_2xn_kernelILj128ELj12ELj32E21rocsparse_complex_numIdEEEvi20rocsparse_direction_NS_24const_host_device_scalarIT2_EEPKiS8_PKS5_SA_S6_PS5_21rocsparse_index_base_b
		.amdhsa_group_segment_fixed_size 0
		.amdhsa_private_segment_fixed_size 0
		.amdhsa_kernarg_size 88
		.amdhsa_user_sgpr_count 2
		.amdhsa_user_sgpr_dispatch_ptr 0
		.amdhsa_user_sgpr_queue_ptr 0
		.amdhsa_user_sgpr_kernarg_segment_ptr 1
		.amdhsa_user_sgpr_dispatch_id 0
		.amdhsa_user_sgpr_kernarg_preload_length 0
		.amdhsa_user_sgpr_kernarg_preload_offset 0
		.amdhsa_user_sgpr_private_segment_size 0
		.amdhsa_wavefront_size32 1
		.amdhsa_uses_dynamic_stack 0
		.amdhsa_enable_private_segment 0
		.amdhsa_system_sgpr_workgroup_id_x 1
		.amdhsa_system_sgpr_workgroup_id_y 0
		.amdhsa_system_sgpr_workgroup_id_z 0
		.amdhsa_system_sgpr_workgroup_info 0
		.amdhsa_system_vgpr_workitem_id 0
		.amdhsa_next_free_vgpr 74
		.amdhsa_next_free_sgpr 14
		.amdhsa_named_barrier_count 0
		.amdhsa_reserve_vcc 1
		.amdhsa_float_round_mode_32 0
		.amdhsa_float_round_mode_16_64 0
		.amdhsa_float_denorm_mode_32 3
		.amdhsa_float_denorm_mode_16_64 3
		.amdhsa_fp16_overflow 0
		.amdhsa_memory_ordered 1
		.amdhsa_forward_progress 1
		.amdhsa_inst_pref_size 20
		.amdhsa_round_robin_scheduling 0
		.amdhsa_exception_fp_ieee_invalid_op 0
		.amdhsa_exception_fp_denorm_src 0
		.amdhsa_exception_fp_ieee_div_zero 0
		.amdhsa_exception_fp_ieee_overflow 0
		.amdhsa_exception_fp_ieee_underflow 0
		.amdhsa_exception_fp_ieee_inexact 0
		.amdhsa_exception_int_div_zero 0
	.end_amdhsa_kernel
	.section	.text._ZN9rocsparseL19gebsrmvn_2xn_kernelILj128ELj12ELj32E21rocsparse_complex_numIdEEEvi20rocsparse_direction_NS_24const_host_device_scalarIT2_EEPKiS8_PKS5_SA_S6_PS5_21rocsparse_index_base_b,"axG",@progbits,_ZN9rocsparseL19gebsrmvn_2xn_kernelILj128ELj12ELj32E21rocsparse_complex_numIdEEEvi20rocsparse_direction_NS_24const_host_device_scalarIT2_EEPKiS8_PKS5_SA_S6_PS5_21rocsparse_index_base_b,comdat
.Lfunc_end281:
	.size	_ZN9rocsparseL19gebsrmvn_2xn_kernelILj128ELj12ELj32E21rocsparse_complex_numIdEEEvi20rocsparse_direction_NS_24const_host_device_scalarIT2_EEPKiS8_PKS5_SA_S6_PS5_21rocsparse_index_base_b, .Lfunc_end281-_ZN9rocsparseL19gebsrmvn_2xn_kernelILj128ELj12ELj32E21rocsparse_complex_numIdEEEvi20rocsparse_direction_NS_24const_host_device_scalarIT2_EEPKiS8_PKS5_SA_S6_PS5_21rocsparse_index_base_b
                                        ; -- End function
	.set _ZN9rocsparseL19gebsrmvn_2xn_kernelILj128ELj12ELj32E21rocsparse_complex_numIdEEEvi20rocsparse_direction_NS_24const_host_device_scalarIT2_EEPKiS8_PKS5_SA_S6_PS5_21rocsparse_index_base_b.num_vgpr, 74
	.set _ZN9rocsparseL19gebsrmvn_2xn_kernelILj128ELj12ELj32E21rocsparse_complex_numIdEEEvi20rocsparse_direction_NS_24const_host_device_scalarIT2_EEPKiS8_PKS5_SA_S6_PS5_21rocsparse_index_base_b.num_agpr, 0
	.set _ZN9rocsparseL19gebsrmvn_2xn_kernelILj128ELj12ELj32E21rocsparse_complex_numIdEEEvi20rocsparse_direction_NS_24const_host_device_scalarIT2_EEPKiS8_PKS5_SA_S6_PS5_21rocsparse_index_base_b.numbered_sgpr, 14
	.set _ZN9rocsparseL19gebsrmvn_2xn_kernelILj128ELj12ELj32E21rocsparse_complex_numIdEEEvi20rocsparse_direction_NS_24const_host_device_scalarIT2_EEPKiS8_PKS5_SA_S6_PS5_21rocsparse_index_base_b.num_named_barrier, 0
	.set _ZN9rocsparseL19gebsrmvn_2xn_kernelILj128ELj12ELj32E21rocsparse_complex_numIdEEEvi20rocsparse_direction_NS_24const_host_device_scalarIT2_EEPKiS8_PKS5_SA_S6_PS5_21rocsparse_index_base_b.private_seg_size, 0
	.set _ZN9rocsparseL19gebsrmvn_2xn_kernelILj128ELj12ELj32E21rocsparse_complex_numIdEEEvi20rocsparse_direction_NS_24const_host_device_scalarIT2_EEPKiS8_PKS5_SA_S6_PS5_21rocsparse_index_base_b.uses_vcc, 1
	.set _ZN9rocsparseL19gebsrmvn_2xn_kernelILj128ELj12ELj32E21rocsparse_complex_numIdEEEvi20rocsparse_direction_NS_24const_host_device_scalarIT2_EEPKiS8_PKS5_SA_S6_PS5_21rocsparse_index_base_b.uses_flat_scratch, 0
	.set _ZN9rocsparseL19gebsrmvn_2xn_kernelILj128ELj12ELj32E21rocsparse_complex_numIdEEEvi20rocsparse_direction_NS_24const_host_device_scalarIT2_EEPKiS8_PKS5_SA_S6_PS5_21rocsparse_index_base_b.has_dyn_sized_stack, 0
	.set _ZN9rocsparseL19gebsrmvn_2xn_kernelILj128ELj12ELj32E21rocsparse_complex_numIdEEEvi20rocsparse_direction_NS_24const_host_device_scalarIT2_EEPKiS8_PKS5_SA_S6_PS5_21rocsparse_index_base_b.has_recursion, 0
	.set _ZN9rocsparseL19gebsrmvn_2xn_kernelILj128ELj12ELj32E21rocsparse_complex_numIdEEEvi20rocsparse_direction_NS_24const_host_device_scalarIT2_EEPKiS8_PKS5_SA_S6_PS5_21rocsparse_index_base_b.has_indirect_call, 0
	.section	.AMDGPU.csdata,"",@progbits
; Kernel info:
; codeLenInByte = 2480
; TotalNumSgprs: 16
; NumVgprs: 74
; ScratchSize: 0
; MemoryBound: 1
; FloatMode: 240
; IeeeMode: 1
; LDSByteSize: 0 bytes/workgroup (compile time only)
; SGPRBlocks: 0
; VGPRBlocks: 4
; NumSGPRsForWavesPerEU: 16
; NumVGPRsForWavesPerEU: 74
; NamedBarCnt: 0
; Occupancy: 12
; WaveLimiterHint : 1
; COMPUTE_PGM_RSRC2:SCRATCH_EN: 0
; COMPUTE_PGM_RSRC2:USER_SGPR: 2
; COMPUTE_PGM_RSRC2:TRAP_HANDLER: 0
; COMPUTE_PGM_RSRC2:TGID_X_EN: 1
; COMPUTE_PGM_RSRC2:TGID_Y_EN: 0
; COMPUTE_PGM_RSRC2:TGID_Z_EN: 0
; COMPUTE_PGM_RSRC2:TIDIG_COMP_CNT: 0
	.section	.text._ZN9rocsparseL19gebsrmvn_2xn_kernelILj128ELj12ELj64E21rocsparse_complex_numIdEEEvi20rocsparse_direction_NS_24const_host_device_scalarIT2_EEPKiS8_PKS5_SA_S6_PS5_21rocsparse_index_base_b,"axG",@progbits,_ZN9rocsparseL19gebsrmvn_2xn_kernelILj128ELj12ELj64E21rocsparse_complex_numIdEEEvi20rocsparse_direction_NS_24const_host_device_scalarIT2_EEPKiS8_PKS5_SA_S6_PS5_21rocsparse_index_base_b,comdat
	.globl	_ZN9rocsparseL19gebsrmvn_2xn_kernelILj128ELj12ELj64E21rocsparse_complex_numIdEEEvi20rocsparse_direction_NS_24const_host_device_scalarIT2_EEPKiS8_PKS5_SA_S6_PS5_21rocsparse_index_base_b ; -- Begin function _ZN9rocsparseL19gebsrmvn_2xn_kernelILj128ELj12ELj64E21rocsparse_complex_numIdEEEvi20rocsparse_direction_NS_24const_host_device_scalarIT2_EEPKiS8_PKS5_SA_S6_PS5_21rocsparse_index_base_b
	.p2align	8
	.type	_ZN9rocsparseL19gebsrmvn_2xn_kernelILj128ELj12ELj64E21rocsparse_complex_numIdEEEvi20rocsparse_direction_NS_24const_host_device_scalarIT2_EEPKiS8_PKS5_SA_S6_PS5_21rocsparse_index_base_b,@function
_ZN9rocsparseL19gebsrmvn_2xn_kernelILj128ELj12ELj64E21rocsparse_complex_numIdEEEvi20rocsparse_direction_NS_24const_host_device_scalarIT2_EEPKiS8_PKS5_SA_S6_PS5_21rocsparse_index_base_b: ; @_ZN9rocsparseL19gebsrmvn_2xn_kernelILj128ELj12ELj64E21rocsparse_complex_numIdEEEvi20rocsparse_direction_NS_24const_host_device_scalarIT2_EEPKiS8_PKS5_SA_S6_PS5_21rocsparse_index_base_b
; %bb.0:
	s_clause 0x1
	s_load_b64 s[12:13], s[0:1], 0x50
	s_load_b64 s[2:3], s[0:1], 0x8
	v_mov_b32_e32 v1, 0
	s_add_nc_u64 s[4:5], s[0:1], 8
	s_load_b64 s[6:7], s[0:1], 0x38
	s_wait_kmcnt 0x0
	s_bitcmp1_b32 s13, 0
	s_cselect_b32 s3, s5, s3
	s_cselect_b32 s2, s4, s2
	flat_load_b128 v[2:5], v1, s[2:3]
	s_wait_xcnt 0x0
	s_add_nc_u64 s[2:3], s[0:1], 56
	s_delay_alu instid0(SALU_CYCLE_1)
	s_cselect_b32 s3, s3, s7
	s_cselect_b32 s2, s2, s6
	flat_load_b128 v[6:9], v1, s[2:3]
	s_wait_loadcnt_dscnt 0x101
	v_cmp_eq_f64_e32 vcc_lo, 0, v[2:3]
	s_wait_xcnt 0x0
	v_cmp_eq_f64_e64 s2, 0, v[4:5]
	s_and_b32 s4, vcc_lo, s2
	s_mov_b32 s2, -1
	s_and_saveexec_b32 s3, s4
	s_cbranch_execz .LBB282_2
; %bb.1:
	s_wait_loadcnt_dscnt 0x0
	v_cmp_neq_f64_e32 vcc_lo, 1.0, v[6:7]
	v_cmp_neq_f64_e64 s2, 0, v[8:9]
	s_or_b32 s2, vcc_lo, s2
	s_delay_alu instid0(SALU_CYCLE_1)
	s_or_not1_b32 s2, s2, exec_lo
.LBB282_2:
	s_or_b32 exec_lo, exec_lo, s3
	s_and_saveexec_b32 s3, s2
	s_cbranch_execz .LBB282_25
; %bb.3:
	s_load_b64 s[2:3], s[0:1], 0x0
	s_bfe_u32 s4, ttmp6, 0x4000c
	s_and_b32 s5, ttmp6, 15
	s_add_co_i32 s4, s4, 1
	s_getreg_b32 s6, hwreg(HW_REG_IB_STS2, 6, 4)
	s_mul_i32 s4, ttmp9, s4
	v_lshrrev_b32_e32 v1, 6, v0
	s_add_co_i32 s5, s5, s4
	s_cmp_eq_u32 s6, 0
	s_cselect_b32 s4, ttmp9, s5
	s_delay_alu instid0(VALU_DEP_1) | instid1(SALU_CYCLE_1)
	v_lshl_or_b32 v10, s4, 1, v1
	s_wait_kmcnt 0x0
	s_delay_alu instid0(VALU_DEP_1)
	v_cmp_gt_i32_e32 vcc_lo, s2, v10
	s_and_b32 exec_lo, exec_lo, vcc_lo
	s_cbranch_execz .LBB282_25
; %bb.4:
	s_load_b256 s[4:11], s[0:1], 0x18
	v_ashrrev_i32_e32 v11, 31, v10
	s_cmp_lg_u32 s3, 0
	s_wait_kmcnt 0x0
	s_delay_alu instid0(VALU_DEP_1)
	v_lshl_add_u64 v[12:13], v[10:11], 2, s[4:5]
	v_and_b32_e32 v11, 63, v0
	global_load_b64 v[18:19], v[12:13], off
	s_wait_loadcnt 0x0
	v_subrev_nc_u32_e32 v0, s12, v18
	v_subrev_nc_u32_e32 v19, s12, v19
	s_delay_alu instid0(VALU_DEP_2) | instskip(NEXT) | instid1(VALU_DEP_1)
	v_add_nc_u32_e32 v20, v0, v11
	v_cmp_lt_i32_e64 s2, v20, v19
	s_cbranch_scc0 .LBB282_12
; %bb.5:
	v_mov_b64_e32 v[0:1], 0
	v_mov_b64_e32 v[14:15], 0
	;; [unrolled: 1-line block ×4, first 2 shown]
	s_and_saveexec_b32 s3, s2
	s_cbranch_execz .LBB282_11
; %bb.6:
	v_mul_u32_u24_e32 v0, 24, v11
	v_mul_lo_u32 v21, v20, 24
	s_mul_i32 s4, s12, 24
	v_mov_b64_e32 v[14:15], 0
	v_mov_b64_e32 v[16:17], 0
	v_mad_u32 v22, v18, 24, v0
	v_mov_b64_e32 v[0:1], 0
	v_mov_b64_e32 v[12:13], 0
	v_mov_b32_e32 v23, v20
	s_delay_alu instid0(VALU_DEP_4)
	v_subrev_nc_u32_e32 v22, s4, v22
	s_mov_b32 s4, 0
.LBB282_7:                              ; =>This Loop Header: Depth=1
                                        ;     Child Loop BB282_8 Depth 2
	global_load_b32 v24, v23, s[6:7] scale_offset
	s_mov_b32 s5, 0
	s_wait_loadcnt 0x0
	v_subrev_nc_u32_e32 v24, s12, v24
	s_delay_alu instid0(VALU_DEP_1)
	v_mul_lo_u32 v24, v24, 12
.LBB282_8:                              ;   Parent Loop BB282_7 Depth=1
                                        ; =>  This Inner Loop Header: Depth=2
	v_add_nc_u32_e32 v25, s5, v22
	s_clause 0x1
	global_load_b128 v[26:29], v24, s[10:11] offset:16 scale_offset
	global_load_b128 v[30:33], v24, s[10:11] scale_offset
	s_clause 0x3
	global_load_b128 v[34:37], v25, s[8:9] scale_offset
	global_load_b128 v[38:41], v25, s[8:9] offset:16 scale_offset
	global_load_b128 v[42:45], v25, s[8:9] offset:32 scale_offset
	global_load_b128 v[46:49], v25, s[8:9] offset:48 scale_offset
	s_wait_xcnt 0x0
	v_add3_u32 v25, v21, s5, 4
	s_add_co_i32 s5, s5, 8
	s_clause 0x1
	global_load_b128 v[50:53], v24, s[10:11] offset:48 scale_offset
	global_load_b128 v[54:57], v24, s[10:11] offset:32 scale_offset
	s_clause 0x3
	global_load_b128 v[58:61], v25, s[8:9] scale_offset
	global_load_b128 v[62:65], v25, s[8:9] offset:16 scale_offset
	global_load_b128 v[66:69], v25, s[8:9] offset:32 scale_offset
	;; [unrolled: 1-line block ×3, first 2 shown]
	s_wait_xcnt 0x4
	v_add_nc_u32_e32 v24, 4, v24
	s_cmp_eq_u32 s5, 24
	s_wait_loadcnt 0x9
	v_fmac_f64_e32 v[14:15], v[34:35], v[30:31]
	v_fmac_f64_e32 v[0:1], v[36:37], v[30:31]
	s_wait_loadcnt 0x8
	v_fmac_f64_e32 v[16:17], v[38:39], v[30:31]
	v_fmac_f64_e32 v[12:13], v[40:41], v[30:31]
	s_delay_alu instid0(VALU_DEP_4) | instskip(NEXT) | instid1(VALU_DEP_4)
	v_fma_f64 v[14:15], -v[36:37], v[32:33], v[14:15]
	v_fmac_f64_e32 v[0:1], v[34:35], v[32:33]
	s_delay_alu instid0(VALU_DEP_4) | instskip(NEXT) | instid1(VALU_DEP_4)
	v_fma_f64 v[16:17], -v[40:41], v[32:33], v[16:17]
	v_fmac_f64_e32 v[12:13], v[38:39], v[32:33]
	s_wait_loadcnt 0x7
	s_delay_alu instid0(VALU_DEP_4) | instskip(NEXT) | instid1(VALU_DEP_4)
	v_fmac_f64_e32 v[14:15], v[42:43], v[26:27]
	v_fmac_f64_e32 v[0:1], v[44:45], v[26:27]
	s_wait_loadcnt 0x6
	s_delay_alu instid0(VALU_DEP_4) | instskip(NEXT) | instid1(VALU_DEP_4)
	v_fmac_f64_e32 v[16:17], v[46:47], v[26:27]
	v_fmac_f64_e32 v[12:13], v[48:49], v[26:27]
	s_delay_alu instid0(VALU_DEP_4) | instskip(NEXT) | instid1(VALU_DEP_4)
	v_fma_f64 v[14:15], -v[44:45], v[28:29], v[14:15]
	v_fmac_f64_e32 v[0:1], v[42:43], v[28:29]
	s_delay_alu instid0(VALU_DEP_4) | instskip(NEXT) | instid1(VALU_DEP_4)
	v_fma_f64 v[16:17], -v[48:49], v[28:29], v[16:17]
	v_fmac_f64_e32 v[12:13], v[46:47], v[28:29]
	s_wait_loadcnt 0x3
	s_delay_alu instid0(VALU_DEP_4) | instskip(NEXT) | instid1(VALU_DEP_4)
	v_fmac_f64_e32 v[14:15], v[58:59], v[54:55]
	v_fmac_f64_e32 v[0:1], v[60:61], v[54:55]
	s_wait_loadcnt 0x2
	s_delay_alu instid0(VALU_DEP_4) | instskip(NEXT) | instid1(VALU_DEP_4)
	;; [unrolled: 14-line block ×3, first 2 shown]
	v_fmac_f64_e32 v[16:17], v[70:71], v[50:51]
	v_fmac_f64_e32 v[12:13], v[72:73], v[50:51]
	s_delay_alu instid0(VALU_DEP_4) | instskip(NEXT) | instid1(VALU_DEP_4)
	v_fma_f64 v[14:15], -v[68:69], v[52:53], v[14:15]
	v_fmac_f64_e32 v[0:1], v[66:67], v[52:53]
	s_delay_alu instid0(VALU_DEP_4) | instskip(NEXT) | instid1(VALU_DEP_4)
	v_fma_f64 v[16:17], -v[72:73], v[52:53], v[16:17]
	v_fmac_f64_e32 v[12:13], v[70:71], v[52:53]
	s_cbranch_scc0 .LBB282_8
; %bb.9:                                ;   in Loop: Header=BB282_7 Depth=1
	v_add_nc_u32_e32 v23, 64, v23
	v_add_nc_u32_e32 v21, 0x600, v21
	;; [unrolled: 1-line block ×3, first 2 shown]
	s_delay_alu instid0(VALU_DEP_3) | instskip(SKIP_1) | instid1(SALU_CYCLE_1)
	v_cmp_ge_i32_e32 vcc_lo, v23, v19
	s_or_b32 s4, vcc_lo, s4
	s_and_not1_b32 exec_lo, exec_lo, s4
	s_cbranch_execnz .LBB282_7
; %bb.10:
	s_or_b32 exec_lo, exec_lo, s4
.LBB282_11:
	s_delay_alu instid0(SALU_CYCLE_1)
	s_or_b32 exec_lo, exec_lo, s3
	s_cbranch_execz .LBB282_13
	s_branch .LBB282_20
.LBB282_12:
                                        ; implicit-def: $vgpr0_vgpr1
                                        ; implicit-def: $vgpr14_vgpr15
                                        ; implicit-def: $vgpr16_vgpr17
                                        ; implicit-def: $vgpr12_vgpr13
.LBB282_13:
	v_mov_b64_e32 v[0:1], 0
	v_mov_b64_e32 v[14:15], 0
	;; [unrolled: 1-line block ×4, first 2 shown]
	s_and_saveexec_b32 s3, s2
	s_cbranch_execz .LBB282_19
; %bb.14:
	v_mul_u32_u24_e32 v0, 24, v11
	s_mul_i32 s2, s12, 24
	v_mov_b64_e32 v[14:15], 0
	v_mov_b64_e32 v[16:17], 0
	;; [unrolled: 1-line block ×3, first 2 shown]
	v_mad_u32 v21, v18, 24, v0
	v_mul_lo_u32 v18, v20, 24
	v_mov_b64_e32 v[0:1], 0
	s_delay_alu instid0(VALU_DEP_3)
	v_subrev_nc_u32_e32 v21, s2, v21
	s_mov_b32 s2, 0
.LBB282_15:                             ; =>This Loop Header: Depth=1
                                        ;     Child Loop BB282_16 Depth 2
	global_load_b32 v22, v20, s[6:7] scale_offset
	s_mov_b32 s4, 0
	s_wait_loadcnt 0x0
	v_subrev_nc_u32_e32 v22, s12, v22
	s_delay_alu instid0(VALU_DEP_1)
	v_mul_lo_u32 v22, v22, 12
.LBB282_16:                             ;   Parent Loop BB282_15 Depth=1
                                        ; =>  This Inner Loop Header: Depth=2
	s_delay_alu instid0(VALU_DEP_1)
	v_dual_add_nc_u32 v23, s4, v21 :: v_dual_add_nc_u32 v72, s4, v22
	v_add3_u32 v73, v18, s4, 12
	s_add_co_i32 s4, s4, 4
	global_load_b128 v[24:27], v23, s[8:9] scale_offset
	global_load_b128 v[28:31], v72, s[10:11] scale_offset
	s_clause 0x1
	global_load_b128 v[32:35], v73, s[8:9] scale_offset
	global_load_b128 v[36:39], v23, s[8:9] offset:16 scale_offset
	global_load_b128 v[40:43], v72, s[10:11] offset:16 scale_offset
	s_clause 0x1
	global_load_b128 v[44:47], v73, s[8:9] offset:16 scale_offset
	global_load_b128 v[48:51], v23, s[8:9] offset:32 scale_offset
	global_load_b128 v[52:55], v72, s[10:11] offset:32 scale_offset
	s_clause 0x1
	global_load_b128 v[56:59], v73, s[8:9] offset:32 scale_offset
	global_load_b128 v[60:63], v23, s[8:9] offset:48 scale_offset
	global_load_b128 v[64:67], v72, s[10:11] offset:48 scale_offset
	global_load_b128 v[68:71], v73, s[8:9] offset:48 scale_offset
	s_cmp_eq_u32 s4, 12
	s_wait_loadcnt 0xa
	v_fmac_f64_e32 v[14:15], v[24:25], v[28:29]
	v_fmac_f64_e32 v[0:1], v[26:27], v[28:29]
	s_wait_loadcnt 0x9
	v_fmac_f64_e32 v[16:17], v[32:33], v[28:29]
	v_fmac_f64_e32 v[12:13], v[34:35], v[28:29]
	s_delay_alu instid0(VALU_DEP_4) | instskip(NEXT) | instid1(VALU_DEP_4)
	v_fma_f64 v[14:15], -v[26:27], v[30:31], v[14:15]
	v_fmac_f64_e32 v[0:1], v[24:25], v[30:31]
	s_delay_alu instid0(VALU_DEP_4) | instskip(NEXT) | instid1(VALU_DEP_4)
	v_fma_f64 v[16:17], -v[34:35], v[30:31], v[16:17]
	v_fmac_f64_e32 v[12:13], v[32:33], v[30:31]
	s_wait_loadcnt 0x7
	s_delay_alu instid0(VALU_DEP_4) | instskip(NEXT) | instid1(VALU_DEP_4)
	v_fmac_f64_e32 v[14:15], v[36:37], v[40:41]
	v_fmac_f64_e32 v[0:1], v[38:39], v[40:41]
	s_wait_loadcnt 0x6
	s_delay_alu instid0(VALU_DEP_4) | instskip(NEXT) | instid1(VALU_DEP_4)
	v_fmac_f64_e32 v[16:17], v[44:45], v[40:41]
	v_fmac_f64_e32 v[12:13], v[46:47], v[40:41]
	s_delay_alu instid0(VALU_DEP_4) | instskip(NEXT) | instid1(VALU_DEP_4)
	v_fma_f64 v[14:15], -v[38:39], v[42:43], v[14:15]
	v_fmac_f64_e32 v[0:1], v[36:37], v[42:43]
	s_delay_alu instid0(VALU_DEP_4) | instskip(NEXT) | instid1(VALU_DEP_4)
	v_fma_f64 v[16:17], -v[46:47], v[42:43], v[16:17]
	v_fmac_f64_e32 v[12:13], v[44:45], v[42:43]
	s_wait_loadcnt 0x4
	s_delay_alu instid0(VALU_DEP_4) | instskip(NEXT) | instid1(VALU_DEP_4)
	v_fmac_f64_e32 v[14:15], v[48:49], v[52:53]
	v_fmac_f64_e32 v[0:1], v[50:51], v[52:53]
	s_wait_loadcnt 0x3
	s_delay_alu instid0(VALU_DEP_4) | instskip(NEXT) | instid1(VALU_DEP_4)
	;; [unrolled: 14-line block ×3, first 2 shown]
	v_fmac_f64_e32 v[16:17], v[68:69], v[64:65]
	v_fmac_f64_e32 v[12:13], v[70:71], v[64:65]
	s_delay_alu instid0(VALU_DEP_4) | instskip(NEXT) | instid1(VALU_DEP_4)
	v_fma_f64 v[14:15], -v[62:63], v[66:67], v[14:15]
	v_fmac_f64_e32 v[0:1], v[60:61], v[66:67]
	s_delay_alu instid0(VALU_DEP_4) | instskip(NEXT) | instid1(VALU_DEP_4)
	v_fma_f64 v[16:17], -v[70:71], v[66:67], v[16:17]
	v_fmac_f64_e32 v[12:13], v[68:69], v[66:67]
	s_cbranch_scc0 .LBB282_16
; %bb.17:                               ;   in Loop: Header=BB282_15 Depth=1
	v_add_nc_u32_e32 v20, 64, v20
	v_add_nc_u32_e32 v18, 0x600, v18
	;; [unrolled: 1-line block ×3, first 2 shown]
	s_delay_alu instid0(VALU_DEP_3) | instskip(SKIP_1) | instid1(SALU_CYCLE_1)
	v_cmp_ge_i32_e32 vcc_lo, v20, v19
	s_or_b32 s2, vcc_lo, s2
	s_and_not1_b32 exec_lo, exec_lo, s2
	s_cbranch_execnz .LBB282_15
; %bb.18:
	s_or_b32 exec_lo, exec_lo, s2
.LBB282_19:
	s_delay_alu instid0(SALU_CYCLE_1)
	s_or_b32 exec_lo, exec_lo, s3
.LBB282_20:
	v_mbcnt_lo_u32_b32 v28, -1, 0
	s_delay_alu instid0(VALU_DEP_1) | instskip(NEXT) | instid1(VALU_DEP_1)
	v_or_b32_e32 v18, 32, v28
	v_cmp_gt_i32_e32 vcc_lo, 32, v18
	v_cndmask_b32_e32 v18, v28, v18, vcc_lo
	s_delay_alu instid0(VALU_DEP_1)
	v_lshlrev_b32_e32 v25, 2, v18
	ds_bpermute_b32 v20, v25, v0
	ds_bpermute_b32 v21, v25, v1
	s_wait_dscnt 0x0
	v_add_f64_e32 v[0:1], v[0:1], v[20:21]
	ds_bpermute_b32 v18, v25, v14
	ds_bpermute_b32 v19, v25, v15
	;; [unrolled: 1-line block ×6, first 2 shown]
	s_wait_dscnt 0x4
	v_dual_add_f64 v[14:15], v[14:15], v[18:19] :: v_dual_bitop2_b32 v18, 16, v28 bitop3:0x14
	s_wait_dscnt 0x2
	v_add_f64_e32 v[16:17], v[16:17], v[22:23]
	s_delay_alu instid0(VALU_DEP_2) | instskip(SKIP_2) | instid1(VALU_DEP_1)
	v_cmp_gt_i32_e32 vcc_lo, 32, v18
	v_cndmask_b32_e32 v18, v28, v18, vcc_lo
	s_wait_dscnt 0x0
	v_dual_add_f64 v[12:13], v[12:13], v[24:25] :: v_dual_lshlrev_b32 v25, 2, v18
	ds_bpermute_b32 v20, v25, v0
	ds_bpermute_b32 v21, v25, v1
	;; [unrolled: 1-line block ×8, first 2 shown]
	s_wait_dscnt 0x4
	v_dual_add_f64 v[14:15], v[14:15], v[18:19] :: v_dual_bitop2_b32 v18, 8, v28 bitop3:0x14
	s_wait_dscnt 0x2
	v_add_f64_e32 v[16:17], v[16:17], v[22:23]
	s_delay_alu instid0(VALU_DEP_2) | instskip(SKIP_3) | instid1(VALU_DEP_2)
	v_cmp_gt_i32_e32 vcc_lo, 32, v18
	v_cndmask_b32_e32 v18, v28, v18, vcc_lo
	v_add_f64_e32 v[0:1], v[0:1], v[20:21]
	s_wait_dscnt 0x0
	v_dual_add_f64 v[12:13], v[12:13], v[24:25] :: v_dual_lshlrev_b32 v25, 2, v18
	ds_bpermute_b32 v18, v25, v14
	ds_bpermute_b32 v19, v25, v15
	ds_bpermute_b32 v20, v25, v0
	ds_bpermute_b32 v21, v25, v1
	ds_bpermute_b32 v24, v25, v12
	s_wait_dscnt 0x3
	v_dual_add_f64 v[14:15], v[14:15], v[18:19] :: v_dual_bitop2_b32 v18, 4, v28 bitop3:0x14
	ds_bpermute_b32 v22, v25, v16
	ds_bpermute_b32 v23, v25, v17
	ds_bpermute_b32 v25, v25, v13
	v_cmp_gt_i32_e32 vcc_lo, 32, v18
	v_cndmask_b32_e32 v18, v28, v18, vcc_lo
	s_wait_dscnt 0x4
	v_add_f64_e32 v[0:1], v[0:1], v[20:21]
	s_wait_dscnt 0x1
	v_add_f64_e32 v[16:17], v[16:17], v[22:23]
	s_wait_dscnt 0x0
	v_dual_add_f64 v[12:13], v[12:13], v[24:25] :: v_dual_lshlrev_b32 v25, 2, v18
	ds_bpermute_b32 v18, v25, v14
	ds_bpermute_b32 v19, v25, v15
	;; [unrolled: 1-line block ×4, first 2 shown]
	s_wait_dscnt 0x2
	v_add_f64_e32 v[14:15], v[14:15], v[18:19]
	ds_bpermute_b32 v22, v25, v16
	ds_bpermute_b32 v23, v25, v17
	ds_bpermute_b32 v24, v25, v12
	ds_bpermute_b32 v25, v25, v13
	s_wait_dscnt 0x4
	v_add_f64_e32 v[18:19], v[0:1], v[20:21]
	v_xor_b32_e32 v0, 2, v28
	s_delay_alu instid0(VALU_DEP_1)
	v_cmp_gt_i32_e32 vcc_lo, 32, v0
	s_wait_dscnt 0x2
	v_add_f64_e32 v[20:21], v[16:17], v[22:23]
	v_cndmask_b32_e32 v0, v28, v0, vcc_lo
	s_wait_dscnt 0x0
	v_add_f64_e32 v[22:23], v[12:13], v[24:25]
	s_delay_alu instid0(VALU_DEP_2)
	v_lshlrev_b32_e32 v16, 2, v0
	ds_bpermute_b32 v0, v16, v14
	ds_bpermute_b32 v1, v16, v15
	;; [unrolled: 1-line block ×8, first 2 shown]
	s_wait_dscnt 0x6
	v_add_f64_e32 v[0:1], v[14:15], v[0:1]
	s_wait_dscnt 0x4
	v_add_f64_e32 v[16:17], v[18:19], v[12:13]
	v_xor_b32_e32 v18, 1, v28
	s_delay_alu instid0(VALU_DEP_1)
	v_cmp_gt_i32_e32 vcc_lo, 32, v18
	s_wait_dscnt 0x2
	v_add_f64_e32 v[12:13], v[20:21], v[24:25]
	v_cndmask_b32_e32 v18, v28, v18, vcc_lo
	s_wait_dscnt 0x0
	v_add_f64_e32 v[14:15], v[22:23], v[26:27]
	v_cmp_eq_u32_e32 vcc_lo, 63, v11
	s_delay_alu instid0(VALU_DEP_3)
	v_lshlrev_b32_e32 v21, 2, v18
	ds_bpermute_b32 v24, v21, v0
	ds_bpermute_b32 v25, v21, v1
	;; [unrolled: 1-line block ×8, first 2 shown]
	s_and_b32 exec_lo, exec_lo, vcc_lo
	s_cbranch_execz .LBB282_25
; %bb.21:
	v_cmp_eq_f64_e32 vcc_lo, 0, v[6:7]
	v_cmp_eq_f64_e64 s2, 0, v[8:9]
	s_wait_dscnt 0x6
	v_add_f64_e32 v[0:1], v[0:1], v[24:25]
	s_wait_dscnt 0x4
	v_add_f64_e32 v[16:17], v[16:17], v[22:23]
	;; [unrolled: 2-line block ×4, first 2 shown]
	s_load_b64 s[0:1], s[0:1], 0x48
	s_and_b32 s2, vcc_lo, s2
	s_delay_alu instid0(SALU_CYCLE_1) | instskip(NEXT) | instid1(SALU_CYCLE_1)
	s_and_saveexec_b32 s3, s2
	s_xor_b32 s2, exec_lo, s3
	s_cbranch_execz .LBB282_23
; %bb.22:
	s_delay_alu instid0(VALU_DEP_3) | instskip(SKIP_1) | instid1(VALU_DEP_3)
	v_mul_f64_e64 v[6:7], v[16:17], -v[4:5]
	v_mul_f64_e32 v[8:9], v[2:3], v[16:17]
	v_mul_f64_e64 v[16:17], v[14:15], -v[4:5]
	v_mul_f64_e32 v[18:19], v[2:3], v[14:15]
                                        ; implicit-def: $vgpr14_vgpr15
	s_delay_alu instid0(VALU_DEP_4) | instskip(NEXT) | instid1(VALU_DEP_4)
	v_fmac_f64_e32 v[6:7], v[2:3], v[0:1]
	v_fmac_f64_e32 v[8:9], v[4:5], v[0:1]
	s_delay_alu instid0(VALU_DEP_4) | instskip(NEXT) | instid1(VALU_DEP_4)
	v_fmac_f64_e32 v[16:17], v[2:3], v[12:13]
	v_fmac_f64_e32 v[18:19], v[4:5], v[12:13]
	v_lshlrev_b32_e32 v0, 1, v10
                                        ; implicit-def: $vgpr10
                                        ; implicit-def: $vgpr12_vgpr13
                                        ; implicit-def: $vgpr4_vgpr5
	s_wait_kmcnt 0x0
	s_clause 0x1
	global_store_b128 v0, v[6:9], s[0:1] scale_offset
	global_store_b128 v0, v[16:19], s[0:1] offset:16 scale_offset
                                        ; implicit-def: $vgpr0_vgpr1
                                        ; implicit-def: $vgpr16_vgpr17
                                        ; implicit-def: $vgpr8_vgpr9
.LBB282_23:
	s_wait_xcnt 0x0
	s_and_not1_saveexec_b32 s2, s2
	s_cbranch_execz .LBB282_25
; %bb.24:
	s_delay_alu instid0(VALU_DEP_3) | instskip(SKIP_1) | instid1(VALU_DEP_3)
	v_dual_mul_f64 v[26:27], v[16:17], -v[4:5] :: v_dual_lshlrev_b32 v30, 1, v10
	v_mul_f64_e32 v[16:17], v[2:3], v[16:17]
	v_mul_f64_e64 v[28:29], v[14:15], -v[4:5]
	v_mul_f64_e32 v[10:11], v[2:3], v[14:15]
	s_wait_kmcnt 0x0
	s_clause 0x1
	global_load_b128 v[18:21], v30, s[0:1] scale_offset
	global_load_b128 v[22:25], v30, s[0:1] offset:16 scale_offset
	v_fmac_f64_e32 v[26:27], v[2:3], v[0:1]
	v_fmac_f64_e32 v[16:17], v[4:5], v[0:1]
	;; [unrolled: 1-line block ×4, first 2 shown]
	s_wait_loadcnt 0x1
	s_delay_alu instid0(VALU_DEP_4) | instskip(NEXT) | instid1(VALU_DEP_4)
	v_fmac_f64_e32 v[26:27], v[6:7], v[18:19]
	v_fmac_f64_e32 v[16:17], v[8:9], v[18:19]
	s_wait_loadcnt 0x0
	s_delay_alu instid0(VALU_DEP_4) | instskip(NEXT) | instid1(VALU_DEP_4)
	v_fmac_f64_e32 v[28:29], v[6:7], v[22:23]
	v_fmac_f64_e32 v[10:11], v[8:9], v[22:23]
	s_delay_alu instid0(VALU_DEP_4) | instskip(NEXT) | instid1(VALU_DEP_4)
	v_fma_f64 v[14:15], -v[8:9], v[20:21], v[26:27]
	v_fmac_f64_e32 v[16:17], v[6:7], v[20:21]
	s_delay_alu instid0(VALU_DEP_4) | instskip(NEXT) | instid1(VALU_DEP_4)
	v_fma_f64 v[8:9], -v[8:9], v[24:25], v[28:29]
	v_fmac_f64_e32 v[10:11], v[6:7], v[24:25]
	s_clause 0x1
	global_store_b128 v30, v[14:17], s[0:1] scale_offset
	global_store_b128 v30, v[8:11], s[0:1] offset:16 scale_offset
.LBB282_25:
	s_sendmsg sendmsg(MSG_DEALLOC_VGPRS)
	s_endpgm
	.section	.rodata,"a",@progbits
	.p2align	6, 0x0
	.amdhsa_kernel _ZN9rocsparseL19gebsrmvn_2xn_kernelILj128ELj12ELj64E21rocsparse_complex_numIdEEEvi20rocsparse_direction_NS_24const_host_device_scalarIT2_EEPKiS8_PKS5_SA_S6_PS5_21rocsparse_index_base_b
		.amdhsa_group_segment_fixed_size 0
		.amdhsa_private_segment_fixed_size 0
		.amdhsa_kernarg_size 88
		.amdhsa_user_sgpr_count 2
		.amdhsa_user_sgpr_dispatch_ptr 0
		.amdhsa_user_sgpr_queue_ptr 0
		.amdhsa_user_sgpr_kernarg_segment_ptr 1
		.amdhsa_user_sgpr_dispatch_id 0
		.amdhsa_user_sgpr_kernarg_preload_length 0
		.amdhsa_user_sgpr_kernarg_preload_offset 0
		.amdhsa_user_sgpr_private_segment_size 0
		.amdhsa_wavefront_size32 1
		.amdhsa_uses_dynamic_stack 0
		.amdhsa_enable_private_segment 0
		.amdhsa_system_sgpr_workgroup_id_x 1
		.amdhsa_system_sgpr_workgroup_id_y 0
		.amdhsa_system_sgpr_workgroup_id_z 0
		.amdhsa_system_sgpr_workgroup_info 0
		.amdhsa_system_vgpr_workitem_id 0
		.amdhsa_next_free_vgpr 74
		.amdhsa_next_free_sgpr 14
		.amdhsa_named_barrier_count 0
		.amdhsa_reserve_vcc 1
		.amdhsa_float_round_mode_32 0
		.amdhsa_float_round_mode_16_64 0
		.amdhsa_float_denorm_mode_32 3
		.amdhsa_float_denorm_mode_16_64 3
		.amdhsa_fp16_overflow 0
		.amdhsa_memory_ordered 1
		.amdhsa_forward_progress 1
		.amdhsa_inst_pref_size 21
		.amdhsa_round_robin_scheduling 0
		.amdhsa_exception_fp_ieee_invalid_op 0
		.amdhsa_exception_fp_denorm_src 0
		.amdhsa_exception_fp_ieee_div_zero 0
		.amdhsa_exception_fp_ieee_overflow 0
		.amdhsa_exception_fp_ieee_underflow 0
		.amdhsa_exception_fp_ieee_inexact 0
		.amdhsa_exception_int_div_zero 0
	.end_amdhsa_kernel
	.section	.text._ZN9rocsparseL19gebsrmvn_2xn_kernelILj128ELj12ELj64E21rocsparse_complex_numIdEEEvi20rocsparse_direction_NS_24const_host_device_scalarIT2_EEPKiS8_PKS5_SA_S6_PS5_21rocsparse_index_base_b,"axG",@progbits,_ZN9rocsparseL19gebsrmvn_2xn_kernelILj128ELj12ELj64E21rocsparse_complex_numIdEEEvi20rocsparse_direction_NS_24const_host_device_scalarIT2_EEPKiS8_PKS5_SA_S6_PS5_21rocsparse_index_base_b,comdat
.Lfunc_end282:
	.size	_ZN9rocsparseL19gebsrmvn_2xn_kernelILj128ELj12ELj64E21rocsparse_complex_numIdEEEvi20rocsparse_direction_NS_24const_host_device_scalarIT2_EEPKiS8_PKS5_SA_S6_PS5_21rocsparse_index_base_b, .Lfunc_end282-_ZN9rocsparseL19gebsrmvn_2xn_kernelILj128ELj12ELj64E21rocsparse_complex_numIdEEEvi20rocsparse_direction_NS_24const_host_device_scalarIT2_EEPKiS8_PKS5_SA_S6_PS5_21rocsparse_index_base_b
                                        ; -- End function
	.set _ZN9rocsparseL19gebsrmvn_2xn_kernelILj128ELj12ELj64E21rocsparse_complex_numIdEEEvi20rocsparse_direction_NS_24const_host_device_scalarIT2_EEPKiS8_PKS5_SA_S6_PS5_21rocsparse_index_base_b.num_vgpr, 74
	.set _ZN9rocsparseL19gebsrmvn_2xn_kernelILj128ELj12ELj64E21rocsparse_complex_numIdEEEvi20rocsparse_direction_NS_24const_host_device_scalarIT2_EEPKiS8_PKS5_SA_S6_PS5_21rocsparse_index_base_b.num_agpr, 0
	.set _ZN9rocsparseL19gebsrmvn_2xn_kernelILj128ELj12ELj64E21rocsparse_complex_numIdEEEvi20rocsparse_direction_NS_24const_host_device_scalarIT2_EEPKiS8_PKS5_SA_S6_PS5_21rocsparse_index_base_b.numbered_sgpr, 14
	.set _ZN9rocsparseL19gebsrmvn_2xn_kernelILj128ELj12ELj64E21rocsparse_complex_numIdEEEvi20rocsparse_direction_NS_24const_host_device_scalarIT2_EEPKiS8_PKS5_SA_S6_PS5_21rocsparse_index_base_b.num_named_barrier, 0
	.set _ZN9rocsparseL19gebsrmvn_2xn_kernelILj128ELj12ELj64E21rocsparse_complex_numIdEEEvi20rocsparse_direction_NS_24const_host_device_scalarIT2_EEPKiS8_PKS5_SA_S6_PS5_21rocsparse_index_base_b.private_seg_size, 0
	.set _ZN9rocsparseL19gebsrmvn_2xn_kernelILj128ELj12ELj64E21rocsparse_complex_numIdEEEvi20rocsparse_direction_NS_24const_host_device_scalarIT2_EEPKiS8_PKS5_SA_S6_PS5_21rocsparse_index_base_b.uses_vcc, 1
	.set _ZN9rocsparseL19gebsrmvn_2xn_kernelILj128ELj12ELj64E21rocsparse_complex_numIdEEEvi20rocsparse_direction_NS_24const_host_device_scalarIT2_EEPKiS8_PKS5_SA_S6_PS5_21rocsparse_index_base_b.uses_flat_scratch, 0
	.set _ZN9rocsparseL19gebsrmvn_2xn_kernelILj128ELj12ELj64E21rocsparse_complex_numIdEEEvi20rocsparse_direction_NS_24const_host_device_scalarIT2_EEPKiS8_PKS5_SA_S6_PS5_21rocsparse_index_base_b.has_dyn_sized_stack, 0
	.set _ZN9rocsparseL19gebsrmvn_2xn_kernelILj128ELj12ELj64E21rocsparse_complex_numIdEEEvi20rocsparse_direction_NS_24const_host_device_scalarIT2_EEPKiS8_PKS5_SA_S6_PS5_21rocsparse_index_base_b.has_recursion, 0
	.set _ZN9rocsparseL19gebsrmvn_2xn_kernelILj128ELj12ELj64E21rocsparse_complex_numIdEEEvi20rocsparse_direction_NS_24const_host_device_scalarIT2_EEPKiS8_PKS5_SA_S6_PS5_21rocsparse_index_base_b.has_indirect_call, 0
	.section	.AMDGPU.csdata,"",@progbits
; Kernel info:
; codeLenInByte = 2620
; TotalNumSgprs: 16
; NumVgprs: 74
; ScratchSize: 0
; MemoryBound: 1
; FloatMode: 240
; IeeeMode: 1
; LDSByteSize: 0 bytes/workgroup (compile time only)
; SGPRBlocks: 0
; VGPRBlocks: 4
; NumSGPRsForWavesPerEU: 16
; NumVGPRsForWavesPerEU: 74
; NamedBarCnt: 0
; Occupancy: 12
; WaveLimiterHint : 1
; COMPUTE_PGM_RSRC2:SCRATCH_EN: 0
; COMPUTE_PGM_RSRC2:USER_SGPR: 2
; COMPUTE_PGM_RSRC2:TRAP_HANDLER: 0
; COMPUTE_PGM_RSRC2:TGID_X_EN: 1
; COMPUTE_PGM_RSRC2:TGID_Y_EN: 0
; COMPUTE_PGM_RSRC2:TGID_Z_EN: 0
; COMPUTE_PGM_RSRC2:TIDIG_COMP_CNT: 0
	.section	.text._ZN9rocsparseL19gebsrmvn_2xn_kernelILj128ELj13ELj4E21rocsparse_complex_numIdEEEvi20rocsparse_direction_NS_24const_host_device_scalarIT2_EEPKiS8_PKS5_SA_S6_PS5_21rocsparse_index_base_b,"axG",@progbits,_ZN9rocsparseL19gebsrmvn_2xn_kernelILj128ELj13ELj4E21rocsparse_complex_numIdEEEvi20rocsparse_direction_NS_24const_host_device_scalarIT2_EEPKiS8_PKS5_SA_S6_PS5_21rocsparse_index_base_b,comdat
	.globl	_ZN9rocsparseL19gebsrmvn_2xn_kernelILj128ELj13ELj4E21rocsparse_complex_numIdEEEvi20rocsparse_direction_NS_24const_host_device_scalarIT2_EEPKiS8_PKS5_SA_S6_PS5_21rocsparse_index_base_b ; -- Begin function _ZN9rocsparseL19gebsrmvn_2xn_kernelILj128ELj13ELj4E21rocsparse_complex_numIdEEEvi20rocsparse_direction_NS_24const_host_device_scalarIT2_EEPKiS8_PKS5_SA_S6_PS5_21rocsparse_index_base_b
	.p2align	8
	.type	_ZN9rocsparseL19gebsrmvn_2xn_kernelILj128ELj13ELj4E21rocsparse_complex_numIdEEEvi20rocsparse_direction_NS_24const_host_device_scalarIT2_EEPKiS8_PKS5_SA_S6_PS5_21rocsparse_index_base_b,@function
_ZN9rocsparseL19gebsrmvn_2xn_kernelILj128ELj13ELj4E21rocsparse_complex_numIdEEEvi20rocsparse_direction_NS_24const_host_device_scalarIT2_EEPKiS8_PKS5_SA_S6_PS5_21rocsparse_index_base_b: ; @_ZN9rocsparseL19gebsrmvn_2xn_kernelILj128ELj13ELj4E21rocsparse_complex_numIdEEEvi20rocsparse_direction_NS_24const_host_device_scalarIT2_EEPKiS8_PKS5_SA_S6_PS5_21rocsparse_index_base_b
; %bb.0:
	s_clause 0x1
	s_load_b64 s[12:13], s[0:1], 0x50
	s_load_b64 s[2:3], s[0:1], 0x8
	v_mov_b32_e32 v1, 0
	s_add_nc_u64 s[4:5], s[0:1], 8
	s_load_b64 s[6:7], s[0:1], 0x38
	s_wait_kmcnt 0x0
	s_bitcmp1_b32 s13, 0
	s_cselect_b32 s3, s5, s3
	s_cselect_b32 s2, s4, s2
	flat_load_b128 v[2:5], v1, s[2:3]
	s_wait_xcnt 0x0
	s_add_nc_u64 s[2:3], s[0:1], 56
	s_delay_alu instid0(SALU_CYCLE_1)
	s_cselect_b32 s3, s3, s7
	s_cselect_b32 s2, s2, s6
	flat_load_b128 v[6:9], v1, s[2:3]
	s_wait_loadcnt_dscnt 0x101
	v_cmp_eq_f64_e32 vcc_lo, 0, v[2:3]
	s_wait_xcnt 0x0
	v_cmp_eq_f64_e64 s2, 0, v[4:5]
	s_and_b32 s4, vcc_lo, s2
	s_mov_b32 s2, -1
	s_and_saveexec_b32 s3, s4
	s_cbranch_execz .LBB283_2
; %bb.1:
	s_wait_loadcnt_dscnt 0x0
	v_cmp_neq_f64_e32 vcc_lo, 1.0, v[6:7]
	v_cmp_neq_f64_e64 s2, 0, v[8:9]
	s_or_b32 s2, vcc_lo, s2
	s_delay_alu instid0(SALU_CYCLE_1)
	s_or_not1_b32 s2, s2, exec_lo
.LBB283_2:
	s_or_b32 exec_lo, exec_lo, s3
	s_and_saveexec_b32 s3, s2
	s_cbranch_execz .LBB283_29
; %bb.3:
	s_load_b64 s[2:3], s[0:1], 0x0
	s_bfe_u32 s4, ttmp6, 0x4000c
	s_and_b32 s5, ttmp6, 15
	s_add_co_i32 s4, s4, 1
	s_getreg_b32 s6, hwreg(HW_REG_IB_STS2, 6, 4)
	s_mul_i32 s4, ttmp9, s4
	v_lshrrev_b32_e32 v1, 2, v0
	s_add_co_i32 s5, s5, s4
	s_cmp_eq_u32 s6, 0
	s_cselect_b32 s4, ttmp9, s5
	s_delay_alu instid0(VALU_DEP_1) | instid1(SALU_CYCLE_1)
	v_lshl_or_b32 v10, s4, 5, v1
	s_wait_kmcnt 0x0
	s_delay_alu instid0(VALU_DEP_1)
	v_cmp_gt_i32_e32 vcc_lo, s2, v10
	s_and_b32 exec_lo, exec_lo, vcc_lo
	s_cbranch_execz .LBB283_29
; %bb.4:
	s_load_b256 s[4:11], s[0:1], 0x18
	v_ashrrev_i32_e32 v11, 31, v10
	s_cmp_lg_u32 s3, 0
	s_wait_kmcnt 0x0
	s_delay_alu instid0(VALU_DEP_1)
	v_lshl_add_u64 v[12:13], v[10:11], 2, s[4:5]
	v_and_b32_e32 v11, 3, v0
	global_load_b64 v[18:19], v[12:13], off
	s_wait_loadcnt 0x0
	v_subrev_nc_u32_e32 v0, s12, v18
	v_subrev_nc_u32_e32 v28, s12, v19
	s_delay_alu instid0(VALU_DEP_2) | instskip(NEXT) | instid1(VALU_DEP_1)
	v_add_nc_u32_e32 v29, v0, v11
	v_cmp_lt_i32_e64 s2, v29, v28
	s_cbranch_scc0 .LBB283_12
; %bb.5:
	v_mov_b64_e32 v[0:1], 0
	v_mov_b64_e32 v[14:15], 0
	;; [unrolled: 1-line block ×4, first 2 shown]
	s_and_saveexec_b32 s3, s2
	s_cbranch_execz .LBB283_14
; %bb.6:
	v_mul_u32_u24_e32 v0, 26, v11
	v_mul_lo_u32 v19, v29, 26
	s_mul_i32 s4, s12, 26
	v_mov_b64_e32 v[14:15], 0
	v_mov_b64_e32 v[16:17], 0
	v_mad_u32 v20, v18, 26, v0
	v_mov_b64_e32 v[0:1], 0
	v_mov_b64_e32 v[12:13], 0
	v_mov_b32_e32 v31, v29
	s_delay_alu instid0(VALU_DEP_4)
	v_subrev_nc_u32_e32 v30, s4, v20
	s_mov_b32 s4, 0
	s_branch .LBB283_8
.LBB283_7:                              ;   in Loop: Header=BB283_8 Depth=1
	v_add_nc_u32_e32 v31, 4, v31
	v_add_nc_u32_e32 v19, 0x68, v19
	;; [unrolled: 1-line block ×3, first 2 shown]
	s_delay_alu instid0(VALU_DEP_3) | instskip(SKIP_1) | instid1(SALU_CYCLE_1)
	v_cmp_ge_i32_e32 vcc_lo, v31, v28
	s_or_b32 s4, vcc_lo, s4
	s_and_not1_b32 exec_lo, exec_lo, s4
	s_cbranch_execz .LBB283_13
.LBB283_8:                              ; =>This Loop Header: Depth=1
                                        ;     Child Loop BB283_10 Depth 2
	global_load_b32 v20, v31, s[6:7] scale_offset
	v_mov_b64_e32 v[24:25], v[14:15]
	v_mov_b64_e32 v[26:27], v[16:17]
	;; [unrolled: 1-line block ×3, first 2 shown]
	s_mov_b32 s5, 0
	s_wait_loadcnt 0x0
	v_subrev_nc_u32_e32 v20, s12, v20
	s_delay_alu instid0(VALU_DEP_1)
	v_mul_lo_u32 v32, v20, 13
	v_mov_b64_e32 v[20:21], v[0:1]
	s_branch .LBB283_10
.LBB283_9:                              ;   in Loop: Header=BB283_8 Depth=1
                                        ; implicit-def: $vgpr22_vgpr23
                                        ; implicit-def: $vgpr26_vgpr27
                                        ; implicit-def: $vgpr24_vgpr25
                                        ; implicit-def: $vgpr20_vgpr21
                                        ; implicit-def: $sgpr5
                                        ; implicit-def: $vgpr32
	s_branch .LBB283_7
.LBB283_10:                             ;   Parent Loop BB283_8 Depth=1
                                        ; =>  This Inner Loop Header: Depth=2
	v_add_nc_u32_e32 v0, s5, v30
	s_cmp_eq_u32 s5, 24
	global_load_b128 v[34:37], v32, s[10:11] scale_offset
	s_clause 0x1
	global_load_b128 v[38:41], v0, s[8:9] scale_offset
	global_load_b128 v[42:45], v0, s[8:9] offset:16 scale_offset
	s_wait_loadcnt 0x1
	v_fmac_f64_e32 v[20:21], v[40:41], v[34:35]
	s_wait_loadcnt 0x0
	v_fmac_f64_e32 v[22:23], v[44:45], v[34:35]
	v_fmac_f64_e32 v[24:25], v[38:39], v[34:35]
	;; [unrolled: 1-line block ×3, first 2 shown]
	s_delay_alu instid0(VALU_DEP_4) | instskip(NEXT) | instid1(VALU_DEP_4)
	v_mov_b64_e32 v[0:1], v[20:21]
	v_mov_b64_e32 v[12:13], v[22:23]
	s_delay_alu instid0(VALU_DEP_4) | instskip(NEXT) | instid1(VALU_DEP_4)
	v_fma_f64 v[14:15], -v[40:41], v[36:37], v[24:25]
	v_fma_f64 v[16:17], -v[44:45], v[36:37], v[26:27]
	s_delay_alu instid0(VALU_DEP_4) | instskip(NEXT) | instid1(VALU_DEP_4)
	v_fmac_f64_e32 v[0:1], v[38:39], v[36:37]
	v_fmac_f64_e32 v[12:13], v[42:43], v[36:37]
	s_cbranch_scc1 .LBB283_9
; %bb.11:                               ;   in Loop: Header=BB283_10 Depth=2
	v_dual_add_nc_u32 v20, s5, v19 :: v_dual_add_nc_u32 v21, 1, v32
	s_add_co_i32 s5, s5, 8
	s_delay_alu instid0(VALU_DEP_1)
	v_add_nc_u32_e32 v26, 2, v20
	global_load_b128 v[22:25], v21, s[10:11] scale_offset
	s_clause 0x1
	global_load_b128 v[34:37], v26, s[8:9] scale_offset
	global_load_b128 v[38:41], v26, s[8:9] offset:16 scale_offset
	s_wait_xcnt 0x2
	v_add_nc_u32_e32 v21, 2, v32
	s_wait_xcnt 0x0
	v_dual_add_nc_u32 v26, 4, v20 :: v_dual_add_nc_u32 v20, 6, v20
	global_load_b128 v[42:45], v21, s[10:11] scale_offset
	s_clause 0x1
	global_load_b128 v[46:49], v26, s[8:9] scale_offset
	global_load_b128 v[50:53], v26, s[8:9] offset:16 scale_offset
	s_wait_xcnt 0x2
	v_dual_add_nc_u32 v21, 3, v32 :: v_dual_add_nc_u32 v32, 4, v32
	s_wait_loadcnt 0x4
	s_wait_xcnt 0x0
	v_fma_f64 v[26:27], v[34:35], v[22:23], v[14:15]
	s_wait_loadcnt 0x3
	v_fma_f64 v[66:67], v[38:39], v[22:23], v[16:17]
	global_load_b128 v[54:57], v21, s[10:11] scale_offset
	s_clause 0x1
	global_load_b128 v[58:61], v20, s[8:9] scale_offset
	global_load_b128 v[62:65], v20, s[8:9] offset:16 scale_offset
	s_wait_xcnt 0x0
	v_fma_f64 v[20:21], v[36:37], v[22:23], v[0:1]
	v_fma_f64 v[22:23], v[40:41], v[22:23], v[12:13]
	v_fma_f64 v[26:27], -v[36:37], v[24:25], v[26:27]
	s_delay_alu instid0(VALU_DEP_3) | instskip(SKIP_1) | instid1(VALU_DEP_4)
	v_fmac_f64_e32 v[20:21], v[34:35], v[24:25]
	v_fma_f64 v[34:35], -v[40:41], v[24:25], v[66:67]
	v_fmac_f64_e32 v[22:23], v[38:39], v[24:25]
	s_wait_loadcnt 0x4
	s_delay_alu instid0(VALU_DEP_4) | instskip(NEXT) | instid1(VALU_DEP_4)
	v_fmac_f64_e32 v[26:27], v[46:47], v[42:43]
	v_fmac_f64_e32 v[20:21], v[48:49], v[42:43]
	s_wait_loadcnt 0x3
	s_delay_alu instid0(VALU_DEP_4) | instskip(NEXT) | instid1(VALU_DEP_4)
	v_fmac_f64_e32 v[34:35], v[50:51], v[42:43]
	v_fmac_f64_e32 v[22:23], v[52:53], v[42:43]
	s_delay_alu instid0(VALU_DEP_4) | instskip(NEXT) | instid1(VALU_DEP_4)
	v_fma_f64 v[24:25], -v[48:49], v[44:45], v[26:27]
	v_fmac_f64_e32 v[20:21], v[46:47], v[44:45]
	s_delay_alu instid0(VALU_DEP_4) | instskip(NEXT) | instid1(VALU_DEP_4)
	v_fma_f64 v[26:27], -v[52:53], v[44:45], v[34:35]
	v_fmac_f64_e32 v[22:23], v[50:51], v[44:45]
	s_wait_loadcnt 0x1
	s_delay_alu instid0(VALU_DEP_4) | instskip(NEXT) | instid1(VALU_DEP_4)
	v_fmac_f64_e32 v[24:25], v[58:59], v[54:55]
	v_fmac_f64_e32 v[20:21], v[60:61], v[54:55]
	s_wait_loadcnt 0x0
	s_delay_alu instid0(VALU_DEP_4) | instskip(NEXT) | instid1(VALU_DEP_4)
	v_fmac_f64_e32 v[26:27], v[62:63], v[54:55]
	v_fmac_f64_e32 v[22:23], v[64:65], v[54:55]
	s_delay_alu instid0(VALU_DEP_4) | instskip(NEXT) | instid1(VALU_DEP_4)
	v_fma_f64 v[24:25], -v[60:61], v[56:57], v[24:25]
	v_fmac_f64_e32 v[20:21], v[58:59], v[56:57]
	s_delay_alu instid0(VALU_DEP_4) | instskip(NEXT) | instid1(VALU_DEP_4)
	v_fma_f64 v[26:27], -v[64:65], v[56:57], v[26:27]
	v_fmac_f64_e32 v[22:23], v[62:63], v[56:57]
	s_cbranch_execnz .LBB283_10
	s_branch .LBB283_7
.LBB283_12:
                                        ; implicit-def: $vgpr0_vgpr1
                                        ; implicit-def: $vgpr14_vgpr15
                                        ; implicit-def: $vgpr16_vgpr17
                                        ; implicit-def: $vgpr12_vgpr13
	s_branch .LBB283_15
.LBB283_13:
	s_or_b32 exec_lo, exec_lo, s4
.LBB283_14:
	s_delay_alu instid0(SALU_CYCLE_1)
	s_or_b32 exec_lo, exec_lo, s3
	s_cbranch_execnz .LBB283_24
.LBB283_15:
	v_mov_b64_e32 v[0:1], 0
	v_mov_b64_e32 v[14:15], 0
	;; [unrolled: 1-line block ×4, first 2 shown]
	s_and_saveexec_b32 s3, s2
	s_cbranch_execz .LBB283_23
; %bb.16:
	v_mul_u32_u24_e32 v0, 26, v11
	v_mul_lo_u32 v26, v29, 26
	s_mul_i32 s2, s12, 26
	v_mov_b64_e32 v[14:15], 0
	v_mov_b64_e32 v[16:17], 0
	v_mad_u32 v18, v18, 26, v0
	v_mov_b64_e32 v[0:1], 0
	v_mov_b64_e32 v[12:13], 0
	s_delay_alu instid0(VALU_DEP_3)
	v_subrev_nc_u32_e32 v27, s2, v18
	s_mov_b32 s2, 0
	s_branch .LBB283_18
.LBB283_17:                             ;   in Loop: Header=BB283_18 Depth=1
	v_add_nc_u32_e32 v29, 4, v29
	v_add_nc_u32_e32 v26, 0x68, v26
	;; [unrolled: 1-line block ×3, first 2 shown]
	s_delay_alu instid0(VALU_DEP_3) | instskip(SKIP_1) | instid1(SALU_CYCLE_1)
	v_cmp_ge_i32_e32 vcc_lo, v29, v28
	s_or_b32 s2, vcc_lo, s2
	s_and_not1_b32 exec_lo, exec_lo, s2
	s_cbranch_execz .LBB283_22
.LBB283_18:                             ; =>This Loop Header: Depth=1
                                        ;     Child Loop BB283_20 Depth 2
	global_load_b32 v18, v29, s[6:7] scale_offset
	v_mov_b64_e32 v[22:23], v[14:15]
	v_mov_b64_e32 v[24:25], v[16:17]
	;; [unrolled: 1-line block ×3, first 2 shown]
	s_mov_b32 s4, 0
	s_wait_loadcnt 0x0
	v_subrev_nc_u32_e32 v18, s12, v18
	s_delay_alu instid0(VALU_DEP_1)
	v_mul_lo_u32 v30, v18, 13
	v_mov_b64_e32 v[18:19], v[0:1]
	s_branch .LBB283_20
.LBB283_19:                             ;   in Loop: Header=BB283_20 Depth=2
	s_and_not1_b32 vcc_lo, exec_lo, s5
	s_cbranch_vccz .LBB283_17
.LBB283_20:                             ;   Parent Loop BB283_18 Depth=1
                                        ; =>  This Inner Loop Header: Depth=2
	v_dual_add_nc_u32 v31, s4, v26 :: v_dual_add_nc_u32 v0, s4, v27
	s_delay_alu instid0(VALU_DEP_3) | instskip(SKIP_2) | instid1(VALU_DEP_2)
	v_add_nc_u32_e32 v32, s4, v30
	s_cmp_eq_u32 s4, 12
	s_mov_b32 s5, -1
	v_add_nc_u32_e32 v1, 13, v31
	global_load_b128 v[34:37], v32, s[10:11] scale_offset
	s_clause 0x1
	global_load_b128 v[38:41], v0, s[8:9] scale_offset
	global_load_b128 v[42:45], v1, s[8:9] scale_offset
	s_wait_loadcnt 0x1
	v_fmac_f64_e32 v[18:19], v[40:41], v[34:35]
	s_wait_loadcnt 0x0
	v_fmac_f64_e32 v[20:21], v[44:45], v[34:35]
	v_fmac_f64_e32 v[22:23], v[38:39], v[34:35]
	;; [unrolled: 1-line block ×3, first 2 shown]
	s_delay_alu instid0(VALU_DEP_4) | instskip(NEXT) | instid1(VALU_DEP_4)
	v_mov_b64_e32 v[0:1], v[18:19]
	v_mov_b64_e32 v[12:13], v[20:21]
	s_delay_alu instid0(VALU_DEP_4) | instskip(NEXT) | instid1(VALU_DEP_4)
	v_fma_f64 v[14:15], -v[40:41], v[36:37], v[22:23]
	v_fma_f64 v[16:17], -v[44:45], v[36:37], v[24:25]
                                        ; implicit-def: $vgpr20_vgpr21
                                        ; implicit-def: $vgpr24_vgpr25
                                        ; implicit-def: $vgpr22_vgpr23
                                        ; implicit-def: $vgpr18_vgpr19
	s_delay_alu instid0(VALU_DEP_4) | instskip(NEXT) | instid1(VALU_DEP_4)
	v_fmac_f64_e32 v[0:1], v[38:39], v[36:37]
	v_fmac_f64_e32 v[12:13], v[42:43], v[36:37]
	s_cbranch_scc1 .LBB283_19
; %bb.21:                               ;   in Loop: Header=BB283_20 Depth=2
	v_dual_add_nc_u32 v18, 1, v31 :: v_dual_add_nc_u32 v19, 1, v32
	v_add_nc_u32_e32 v20, 14, v31
	s_add_co_i32 s4, s4, 4
	s_mov_b32 s5, 0
	global_load_b128 v[22:25], v18, s[8:9] scale_offset
	global_load_b128 v[34:37], v19, s[10:11] scale_offset
	;; [unrolled: 1-line block ×3, first 2 shown]
	s_wait_xcnt 0x1
	v_dual_add_nc_u32 v18, 2, v31 :: v_dual_add_nc_u32 v19, 2, v32
	global_load_b128 v[42:45], v18, s[8:9] scale_offset
	global_load_b128 v[46:49], v19, s[10:11] scale_offset
	global_load_b128 v[50:53], v20, s[8:9] offset:16 scale_offset
	s_wait_xcnt 0x0
	v_dual_add_nc_u32 v19, 3, v32 :: v_dual_add_nc_u32 v20, 16, v31
	s_wait_loadcnt 0x4
	v_fma_f64 v[32:33], v[22:23], v[34:35], v[14:15]
	global_load_b128 v[54:57], v18, s[8:9] offset:16 scale_offset
	global_load_b128 v[58:61], v19, s[10:11] scale_offset
	global_load_b128 v[62:65], v20, s[8:9] scale_offset
	s_wait_xcnt 0x1
	v_fma_f64 v[18:19], v[24:25], v[34:35], v[0:1]
	s_wait_loadcnt 0x6
	v_fma_f64 v[66:67], v[38:39], v[34:35], v[16:17]
	s_wait_xcnt 0x0
	v_fma_f64 v[20:21], v[40:41], v[34:35], v[12:13]
	v_fma_f64 v[24:25], -v[24:25], v[36:37], v[32:33]
	s_delay_alu instid0(VALU_DEP_4) | instskip(NEXT) | instid1(VALU_DEP_4)
	v_fmac_f64_e32 v[18:19], v[22:23], v[36:37]
	v_fma_f64 v[22:23], -v[40:41], v[36:37], v[66:67]
	s_delay_alu instid0(VALU_DEP_4) | instskip(SKIP_1) | instid1(VALU_DEP_4)
	v_fmac_f64_e32 v[20:21], v[38:39], v[36:37]
	s_wait_loadcnt 0x4
	v_fmac_f64_e32 v[24:25], v[42:43], v[46:47]
	s_delay_alu instid0(VALU_DEP_4) | instskip(SKIP_1) | instid1(VALU_DEP_4)
	v_fmac_f64_e32 v[18:19], v[44:45], v[46:47]
	s_wait_loadcnt 0x3
	v_fmac_f64_e32 v[22:23], v[50:51], v[46:47]
	s_delay_alu instid0(VALU_DEP_4) | instskip(NEXT) | instid1(VALU_DEP_4)
	v_fmac_f64_e32 v[20:21], v[52:53], v[46:47]
	v_fma_f64 v[24:25], -v[44:45], v[48:49], v[24:25]
	s_delay_alu instid0(VALU_DEP_4) | instskip(NEXT) | instid1(VALU_DEP_4)
	v_fmac_f64_e32 v[18:19], v[42:43], v[48:49]
	v_fma_f64 v[32:33], -v[52:53], v[48:49], v[22:23]
	s_delay_alu instid0(VALU_DEP_4) | instskip(SKIP_1) | instid1(VALU_DEP_4)
	v_fmac_f64_e32 v[20:21], v[50:51], v[48:49]
	s_wait_loadcnt 0x1
	v_fmac_f64_e32 v[24:25], v[54:55], v[58:59]
	s_delay_alu instid0(VALU_DEP_4) | instskip(SKIP_1) | instid1(VALU_DEP_4)
	v_fmac_f64_e32 v[18:19], v[56:57], v[58:59]
	s_wait_loadcnt 0x0
	v_fmac_f64_e32 v[32:33], v[62:63], v[58:59]
	s_delay_alu instid0(VALU_DEP_4) | instskip(NEXT) | instid1(VALU_DEP_4)
	v_fmac_f64_e32 v[20:21], v[64:65], v[58:59]
	v_fma_f64 v[22:23], -v[56:57], v[60:61], v[24:25]
	s_delay_alu instid0(VALU_DEP_4) | instskip(NEXT) | instid1(VALU_DEP_4)
	v_fmac_f64_e32 v[18:19], v[54:55], v[60:61]
	v_fma_f64 v[24:25], -v[64:65], v[60:61], v[32:33]
	s_delay_alu instid0(VALU_DEP_4)
	v_fmac_f64_e32 v[20:21], v[62:63], v[60:61]
	s_branch .LBB283_19
.LBB283_22:
	s_or_b32 exec_lo, exec_lo, s2
.LBB283_23:
	s_delay_alu instid0(SALU_CYCLE_1)
	s_or_b32 exec_lo, exec_lo, s3
.LBB283_24:
	v_mbcnt_lo_u32_b32 v28, -1, 0
	s_delay_alu instid0(VALU_DEP_1) | instskip(NEXT) | instid1(VALU_DEP_1)
	v_xor_b32_e32 v18, 2, v28
	v_cmp_gt_i32_e32 vcc_lo, 32, v18
	v_cndmask_b32_e32 v18, v28, v18, vcc_lo
	s_delay_alu instid0(VALU_DEP_1)
	v_lshlrev_b32_e32 v22, 2, v18
	ds_bpermute_b32 v20, v22, v0
	ds_bpermute_b32 v21, v22, v1
	s_wait_dscnt 0x0
	v_add_f64_e32 v[20:21], v[0:1], v[20:21]
	ds_bpermute_b32 v18, v22, v14
	ds_bpermute_b32 v19, v22, v15
	;; [unrolled: 1-line block ×6, first 2 shown]
	v_xor_b32_e32 v0, 1, v28
	s_delay_alu instid0(VALU_DEP_1)
	v_cmp_gt_i32_e32 vcc_lo, 32, v0
	v_cndmask_b32_e32 v0, v28, v0, vcc_lo
	v_cmp_eq_u32_e32 vcc_lo, 3, v11
	s_wait_dscnt 0x4
	v_add_f64_e32 v[22:23], v[14:15], v[18:19]
	s_wait_dscnt 0x2
	v_add_f64_e32 v[14:15], v[16:17], v[24:25]
	s_wait_dscnt 0x0
	v_dual_add_f64 v[18:19], v[12:13], v[26:27] :: v_dual_lshlrev_b32 v25, 2, v0
	ds_bpermute_b32 v16, v25, v20
	ds_bpermute_b32 v17, v25, v21
	;; [unrolled: 1-line block ×8, first 2 shown]
	s_and_b32 exec_lo, exec_lo, vcc_lo
	s_cbranch_execz .LBB283_29
; %bb.25:
	v_cmp_eq_f64_e32 vcc_lo, 0, v[6:7]
	v_cmp_eq_f64_e64 s2, 0, v[8:9]
	s_wait_dscnt 0x4
	v_add_f64_e32 v[0:1], v[22:23], v[0:1]
	v_add_f64_e32 v[16:17], v[20:21], v[16:17]
	s_wait_dscnt 0x2
	v_add_f64_e32 v[12:13], v[14:15], v[12:13]
	s_wait_dscnt 0x0
	v_add_f64_e32 v[14:15], v[18:19], v[24:25]
	s_load_b64 s[0:1], s[0:1], 0x48
	s_and_b32 s2, vcc_lo, s2
	s_delay_alu instid0(SALU_CYCLE_1) | instskip(NEXT) | instid1(SALU_CYCLE_1)
	s_and_saveexec_b32 s3, s2
	s_xor_b32 s2, exec_lo, s3
	s_cbranch_execz .LBB283_27
; %bb.26:
	s_delay_alu instid0(VALU_DEP_3) | instskip(SKIP_1) | instid1(VALU_DEP_3)
	v_mul_f64_e64 v[6:7], v[16:17], -v[4:5]
	v_mul_f64_e32 v[8:9], v[2:3], v[16:17]
	v_mul_f64_e64 v[16:17], v[14:15], -v[4:5]
	v_mul_f64_e32 v[18:19], v[2:3], v[14:15]
                                        ; implicit-def: $vgpr14_vgpr15
	s_delay_alu instid0(VALU_DEP_4) | instskip(NEXT) | instid1(VALU_DEP_4)
	v_fmac_f64_e32 v[6:7], v[2:3], v[0:1]
	v_fmac_f64_e32 v[8:9], v[4:5], v[0:1]
	s_delay_alu instid0(VALU_DEP_4) | instskip(NEXT) | instid1(VALU_DEP_4)
	v_fmac_f64_e32 v[16:17], v[2:3], v[12:13]
	v_fmac_f64_e32 v[18:19], v[4:5], v[12:13]
	v_lshlrev_b32_e32 v0, 1, v10
                                        ; implicit-def: $vgpr10
                                        ; implicit-def: $vgpr12_vgpr13
                                        ; implicit-def: $vgpr4_vgpr5
	s_wait_kmcnt 0x0
	s_clause 0x1
	global_store_b128 v0, v[6:9], s[0:1] scale_offset
	global_store_b128 v0, v[16:19], s[0:1] offset:16 scale_offset
                                        ; implicit-def: $vgpr0_vgpr1
                                        ; implicit-def: $vgpr16_vgpr17
                                        ; implicit-def: $vgpr8_vgpr9
.LBB283_27:
	s_wait_xcnt 0x0
	s_and_not1_saveexec_b32 s2, s2
	s_cbranch_execz .LBB283_29
; %bb.28:
	s_delay_alu instid0(VALU_DEP_3) | instskip(SKIP_1) | instid1(VALU_DEP_3)
	v_dual_mul_f64 v[26:27], v[16:17], -v[4:5] :: v_dual_lshlrev_b32 v30, 1, v10
	v_mul_f64_e32 v[16:17], v[2:3], v[16:17]
	v_mul_f64_e64 v[28:29], v[14:15], -v[4:5]
	v_mul_f64_e32 v[10:11], v[2:3], v[14:15]
	s_wait_kmcnt 0x0
	s_clause 0x1
	global_load_b128 v[18:21], v30, s[0:1] scale_offset
	global_load_b128 v[22:25], v30, s[0:1] offset:16 scale_offset
	v_fmac_f64_e32 v[26:27], v[2:3], v[0:1]
	v_fmac_f64_e32 v[16:17], v[4:5], v[0:1]
	;; [unrolled: 1-line block ×4, first 2 shown]
	s_wait_loadcnt 0x1
	s_delay_alu instid0(VALU_DEP_4) | instskip(NEXT) | instid1(VALU_DEP_4)
	v_fmac_f64_e32 v[26:27], v[6:7], v[18:19]
	v_fmac_f64_e32 v[16:17], v[8:9], v[18:19]
	s_wait_loadcnt 0x0
	s_delay_alu instid0(VALU_DEP_4) | instskip(NEXT) | instid1(VALU_DEP_4)
	v_fmac_f64_e32 v[28:29], v[6:7], v[22:23]
	v_fmac_f64_e32 v[10:11], v[8:9], v[22:23]
	s_delay_alu instid0(VALU_DEP_4) | instskip(NEXT) | instid1(VALU_DEP_4)
	v_fma_f64 v[14:15], -v[8:9], v[20:21], v[26:27]
	v_fmac_f64_e32 v[16:17], v[6:7], v[20:21]
	s_delay_alu instid0(VALU_DEP_4) | instskip(NEXT) | instid1(VALU_DEP_4)
	v_fma_f64 v[8:9], -v[8:9], v[24:25], v[28:29]
	v_fmac_f64_e32 v[10:11], v[6:7], v[24:25]
	s_clause 0x1
	global_store_b128 v30, v[14:17], s[0:1] scale_offset
	global_store_b128 v30, v[8:11], s[0:1] offset:16 scale_offset
.LBB283_29:
	s_sendmsg sendmsg(MSG_DEALLOC_VGPRS)
	s_endpgm
	.section	.rodata,"a",@progbits
	.p2align	6, 0x0
	.amdhsa_kernel _ZN9rocsparseL19gebsrmvn_2xn_kernelILj128ELj13ELj4E21rocsparse_complex_numIdEEEvi20rocsparse_direction_NS_24const_host_device_scalarIT2_EEPKiS8_PKS5_SA_S6_PS5_21rocsparse_index_base_b
		.amdhsa_group_segment_fixed_size 0
		.amdhsa_private_segment_fixed_size 0
		.amdhsa_kernarg_size 88
		.amdhsa_user_sgpr_count 2
		.amdhsa_user_sgpr_dispatch_ptr 0
		.amdhsa_user_sgpr_queue_ptr 0
		.amdhsa_user_sgpr_kernarg_segment_ptr 1
		.amdhsa_user_sgpr_dispatch_id 0
		.amdhsa_user_sgpr_kernarg_preload_length 0
		.amdhsa_user_sgpr_kernarg_preload_offset 0
		.amdhsa_user_sgpr_private_segment_size 0
		.amdhsa_wavefront_size32 1
		.amdhsa_uses_dynamic_stack 0
		.amdhsa_enable_private_segment 0
		.amdhsa_system_sgpr_workgroup_id_x 1
		.amdhsa_system_sgpr_workgroup_id_y 0
		.amdhsa_system_sgpr_workgroup_id_z 0
		.amdhsa_system_sgpr_workgroup_info 0
		.amdhsa_system_vgpr_workitem_id 0
		.amdhsa_next_free_vgpr 68
		.amdhsa_next_free_sgpr 14
		.amdhsa_named_barrier_count 0
		.amdhsa_reserve_vcc 1
		.amdhsa_float_round_mode_32 0
		.amdhsa_float_round_mode_16_64 0
		.amdhsa_float_denorm_mode_32 3
		.amdhsa_float_denorm_mode_16_64 3
		.amdhsa_fp16_overflow 0
		.amdhsa_memory_ordered 1
		.amdhsa_forward_progress 1
		.amdhsa_inst_pref_size 19
		.amdhsa_round_robin_scheduling 0
		.amdhsa_exception_fp_ieee_invalid_op 0
		.amdhsa_exception_fp_denorm_src 0
		.amdhsa_exception_fp_ieee_div_zero 0
		.amdhsa_exception_fp_ieee_overflow 0
		.amdhsa_exception_fp_ieee_underflow 0
		.amdhsa_exception_fp_ieee_inexact 0
		.amdhsa_exception_int_div_zero 0
	.end_amdhsa_kernel
	.section	.text._ZN9rocsparseL19gebsrmvn_2xn_kernelILj128ELj13ELj4E21rocsparse_complex_numIdEEEvi20rocsparse_direction_NS_24const_host_device_scalarIT2_EEPKiS8_PKS5_SA_S6_PS5_21rocsparse_index_base_b,"axG",@progbits,_ZN9rocsparseL19gebsrmvn_2xn_kernelILj128ELj13ELj4E21rocsparse_complex_numIdEEEvi20rocsparse_direction_NS_24const_host_device_scalarIT2_EEPKiS8_PKS5_SA_S6_PS5_21rocsparse_index_base_b,comdat
.Lfunc_end283:
	.size	_ZN9rocsparseL19gebsrmvn_2xn_kernelILj128ELj13ELj4E21rocsparse_complex_numIdEEEvi20rocsparse_direction_NS_24const_host_device_scalarIT2_EEPKiS8_PKS5_SA_S6_PS5_21rocsparse_index_base_b, .Lfunc_end283-_ZN9rocsparseL19gebsrmvn_2xn_kernelILj128ELj13ELj4E21rocsparse_complex_numIdEEEvi20rocsparse_direction_NS_24const_host_device_scalarIT2_EEPKiS8_PKS5_SA_S6_PS5_21rocsparse_index_base_b
                                        ; -- End function
	.set _ZN9rocsparseL19gebsrmvn_2xn_kernelILj128ELj13ELj4E21rocsparse_complex_numIdEEEvi20rocsparse_direction_NS_24const_host_device_scalarIT2_EEPKiS8_PKS5_SA_S6_PS5_21rocsparse_index_base_b.num_vgpr, 68
	.set _ZN9rocsparseL19gebsrmvn_2xn_kernelILj128ELj13ELj4E21rocsparse_complex_numIdEEEvi20rocsparse_direction_NS_24const_host_device_scalarIT2_EEPKiS8_PKS5_SA_S6_PS5_21rocsparse_index_base_b.num_agpr, 0
	.set _ZN9rocsparseL19gebsrmvn_2xn_kernelILj128ELj13ELj4E21rocsparse_complex_numIdEEEvi20rocsparse_direction_NS_24const_host_device_scalarIT2_EEPKiS8_PKS5_SA_S6_PS5_21rocsparse_index_base_b.numbered_sgpr, 14
	.set _ZN9rocsparseL19gebsrmvn_2xn_kernelILj128ELj13ELj4E21rocsparse_complex_numIdEEEvi20rocsparse_direction_NS_24const_host_device_scalarIT2_EEPKiS8_PKS5_SA_S6_PS5_21rocsparse_index_base_b.num_named_barrier, 0
	.set _ZN9rocsparseL19gebsrmvn_2xn_kernelILj128ELj13ELj4E21rocsparse_complex_numIdEEEvi20rocsparse_direction_NS_24const_host_device_scalarIT2_EEPKiS8_PKS5_SA_S6_PS5_21rocsparse_index_base_b.private_seg_size, 0
	.set _ZN9rocsparseL19gebsrmvn_2xn_kernelILj128ELj13ELj4E21rocsparse_complex_numIdEEEvi20rocsparse_direction_NS_24const_host_device_scalarIT2_EEPKiS8_PKS5_SA_S6_PS5_21rocsparse_index_base_b.uses_vcc, 1
	.set _ZN9rocsparseL19gebsrmvn_2xn_kernelILj128ELj13ELj4E21rocsparse_complex_numIdEEEvi20rocsparse_direction_NS_24const_host_device_scalarIT2_EEPKiS8_PKS5_SA_S6_PS5_21rocsparse_index_base_b.uses_flat_scratch, 0
	.set _ZN9rocsparseL19gebsrmvn_2xn_kernelILj128ELj13ELj4E21rocsparse_complex_numIdEEEvi20rocsparse_direction_NS_24const_host_device_scalarIT2_EEPKiS8_PKS5_SA_S6_PS5_21rocsparse_index_base_b.has_dyn_sized_stack, 0
	.set _ZN9rocsparseL19gebsrmvn_2xn_kernelILj128ELj13ELj4E21rocsparse_complex_numIdEEEvi20rocsparse_direction_NS_24const_host_device_scalarIT2_EEPKiS8_PKS5_SA_S6_PS5_21rocsparse_index_base_b.has_recursion, 0
	.set _ZN9rocsparseL19gebsrmvn_2xn_kernelILj128ELj13ELj4E21rocsparse_complex_numIdEEEvi20rocsparse_direction_NS_24const_host_device_scalarIT2_EEPKiS8_PKS5_SA_S6_PS5_21rocsparse_index_base_b.has_indirect_call, 0
	.section	.AMDGPU.csdata,"",@progbits
; Kernel info:
; codeLenInByte = 2344
; TotalNumSgprs: 16
; NumVgprs: 68
; ScratchSize: 0
; MemoryBound: 0
; FloatMode: 240
; IeeeMode: 1
; LDSByteSize: 0 bytes/workgroup (compile time only)
; SGPRBlocks: 0
; VGPRBlocks: 4
; NumSGPRsForWavesPerEU: 16
; NumVGPRsForWavesPerEU: 68
; NamedBarCnt: 0
; Occupancy: 12
; WaveLimiterHint : 1
; COMPUTE_PGM_RSRC2:SCRATCH_EN: 0
; COMPUTE_PGM_RSRC2:USER_SGPR: 2
; COMPUTE_PGM_RSRC2:TRAP_HANDLER: 0
; COMPUTE_PGM_RSRC2:TGID_X_EN: 1
; COMPUTE_PGM_RSRC2:TGID_Y_EN: 0
; COMPUTE_PGM_RSRC2:TGID_Z_EN: 0
; COMPUTE_PGM_RSRC2:TIDIG_COMP_CNT: 0
	.section	.text._ZN9rocsparseL19gebsrmvn_2xn_kernelILj128ELj13ELj8E21rocsparse_complex_numIdEEEvi20rocsparse_direction_NS_24const_host_device_scalarIT2_EEPKiS8_PKS5_SA_S6_PS5_21rocsparse_index_base_b,"axG",@progbits,_ZN9rocsparseL19gebsrmvn_2xn_kernelILj128ELj13ELj8E21rocsparse_complex_numIdEEEvi20rocsparse_direction_NS_24const_host_device_scalarIT2_EEPKiS8_PKS5_SA_S6_PS5_21rocsparse_index_base_b,comdat
	.globl	_ZN9rocsparseL19gebsrmvn_2xn_kernelILj128ELj13ELj8E21rocsparse_complex_numIdEEEvi20rocsparse_direction_NS_24const_host_device_scalarIT2_EEPKiS8_PKS5_SA_S6_PS5_21rocsparse_index_base_b ; -- Begin function _ZN9rocsparseL19gebsrmvn_2xn_kernelILj128ELj13ELj8E21rocsparse_complex_numIdEEEvi20rocsparse_direction_NS_24const_host_device_scalarIT2_EEPKiS8_PKS5_SA_S6_PS5_21rocsparse_index_base_b
	.p2align	8
	.type	_ZN9rocsparseL19gebsrmvn_2xn_kernelILj128ELj13ELj8E21rocsparse_complex_numIdEEEvi20rocsparse_direction_NS_24const_host_device_scalarIT2_EEPKiS8_PKS5_SA_S6_PS5_21rocsparse_index_base_b,@function
_ZN9rocsparseL19gebsrmvn_2xn_kernelILj128ELj13ELj8E21rocsparse_complex_numIdEEEvi20rocsparse_direction_NS_24const_host_device_scalarIT2_EEPKiS8_PKS5_SA_S6_PS5_21rocsparse_index_base_b: ; @_ZN9rocsparseL19gebsrmvn_2xn_kernelILj128ELj13ELj8E21rocsparse_complex_numIdEEEvi20rocsparse_direction_NS_24const_host_device_scalarIT2_EEPKiS8_PKS5_SA_S6_PS5_21rocsparse_index_base_b
; %bb.0:
	s_clause 0x1
	s_load_b64 s[12:13], s[0:1], 0x50
	s_load_b64 s[2:3], s[0:1], 0x8
	v_mov_b32_e32 v1, 0
	s_add_nc_u64 s[4:5], s[0:1], 8
	s_load_b64 s[6:7], s[0:1], 0x38
	s_wait_kmcnt 0x0
	s_bitcmp1_b32 s13, 0
	s_cselect_b32 s3, s5, s3
	s_cselect_b32 s2, s4, s2
	flat_load_b128 v[2:5], v1, s[2:3]
	s_wait_xcnt 0x0
	s_add_nc_u64 s[2:3], s[0:1], 56
	s_delay_alu instid0(SALU_CYCLE_1)
	s_cselect_b32 s3, s3, s7
	s_cselect_b32 s2, s2, s6
	flat_load_b128 v[6:9], v1, s[2:3]
	s_wait_loadcnt_dscnt 0x101
	v_cmp_eq_f64_e32 vcc_lo, 0, v[2:3]
	s_wait_xcnt 0x0
	v_cmp_eq_f64_e64 s2, 0, v[4:5]
	s_and_b32 s4, vcc_lo, s2
	s_mov_b32 s2, -1
	s_and_saveexec_b32 s3, s4
	s_cbranch_execz .LBB284_2
; %bb.1:
	s_wait_loadcnt_dscnt 0x0
	v_cmp_neq_f64_e32 vcc_lo, 1.0, v[6:7]
	v_cmp_neq_f64_e64 s2, 0, v[8:9]
	s_or_b32 s2, vcc_lo, s2
	s_delay_alu instid0(SALU_CYCLE_1)
	s_or_not1_b32 s2, s2, exec_lo
.LBB284_2:
	s_or_b32 exec_lo, exec_lo, s3
	s_and_saveexec_b32 s3, s2
	s_cbranch_execz .LBB284_29
; %bb.3:
	s_load_b64 s[2:3], s[0:1], 0x0
	s_bfe_u32 s4, ttmp6, 0x4000c
	s_and_b32 s5, ttmp6, 15
	s_add_co_i32 s4, s4, 1
	s_getreg_b32 s6, hwreg(HW_REG_IB_STS2, 6, 4)
	s_mul_i32 s4, ttmp9, s4
	v_lshrrev_b32_e32 v1, 3, v0
	s_add_co_i32 s5, s5, s4
	s_cmp_eq_u32 s6, 0
	s_cselect_b32 s4, ttmp9, s5
	s_delay_alu instid0(VALU_DEP_1) | instid1(SALU_CYCLE_1)
	v_lshl_or_b32 v10, s4, 4, v1
	s_wait_kmcnt 0x0
	s_delay_alu instid0(VALU_DEP_1)
	v_cmp_gt_i32_e32 vcc_lo, s2, v10
	s_and_b32 exec_lo, exec_lo, vcc_lo
	s_cbranch_execz .LBB284_29
; %bb.4:
	s_load_b256 s[4:11], s[0:1], 0x18
	v_ashrrev_i32_e32 v11, 31, v10
	s_cmp_lg_u32 s3, 0
	s_wait_kmcnt 0x0
	s_delay_alu instid0(VALU_DEP_1)
	v_lshl_add_u64 v[12:13], v[10:11], 2, s[4:5]
	v_and_b32_e32 v11, 7, v0
	global_load_b64 v[18:19], v[12:13], off
	s_wait_loadcnt 0x0
	v_subrev_nc_u32_e32 v0, s12, v18
	v_subrev_nc_u32_e32 v28, s12, v19
	s_delay_alu instid0(VALU_DEP_2) | instskip(NEXT) | instid1(VALU_DEP_1)
	v_add_nc_u32_e32 v29, v0, v11
	v_cmp_lt_i32_e64 s2, v29, v28
	s_cbranch_scc0 .LBB284_12
; %bb.5:
	v_mov_b64_e32 v[0:1], 0
	v_mov_b64_e32 v[14:15], 0
	;; [unrolled: 1-line block ×4, first 2 shown]
	s_and_saveexec_b32 s3, s2
	s_cbranch_execz .LBB284_14
; %bb.6:
	v_mul_u32_u24_e32 v0, 26, v11
	v_mul_lo_u32 v19, v29, 26
	s_mul_i32 s4, s12, 26
	v_mov_b64_e32 v[14:15], 0
	v_mov_b64_e32 v[16:17], 0
	v_mad_u32 v20, v18, 26, v0
	v_mov_b64_e32 v[0:1], 0
	v_mov_b64_e32 v[12:13], 0
	v_mov_b32_e32 v31, v29
	s_delay_alu instid0(VALU_DEP_4)
	v_subrev_nc_u32_e32 v30, s4, v20
	s_mov_b32 s4, 0
	s_branch .LBB284_8
.LBB284_7:                              ;   in Loop: Header=BB284_8 Depth=1
	v_add_nc_u32_e32 v31, 8, v31
	v_add_nc_u32_e32 v19, 0xd0, v19
	;; [unrolled: 1-line block ×3, first 2 shown]
	s_delay_alu instid0(VALU_DEP_3) | instskip(SKIP_1) | instid1(SALU_CYCLE_1)
	v_cmp_ge_i32_e32 vcc_lo, v31, v28
	s_or_b32 s4, vcc_lo, s4
	s_and_not1_b32 exec_lo, exec_lo, s4
	s_cbranch_execz .LBB284_13
.LBB284_8:                              ; =>This Loop Header: Depth=1
                                        ;     Child Loop BB284_10 Depth 2
	global_load_b32 v20, v31, s[6:7] scale_offset
	v_mov_b64_e32 v[24:25], v[14:15]
	v_mov_b64_e32 v[26:27], v[16:17]
	;; [unrolled: 1-line block ×3, first 2 shown]
	s_mov_b32 s5, 0
	s_wait_loadcnt 0x0
	v_subrev_nc_u32_e32 v20, s12, v20
	s_delay_alu instid0(VALU_DEP_1)
	v_mul_lo_u32 v32, v20, 13
	v_mov_b64_e32 v[20:21], v[0:1]
	s_branch .LBB284_10
.LBB284_9:                              ;   in Loop: Header=BB284_8 Depth=1
                                        ; implicit-def: $vgpr22_vgpr23
                                        ; implicit-def: $vgpr26_vgpr27
                                        ; implicit-def: $vgpr24_vgpr25
                                        ; implicit-def: $vgpr20_vgpr21
                                        ; implicit-def: $sgpr5
                                        ; implicit-def: $vgpr32
	s_branch .LBB284_7
.LBB284_10:                             ;   Parent Loop BB284_8 Depth=1
                                        ; =>  This Inner Loop Header: Depth=2
	v_add_nc_u32_e32 v0, s5, v30
	s_cmp_eq_u32 s5, 24
	global_load_b128 v[34:37], v32, s[10:11] scale_offset
	s_clause 0x1
	global_load_b128 v[38:41], v0, s[8:9] scale_offset
	global_load_b128 v[42:45], v0, s[8:9] offset:16 scale_offset
	s_wait_loadcnt 0x1
	v_fmac_f64_e32 v[20:21], v[40:41], v[34:35]
	s_wait_loadcnt 0x0
	v_fmac_f64_e32 v[22:23], v[44:45], v[34:35]
	v_fmac_f64_e32 v[24:25], v[38:39], v[34:35]
	;; [unrolled: 1-line block ×3, first 2 shown]
	s_delay_alu instid0(VALU_DEP_4) | instskip(NEXT) | instid1(VALU_DEP_4)
	v_mov_b64_e32 v[0:1], v[20:21]
	v_mov_b64_e32 v[12:13], v[22:23]
	s_delay_alu instid0(VALU_DEP_4) | instskip(NEXT) | instid1(VALU_DEP_4)
	v_fma_f64 v[14:15], -v[40:41], v[36:37], v[24:25]
	v_fma_f64 v[16:17], -v[44:45], v[36:37], v[26:27]
	s_delay_alu instid0(VALU_DEP_4) | instskip(NEXT) | instid1(VALU_DEP_4)
	v_fmac_f64_e32 v[0:1], v[38:39], v[36:37]
	v_fmac_f64_e32 v[12:13], v[42:43], v[36:37]
	s_cbranch_scc1 .LBB284_9
; %bb.11:                               ;   in Loop: Header=BB284_10 Depth=2
	v_dual_add_nc_u32 v20, s5, v19 :: v_dual_add_nc_u32 v21, 1, v32
	s_add_co_i32 s5, s5, 8
	s_delay_alu instid0(VALU_DEP_1)
	v_add_nc_u32_e32 v26, 2, v20
	global_load_b128 v[22:25], v21, s[10:11] scale_offset
	s_clause 0x1
	global_load_b128 v[34:37], v26, s[8:9] scale_offset
	global_load_b128 v[38:41], v26, s[8:9] offset:16 scale_offset
	s_wait_xcnt 0x2
	v_add_nc_u32_e32 v21, 2, v32
	s_wait_xcnt 0x0
	v_dual_add_nc_u32 v26, 4, v20 :: v_dual_add_nc_u32 v20, 6, v20
	global_load_b128 v[42:45], v21, s[10:11] scale_offset
	s_clause 0x1
	global_load_b128 v[46:49], v26, s[8:9] scale_offset
	global_load_b128 v[50:53], v26, s[8:9] offset:16 scale_offset
	s_wait_xcnt 0x2
	v_dual_add_nc_u32 v21, 3, v32 :: v_dual_add_nc_u32 v32, 4, v32
	s_wait_loadcnt 0x4
	s_wait_xcnt 0x0
	v_fma_f64 v[26:27], v[34:35], v[22:23], v[14:15]
	s_wait_loadcnt 0x3
	v_fma_f64 v[66:67], v[38:39], v[22:23], v[16:17]
	global_load_b128 v[54:57], v21, s[10:11] scale_offset
	s_clause 0x1
	global_load_b128 v[58:61], v20, s[8:9] scale_offset
	global_load_b128 v[62:65], v20, s[8:9] offset:16 scale_offset
	s_wait_xcnt 0x0
	v_fma_f64 v[20:21], v[36:37], v[22:23], v[0:1]
	v_fma_f64 v[22:23], v[40:41], v[22:23], v[12:13]
	v_fma_f64 v[26:27], -v[36:37], v[24:25], v[26:27]
	s_delay_alu instid0(VALU_DEP_3) | instskip(SKIP_1) | instid1(VALU_DEP_4)
	v_fmac_f64_e32 v[20:21], v[34:35], v[24:25]
	v_fma_f64 v[34:35], -v[40:41], v[24:25], v[66:67]
	v_fmac_f64_e32 v[22:23], v[38:39], v[24:25]
	s_wait_loadcnt 0x4
	s_delay_alu instid0(VALU_DEP_4) | instskip(NEXT) | instid1(VALU_DEP_4)
	v_fmac_f64_e32 v[26:27], v[46:47], v[42:43]
	v_fmac_f64_e32 v[20:21], v[48:49], v[42:43]
	s_wait_loadcnt 0x3
	s_delay_alu instid0(VALU_DEP_4) | instskip(NEXT) | instid1(VALU_DEP_4)
	v_fmac_f64_e32 v[34:35], v[50:51], v[42:43]
	v_fmac_f64_e32 v[22:23], v[52:53], v[42:43]
	s_delay_alu instid0(VALU_DEP_4) | instskip(NEXT) | instid1(VALU_DEP_4)
	v_fma_f64 v[24:25], -v[48:49], v[44:45], v[26:27]
	v_fmac_f64_e32 v[20:21], v[46:47], v[44:45]
	s_delay_alu instid0(VALU_DEP_4) | instskip(NEXT) | instid1(VALU_DEP_4)
	v_fma_f64 v[26:27], -v[52:53], v[44:45], v[34:35]
	v_fmac_f64_e32 v[22:23], v[50:51], v[44:45]
	s_wait_loadcnt 0x1
	s_delay_alu instid0(VALU_DEP_4) | instskip(NEXT) | instid1(VALU_DEP_4)
	v_fmac_f64_e32 v[24:25], v[58:59], v[54:55]
	v_fmac_f64_e32 v[20:21], v[60:61], v[54:55]
	s_wait_loadcnt 0x0
	s_delay_alu instid0(VALU_DEP_4) | instskip(NEXT) | instid1(VALU_DEP_4)
	v_fmac_f64_e32 v[26:27], v[62:63], v[54:55]
	v_fmac_f64_e32 v[22:23], v[64:65], v[54:55]
	s_delay_alu instid0(VALU_DEP_4) | instskip(NEXT) | instid1(VALU_DEP_4)
	v_fma_f64 v[24:25], -v[60:61], v[56:57], v[24:25]
	v_fmac_f64_e32 v[20:21], v[58:59], v[56:57]
	s_delay_alu instid0(VALU_DEP_4) | instskip(NEXT) | instid1(VALU_DEP_4)
	v_fma_f64 v[26:27], -v[64:65], v[56:57], v[26:27]
	v_fmac_f64_e32 v[22:23], v[62:63], v[56:57]
	s_cbranch_execnz .LBB284_10
	s_branch .LBB284_7
.LBB284_12:
                                        ; implicit-def: $vgpr0_vgpr1
                                        ; implicit-def: $vgpr14_vgpr15
                                        ; implicit-def: $vgpr16_vgpr17
                                        ; implicit-def: $vgpr12_vgpr13
	s_branch .LBB284_15
.LBB284_13:
	s_or_b32 exec_lo, exec_lo, s4
.LBB284_14:
	s_delay_alu instid0(SALU_CYCLE_1)
	s_or_b32 exec_lo, exec_lo, s3
	s_cbranch_execnz .LBB284_24
.LBB284_15:
	v_mov_b64_e32 v[0:1], 0
	v_mov_b64_e32 v[14:15], 0
	;; [unrolled: 1-line block ×4, first 2 shown]
	s_and_saveexec_b32 s3, s2
	s_cbranch_execz .LBB284_23
; %bb.16:
	v_mul_u32_u24_e32 v0, 26, v11
	v_mul_lo_u32 v26, v29, 26
	s_mul_i32 s2, s12, 26
	v_mov_b64_e32 v[14:15], 0
	v_mov_b64_e32 v[16:17], 0
	v_mad_u32 v18, v18, 26, v0
	v_mov_b64_e32 v[0:1], 0
	v_mov_b64_e32 v[12:13], 0
	s_delay_alu instid0(VALU_DEP_3)
	v_subrev_nc_u32_e32 v27, s2, v18
	s_mov_b32 s2, 0
	s_branch .LBB284_18
.LBB284_17:                             ;   in Loop: Header=BB284_18 Depth=1
	v_add_nc_u32_e32 v29, 8, v29
	v_add_nc_u32_e32 v26, 0xd0, v26
	v_add_nc_u32_e32 v27, 0xd0, v27
	s_delay_alu instid0(VALU_DEP_3) | instskip(SKIP_1) | instid1(SALU_CYCLE_1)
	v_cmp_ge_i32_e32 vcc_lo, v29, v28
	s_or_b32 s2, vcc_lo, s2
	s_and_not1_b32 exec_lo, exec_lo, s2
	s_cbranch_execz .LBB284_22
.LBB284_18:                             ; =>This Loop Header: Depth=1
                                        ;     Child Loop BB284_20 Depth 2
	global_load_b32 v18, v29, s[6:7] scale_offset
	v_mov_b64_e32 v[22:23], v[14:15]
	v_mov_b64_e32 v[24:25], v[16:17]
	;; [unrolled: 1-line block ×3, first 2 shown]
	s_mov_b32 s4, 0
	s_wait_loadcnt 0x0
	v_subrev_nc_u32_e32 v18, s12, v18
	s_delay_alu instid0(VALU_DEP_1)
	v_mul_lo_u32 v30, v18, 13
	v_mov_b64_e32 v[18:19], v[0:1]
	s_branch .LBB284_20
.LBB284_19:                             ;   in Loop: Header=BB284_20 Depth=2
	s_and_not1_b32 vcc_lo, exec_lo, s5
	s_cbranch_vccz .LBB284_17
.LBB284_20:                             ;   Parent Loop BB284_18 Depth=1
                                        ; =>  This Inner Loop Header: Depth=2
	v_dual_add_nc_u32 v31, s4, v26 :: v_dual_add_nc_u32 v0, s4, v27
	s_delay_alu instid0(VALU_DEP_3) | instskip(SKIP_2) | instid1(VALU_DEP_2)
	v_add_nc_u32_e32 v32, s4, v30
	s_cmp_eq_u32 s4, 12
	s_mov_b32 s5, -1
	v_add_nc_u32_e32 v1, 13, v31
	global_load_b128 v[34:37], v32, s[10:11] scale_offset
	s_clause 0x1
	global_load_b128 v[38:41], v0, s[8:9] scale_offset
	global_load_b128 v[42:45], v1, s[8:9] scale_offset
	s_wait_loadcnt 0x1
	v_fmac_f64_e32 v[18:19], v[40:41], v[34:35]
	s_wait_loadcnt 0x0
	v_fmac_f64_e32 v[20:21], v[44:45], v[34:35]
	v_fmac_f64_e32 v[22:23], v[38:39], v[34:35]
	;; [unrolled: 1-line block ×3, first 2 shown]
	s_delay_alu instid0(VALU_DEP_4) | instskip(NEXT) | instid1(VALU_DEP_4)
	v_mov_b64_e32 v[0:1], v[18:19]
	v_mov_b64_e32 v[12:13], v[20:21]
	s_delay_alu instid0(VALU_DEP_4) | instskip(NEXT) | instid1(VALU_DEP_4)
	v_fma_f64 v[14:15], -v[40:41], v[36:37], v[22:23]
	v_fma_f64 v[16:17], -v[44:45], v[36:37], v[24:25]
                                        ; implicit-def: $vgpr20_vgpr21
                                        ; implicit-def: $vgpr24_vgpr25
                                        ; implicit-def: $vgpr22_vgpr23
                                        ; implicit-def: $vgpr18_vgpr19
	s_delay_alu instid0(VALU_DEP_4) | instskip(NEXT) | instid1(VALU_DEP_4)
	v_fmac_f64_e32 v[0:1], v[38:39], v[36:37]
	v_fmac_f64_e32 v[12:13], v[42:43], v[36:37]
	s_cbranch_scc1 .LBB284_19
; %bb.21:                               ;   in Loop: Header=BB284_20 Depth=2
	v_dual_add_nc_u32 v18, 1, v31 :: v_dual_add_nc_u32 v19, 1, v32
	v_add_nc_u32_e32 v20, 14, v31
	s_add_co_i32 s4, s4, 4
	s_mov_b32 s5, 0
	global_load_b128 v[22:25], v18, s[8:9] scale_offset
	global_load_b128 v[34:37], v19, s[10:11] scale_offset
	;; [unrolled: 1-line block ×3, first 2 shown]
	s_wait_xcnt 0x1
	v_dual_add_nc_u32 v18, 2, v31 :: v_dual_add_nc_u32 v19, 2, v32
	global_load_b128 v[42:45], v18, s[8:9] scale_offset
	global_load_b128 v[46:49], v19, s[10:11] scale_offset
	global_load_b128 v[50:53], v20, s[8:9] offset:16 scale_offset
	s_wait_xcnt 0x0
	v_dual_add_nc_u32 v19, 3, v32 :: v_dual_add_nc_u32 v20, 16, v31
	s_wait_loadcnt 0x4
	v_fma_f64 v[32:33], v[22:23], v[34:35], v[14:15]
	global_load_b128 v[54:57], v18, s[8:9] offset:16 scale_offset
	global_load_b128 v[58:61], v19, s[10:11] scale_offset
	global_load_b128 v[62:65], v20, s[8:9] scale_offset
	s_wait_xcnt 0x1
	v_fma_f64 v[18:19], v[24:25], v[34:35], v[0:1]
	s_wait_loadcnt 0x6
	v_fma_f64 v[66:67], v[38:39], v[34:35], v[16:17]
	s_wait_xcnt 0x0
	v_fma_f64 v[20:21], v[40:41], v[34:35], v[12:13]
	v_fma_f64 v[24:25], -v[24:25], v[36:37], v[32:33]
	s_delay_alu instid0(VALU_DEP_4) | instskip(NEXT) | instid1(VALU_DEP_4)
	v_fmac_f64_e32 v[18:19], v[22:23], v[36:37]
	v_fma_f64 v[22:23], -v[40:41], v[36:37], v[66:67]
	s_delay_alu instid0(VALU_DEP_4) | instskip(SKIP_1) | instid1(VALU_DEP_4)
	v_fmac_f64_e32 v[20:21], v[38:39], v[36:37]
	s_wait_loadcnt 0x4
	v_fmac_f64_e32 v[24:25], v[42:43], v[46:47]
	s_delay_alu instid0(VALU_DEP_4) | instskip(SKIP_1) | instid1(VALU_DEP_4)
	v_fmac_f64_e32 v[18:19], v[44:45], v[46:47]
	s_wait_loadcnt 0x3
	v_fmac_f64_e32 v[22:23], v[50:51], v[46:47]
	s_delay_alu instid0(VALU_DEP_4) | instskip(NEXT) | instid1(VALU_DEP_4)
	v_fmac_f64_e32 v[20:21], v[52:53], v[46:47]
	v_fma_f64 v[24:25], -v[44:45], v[48:49], v[24:25]
	s_delay_alu instid0(VALU_DEP_4) | instskip(NEXT) | instid1(VALU_DEP_4)
	v_fmac_f64_e32 v[18:19], v[42:43], v[48:49]
	v_fma_f64 v[32:33], -v[52:53], v[48:49], v[22:23]
	s_delay_alu instid0(VALU_DEP_4) | instskip(SKIP_1) | instid1(VALU_DEP_4)
	v_fmac_f64_e32 v[20:21], v[50:51], v[48:49]
	s_wait_loadcnt 0x1
	v_fmac_f64_e32 v[24:25], v[54:55], v[58:59]
	s_delay_alu instid0(VALU_DEP_4) | instskip(SKIP_1) | instid1(VALU_DEP_4)
	v_fmac_f64_e32 v[18:19], v[56:57], v[58:59]
	s_wait_loadcnt 0x0
	v_fmac_f64_e32 v[32:33], v[62:63], v[58:59]
	s_delay_alu instid0(VALU_DEP_4) | instskip(NEXT) | instid1(VALU_DEP_4)
	v_fmac_f64_e32 v[20:21], v[64:65], v[58:59]
	v_fma_f64 v[22:23], -v[56:57], v[60:61], v[24:25]
	s_delay_alu instid0(VALU_DEP_4) | instskip(NEXT) | instid1(VALU_DEP_4)
	v_fmac_f64_e32 v[18:19], v[54:55], v[60:61]
	v_fma_f64 v[24:25], -v[64:65], v[60:61], v[32:33]
	s_delay_alu instid0(VALU_DEP_4)
	v_fmac_f64_e32 v[20:21], v[62:63], v[60:61]
	s_branch .LBB284_19
.LBB284_22:
	s_or_b32 exec_lo, exec_lo, s2
.LBB284_23:
	s_delay_alu instid0(SALU_CYCLE_1)
	s_or_b32 exec_lo, exec_lo, s3
.LBB284_24:
	v_mbcnt_lo_u32_b32 v28, -1, 0
	s_delay_alu instid0(VALU_DEP_1) | instskip(NEXT) | instid1(VALU_DEP_1)
	v_xor_b32_e32 v18, 4, v28
	v_cmp_gt_i32_e32 vcc_lo, 32, v18
	v_cndmask_b32_e32 v18, v28, v18, vcc_lo
	s_delay_alu instid0(VALU_DEP_1)
	v_lshlrev_b32_e32 v25, 2, v18
	ds_bpermute_b32 v18, v25, v14
	ds_bpermute_b32 v19, v25, v15
	;; [unrolled: 1-line block ×4, first 2 shown]
	s_wait_dscnt 0x2
	v_add_f64_e32 v[14:15], v[14:15], v[18:19]
	s_wait_dscnt 0x0
	v_add_f64_e32 v[18:19], v[0:1], v[20:21]
	ds_bpermute_b32 v22, v25, v16
	ds_bpermute_b32 v23, v25, v17
	;; [unrolled: 1-line block ×4, first 2 shown]
	v_xor_b32_e32 v0, 2, v28
	s_delay_alu instid0(VALU_DEP_1)
	v_cmp_gt_i32_e32 vcc_lo, 32, v0
	v_cndmask_b32_e32 v0, v28, v0, vcc_lo
	s_wait_dscnt 0x2
	v_add_f64_e32 v[20:21], v[16:17], v[22:23]
	s_wait_dscnt 0x0
	v_add_f64_e32 v[22:23], v[12:13], v[24:25]
	v_lshlrev_b32_e32 v16, 2, v0
	ds_bpermute_b32 v0, v16, v14
	ds_bpermute_b32 v1, v16, v15
	;; [unrolled: 1-line block ×8, first 2 shown]
	s_wait_dscnt 0x4
	v_add_f64_e32 v[16:17], v[18:19], v[12:13]
	v_xor_b32_e32 v18, 1, v28
	s_delay_alu instid0(VALU_DEP_1) | instskip(SKIP_3) | instid1(VALU_DEP_2)
	v_cmp_gt_i32_e32 vcc_lo, 32, v18
	v_dual_add_f64 v[0:1], v[14:15], v[0:1] :: v_dual_cndmask_b32 v18, v28, v18, vcc_lo
	v_cmp_eq_u32_e32 vcc_lo, 7, v11
	s_wait_dscnt 0x2
	v_dual_add_f64 v[12:13], v[20:21], v[24:25] :: v_dual_lshlrev_b32 v21, 2, v18
	s_wait_dscnt 0x0
	v_add_f64_e32 v[14:15], v[22:23], v[26:27]
	ds_bpermute_b32 v22, v21, v16
	ds_bpermute_b32 v23, v21, v17
	;; [unrolled: 1-line block ×8, first 2 shown]
	s_and_b32 exec_lo, exec_lo, vcc_lo
	s_cbranch_execz .LBB284_29
; %bb.25:
	v_cmp_eq_f64_e32 vcc_lo, 0, v[6:7]
	v_cmp_eq_f64_e64 s2, 0, v[8:9]
	s_wait_dscnt 0x4
	v_add_f64_e32 v[0:1], v[0:1], v[24:25]
	v_add_f64_e32 v[16:17], v[16:17], v[22:23]
	s_wait_dscnt 0x2
	v_add_f64_e32 v[12:13], v[12:13], v[18:19]
	s_wait_dscnt 0x0
	v_add_f64_e32 v[14:15], v[14:15], v[20:21]
	s_load_b64 s[0:1], s[0:1], 0x48
	s_and_b32 s2, vcc_lo, s2
	s_delay_alu instid0(SALU_CYCLE_1) | instskip(NEXT) | instid1(SALU_CYCLE_1)
	s_and_saveexec_b32 s3, s2
	s_xor_b32 s2, exec_lo, s3
	s_cbranch_execz .LBB284_27
; %bb.26:
	s_delay_alu instid0(VALU_DEP_3) | instskip(SKIP_1) | instid1(VALU_DEP_3)
	v_mul_f64_e64 v[6:7], v[16:17], -v[4:5]
	v_mul_f64_e32 v[8:9], v[2:3], v[16:17]
	v_mul_f64_e64 v[16:17], v[14:15], -v[4:5]
	v_mul_f64_e32 v[18:19], v[2:3], v[14:15]
                                        ; implicit-def: $vgpr14_vgpr15
	s_delay_alu instid0(VALU_DEP_4) | instskip(NEXT) | instid1(VALU_DEP_4)
	v_fmac_f64_e32 v[6:7], v[2:3], v[0:1]
	v_fmac_f64_e32 v[8:9], v[4:5], v[0:1]
	s_delay_alu instid0(VALU_DEP_4) | instskip(NEXT) | instid1(VALU_DEP_4)
	v_fmac_f64_e32 v[16:17], v[2:3], v[12:13]
	v_fmac_f64_e32 v[18:19], v[4:5], v[12:13]
	v_lshlrev_b32_e32 v0, 1, v10
                                        ; implicit-def: $vgpr10
                                        ; implicit-def: $vgpr12_vgpr13
                                        ; implicit-def: $vgpr4_vgpr5
	s_wait_kmcnt 0x0
	s_clause 0x1
	global_store_b128 v0, v[6:9], s[0:1] scale_offset
	global_store_b128 v0, v[16:19], s[0:1] offset:16 scale_offset
                                        ; implicit-def: $vgpr0_vgpr1
                                        ; implicit-def: $vgpr16_vgpr17
                                        ; implicit-def: $vgpr8_vgpr9
.LBB284_27:
	s_wait_xcnt 0x0
	s_and_not1_saveexec_b32 s2, s2
	s_cbranch_execz .LBB284_29
; %bb.28:
	s_delay_alu instid0(VALU_DEP_3) | instskip(SKIP_1) | instid1(VALU_DEP_3)
	v_dual_mul_f64 v[26:27], v[16:17], -v[4:5] :: v_dual_lshlrev_b32 v30, 1, v10
	v_mul_f64_e32 v[16:17], v[2:3], v[16:17]
	v_mul_f64_e64 v[28:29], v[14:15], -v[4:5]
	v_mul_f64_e32 v[10:11], v[2:3], v[14:15]
	s_wait_kmcnt 0x0
	s_clause 0x1
	global_load_b128 v[18:21], v30, s[0:1] scale_offset
	global_load_b128 v[22:25], v30, s[0:1] offset:16 scale_offset
	v_fmac_f64_e32 v[26:27], v[2:3], v[0:1]
	v_fmac_f64_e32 v[16:17], v[4:5], v[0:1]
	v_fmac_f64_e32 v[28:29], v[2:3], v[12:13]
	v_fmac_f64_e32 v[10:11], v[4:5], v[12:13]
	s_wait_loadcnt 0x1
	s_delay_alu instid0(VALU_DEP_4) | instskip(NEXT) | instid1(VALU_DEP_4)
	v_fmac_f64_e32 v[26:27], v[6:7], v[18:19]
	v_fmac_f64_e32 v[16:17], v[8:9], v[18:19]
	s_wait_loadcnt 0x0
	s_delay_alu instid0(VALU_DEP_4) | instskip(NEXT) | instid1(VALU_DEP_4)
	v_fmac_f64_e32 v[28:29], v[6:7], v[22:23]
	v_fmac_f64_e32 v[10:11], v[8:9], v[22:23]
	s_delay_alu instid0(VALU_DEP_4) | instskip(NEXT) | instid1(VALU_DEP_4)
	v_fma_f64 v[14:15], -v[8:9], v[20:21], v[26:27]
	v_fmac_f64_e32 v[16:17], v[6:7], v[20:21]
	s_delay_alu instid0(VALU_DEP_4) | instskip(NEXT) | instid1(VALU_DEP_4)
	v_fma_f64 v[8:9], -v[8:9], v[24:25], v[28:29]
	v_fmac_f64_e32 v[10:11], v[6:7], v[24:25]
	s_clause 0x1
	global_store_b128 v30, v[14:17], s[0:1] scale_offset
	global_store_b128 v30, v[8:11], s[0:1] offset:16 scale_offset
.LBB284_29:
	s_sendmsg sendmsg(MSG_DEALLOC_VGPRS)
	s_endpgm
	.section	.rodata,"a",@progbits
	.p2align	6, 0x0
	.amdhsa_kernel _ZN9rocsparseL19gebsrmvn_2xn_kernelILj128ELj13ELj8E21rocsparse_complex_numIdEEEvi20rocsparse_direction_NS_24const_host_device_scalarIT2_EEPKiS8_PKS5_SA_S6_PS5_21rocsparse_index_base_b
		.amdhsa_group_segment_fixed_size 0
		.amdhsa_private_segment_fixed_size 0
		.amdhsa_kernarg_size 88
		.amdhsa_user_sgpr_count 2
		.amdhsa_user_sgpr_dispatch_ptr 0
		.amdhsa_user_sgpr_queue_ptr 0
		.amdhsa_user_sgpr_kernarg_segment_ptr 1
		.amdhsa_user_sgpr_dispatch_id 0
		.amdhsa_user_sgpr_kernarg_preload_length 0
		.amdhsa_user_sgpr_kernarg_preload_offset 0
		.amdhsa_user_sgpr_private_segment_size 0
		.amdhsa_wavefront_size32 1
		.amdhsa_uses_dynamic_stack 0
		.amdhsa_enable_private_segment 0
		.amdhsa_system_sgpr_workgroup_id_x 1
		.amdhsa_system_sgpr_workgroup_id_y 0
		.amdhsa_system_sgpr_workgroup_id_z 0
		.amdhsa_system_sgpr_workgroup_info 0
		.amdhsa_system_vgpr_workitem_id 0
		.amdhsa_next_free_vgpr 68
		.amdhsa_next_free_sgpr 14
		.amdhsa_named_barrier_count 0
		.amdhsa_reserve_vcc 1
		.amdhsa_float_round_mode_32 0
		.amdhsa_float_round_mode_16_64 0
		.amdhsa_float_denorm_mode_32 3
		.amdhsa_float_denorm_mode_16_64 3
		.amdhsa_fp16_overflow 0
		.amdhsa_memory_ordered 1
		.amdhsa_forward_progress 1
		.amdhsa_inst_pref_size 20
		.amdhsa_round_robin_scheduling 0
		.amdhsa_exception_fp_ieee_invalid_op 0
		.amdhsa_exception_fp_denorm_src 0
		.amdhsa_exception_fp_ieee_div_zero 0
		.amdhsa_exception_fp_ieee_overflow 0
		.amdhsa_exception_fp_ieee_underflow 0
		.amdhsa_exception_fp_ieee_inexact 0
		.amdhsa_exception_int_div_zero 0
	.end_amdhsa_kernel
	.section	.text._ZN9rocsparseL19gebsrmvn_2xn_kernelILj128ELj13ELj8E21rocsparse_complex_numIdEEEvi20rocsparse_direction_NS_24const_host_device_scalarIT2_EEPKiS8_PKS5_SA_S6_PS5_21rocsparse_index_base_b,"axG",@progbits,_ZN9rocsparseL19gebsrmvn_2xn_kernelILj128ELj13ELj8E21rocsparse_complex_numIdEEEvi20rocsparse_direction_NS_24const_host_device_scalarIT2_EEPKiS8_PKS5_SA_S6_PS5_21rocsparse_index_base_b,comdat
.Lfunc_end284:
	.size	_ZN9rocsparseL19gebsrmvn_2xn_kernelILj128ELj13ELj8E21rocsparse_complex_numIdEEEvi20rocsparse_direction_NS_24const_host_device_scalarIT2_EEPKiS8_PKS5_SA_S6_PS5_21rocsparse_index_base_b, .Lfunc_end284-_ZN9rocsparseL19gebsrmvn_2xn_kernelILj128ELj13ELj8E21rocsparse_complex_numIdEEEvi20rocsparse_direction_NS_24const_host_device_scalarIT2_EEPKiS8_PKS5_SA_S6_PS5_21rocsparse_index_base_b
                                        ; -- End function
	.set _ZN9rocsparseL19gebsrmvn_2xn_kernelILj128ELj13ELj8E21rocsparse_complex_numIdEEEvi20rocsparse_direction_NS_24const_host_device_scalarIT2_EEPKiS8_PKS5_SA_S6_PS5_21rocsparse_index_base_b.num_vgpr, 68
	.set _ZN9rocsparseL19gebsrmvn_2xn_kernelILj128ELj13ELj8E21rocsparse_complex_numIdEEEvi20rocsparse_direction_NS_24const_host_device_scalarIT2_EEPKiS8_PKS5_SA_S6_PS5_21rocsparse_index_base_b.num_agpr, 0
	.set _ZN9rocsparseL19gebsrmvn_2xn_kernelILj128ELj13ELj8E21rocsparse_complex_numIdEEEvi20rocsparse_direction_NS_24const_host_device_scalarIT2_EEPKiS8_PKS5_SA_S6_PS5_21rocsparse_index_base_b.numbered_sgpr, 14
	.set _ZN9rocsparseL19gebsrmvn_2xn_kernelILj128ELj13ELj8E21rocsparse_complex_numIdEEEvi20rocsparse_direction_NS_24const_host_device_scalarIT2_EEPKiS8_PKS5_SA_S6_PS5_21rocsparse_index_base_b.num_named_barrier, 0
	.set _ZN9rocsparseL19gebsrmvn_2xn_kernelILj128ELj13ELj8E21rocsparse_complex_numIdEEEvi20rocsparse_direction_NS_24const_host_device_scalarIT2_EEPKiS8_PKS5_SA_S6_PS5_21rocsparse_index_base_b.private_seg_size, 0
	.set _ZN9rocsparseL19gebsrmvn_2xn_kernelILj128ELj13ELj8E21rocsparse_complex_numIdEEEvi20rocsparse_direction_NS_24const_host_device_scalarIT2_EEPKiS8_PKS5_SA_S6_PS5_21rocsparse_index_base_b.uses_vcc, 1
	.set _ZN9rocsparseL19gebsrmvn_2xn_kernelILj128ELj13ELj8E21rocsparse_complex_numIdEEEvi20rocsparse_direction_NS_24const_host_device_scalarIT2_EEPKiS8_PKS5_SA_S6_PS5_21rocsparse_index_base_b.uses_flat_scratch, 0
	.set _ZN9rocsparseL19gebsrmvn_2xn_kernelILj128ELj13ELj8E21rocsparse_complex_numIdEEEvi20rocsparse_direction_NS_24const_host_device_scalarIT2_EEPKiS8_PKS5_SA_S6_PS5_21rocsparse_index_base_b.has_dyn_sized_stack, 0
	.set _ZN9rocsparseL19gebsrmvn_2xn_kernelILj128ELj13ELj8E21rocsparse_complex_numIdEEEvi20rocsparse_direction_NS_24const_host_device_scalarIT2_EEPKiS8_PKS5_SA_S6_PS5_21rocsparse_index_base_b.has_recursion, 0
	.set _ZN9rocsparseL19gebsrmvn_2xn_kernelILj128ELj13ELj8E21rocsparse_complex_numIdEEEvi20rocsparse_direction_NS_24const_host_device_scalarIT2_EEPKiS8_PKS5_SA_S6_PS5_21rocsparse_index_base_b.has_indirect_call, 0
	.section	.AMDGPU.csdata,"",@progbits
; Kernel info:
; codeLenInByte = 2460
; TotalNumSgprs: 16
; NumVgprs: 68
; ScratchSize: 0
; MemoryBound: 0
; FloatMode: 240
; IeeeMode: 1
; LDSByteSize: 0 bytes/workgroup (compile time only)
; SGPRBlocks: 0
; VGPRBlocks: 4
; NumSGPRsForWavesPerEU: 16
; NumVGPRsForWavesPerEU: 68
; NamedBarCnt: 0
; Occupancy: 12
; WaveLimiterHint : 1
; COMPUTE_PGM_RSRC2:SCRATCH_EN: 0
; COMPUTE_PGM_RSRC2:USER_SGPR: 2
; COMPUTE_PGM_RSRC2:TRAP_HANDLER: 0
; COMPUTE_PGM_RSRC2:TGID_X_EN: 1
; COMPUTE_PGM_RSRC2:TGID_Y_EN: 0
; COMPUTE_PGM_RSRC2:TGID_Z_EN: 0
; COMPUTE_PGM_RSRC2:TIDIG_COMP_CNT: 0
	.section	.text._ZN9rocsparseL19gebsrmvn_2xn_kernelILj128ELj13ELj16E21rocsparse_complex_numIdEEEvi20rocsparse_direction_NS_24const_host_device_scalarIT2_EEPKiS8_PKS5_SA_S6_PS5_21rocsparse_index_base_b,"axG",@progbits,_ZN9rocsparseL19gebsrmvn_2xn_kernelILj128ELj13ELj16E21rocsparse_complex_numIdEEEvi20rocsparse_direction_NS_24const_host_device_scalarIT2_EEPKiS8_PKS5_SA_S6_PS5_21rocsparse_index_base_b,comdat
	.globl	_ZN9rocsparseL19gebsrmvn_2xn_kernelILj128ELj13ELj16E21rocsparse_complex_numIdEEEvi20rocsparse_direction_NS_24const_host_device_scalarIT2_EEPKiS8_PKS5_SA_S6_PS5_21rocsparse_index_base_b ; -- Begin function _ZN9rocsparseL19gebsrmvn_2xn_kernelILj128ELj13ELj16E21rocsparse_complex_numIdEEEvi20rocsparse_direction_NS_24const_host_device_scalarIT2_EEPKiS8_PKS5_SA_S6_PS5_21rocsparse_index_base_b
	.p2align	8
	.type	_ZN9rocsparseL19gebsrmvn_2xn_kernelILj128ELj13ELj16E21rocsparse_complex_numIdEEEvi20rocsparse_direction_NS_24const_host_device_scalarIT2_EEPKiS8_PKS5_SA_S6_PS5_21rocsparse_index_base_b,@function
_ZN9rocsparseL19gebsrmvn_2xn_kernelILj128ELj13ELj16E21rocsparse_complex_numIdEEEvi20rocsparse_direction_NS_24const_host_device_scalarIT2_EEPKiS8_PKS5_SA_S6_PS5_21rocsparse_index_base_b: ; @_ZN9rocsparseL19gebsrmvn_2xn_kernelILj128ELj13ELj16E21rocsparse_complex_numIdEEEvi20rocsparse_direction_NS_24const_host_device_scalarIT2_EEPKiS8_PKS5_SA_S6_PS5_21rocsparse_index_base_b
; %bb.0:
	s_clause 0x1
	s_load_b64 s[12:13], s[0:1], 0x50
	s_load_b64 s[2:3], s[0:1], 0x8
	v_mov_b32_e32 v1, 0
	s_add_nc_u64 s[4:5], s[0:1], 8
	s_load_b64 s[6:7], s[0:1], 0x38
	s_wait_kmcnt 0x0
	s_bitcmp1_b32 s13, 0
	s_cselect_b32 s3, s5, s3
	s_cselect_b32 s2, s4, s2
	flat_load_b128 v[2:5], v1, s[2:3]
	s_wait_xcnt 0x0
	s_add_nc_u64 s[2:3], s[0:1], 56
	s_delay_alu instid0(SALU_CYCLE_1)
	s_cselect_b32 s3, s3, s7
	s_cselect_b32 s2, s2, s6
	flat_load_b128 v[6:9], v1, s[2:3]
	s_wait_loadcnt_dscnt 0x101
	v_cmp_eq_f64_e32 vcc_lo, 0, v[2:3]
	s_wait_xcnt 0x0
	v_cmp_eq_f64_e64 s2, 0, v[4:5]
	s_and_b32 s4, vcc_lo, s2
	s_mov_b32 s2, -1
	s_and_saveexec_b32 s3, s4
	s_cbranch_execz .LBB285_2
; %bb.1:
	s_wait_loadcnt_dscnt 0x0
	v_cmp_neq_f64_e32 vcc_lo, 1.0, v[6:7]
	v_cmp_neq_f64_e64 s2, 0, v[8:9]
	s_or_b32 s2, vcc_lo, s2
	s_delay_alu instid0(SALU_CYCLE_1)
	s_or_not1_b32 s2, s2, exec_lo
.LBB285_2:
	s_or_b32 exec_lo, exec_lo, s3
	s_and_saveexec_b32 s3, s2
	s_cbranch_execz .LBB285_29
; %bb.3:
	s_load_b64 s[2:3], s[0:1], 0x0
	s_bfe_u32 s4, ttmp6, 0x4000c
	s_and_b32 s5, ttmp6, 15
	s_add_co_i32 s4, s4, 1
	s_getreg_b32 s6, hwreg(HW_REG_IB_STS2, 6, 4)
	s_mul_i32 s4, ttmp9, s4
	v_lshrrev_b32_e32 v1, 4, v0
	s_add_co_i32 s5, s5, s4
	s_cmp_eq_u32 s6, 0
	s_cselect_b32 s4, ttmp9, s5
	s_delay_alu instid0(VALU_DEP_1) | instid1(SALU_CYCLE_1)
	v_lshl_or_b32 v10, s4, 3, v1
	s_wait_kmcnt 0x0
	s_delay_alu instid0(VALU_DEP_1)
	v_cmp_gt_i32_e32 vcc_lo, s2, v10
	s_and_b32 exec_lo, exec_lo, vcc_lo
	s_cbranch_execz .LBB285_29
; %bb.4:
	s_load_b256 s[4:11], s[0:1], 0x18
	v_ashrrev_i32_e32 v11, 31, v10
	s_cmp_lg_u32 s3, 0
	s_wait_kmcnt 0x0
	s_delay_alu instid0(VALU_DEP_1)
	v_lshl_add_u64 v[12:13], v[10:11], 2, s[4:5]
	v_and_b32_e32 v11, 15, v0
	global_load_b64 v[18:19], v[12:13], off
	s_wait_loadcnt 0x0
	v_subrev_nc_u32_e32 v0, s12, v18
	v_subrev_nc_u32_e32 v28, s12, v19
	s_delay_alu instid0(VALU_DEP_2) | instskip(NEXT) | instid1(VALU_DEP_1)
	v_add_nc_u32_e32 v29, v0, v11
	v_cmp_lt_i32_e64 s2, v29, v28
	s_cbranch_scc0 .LBB285_12
; %bb.5:
	v_mov_b64_e32 v[0:1], 0
	v_mov_b64_e32 v[14:15], 0
	;; [unrolled: 1-line block ×4, first 2 shown]
	s_and_saveexec_b32 s3, s2
	s_cbranch_execz .LBB285_14
; %bb.6:
	v_mul_u32_u24_e32 v0, 26, v11
	v_mul_lo_u32 v19, v29, 26
	s_mul_i32 s4, s12, 26
	v_mov_b64_e32 v[14:15], 0
	v_mov_b64_e32 v[16:17], 0
	v_mad_u32 v20, v18, 26, v0
	v_mov_b64_e32 v[0:1], 0
	v_mov_b64_e32 v[12:13], 0
	v_mov_b32_e32 v31, v29
	s_delay_alu instid0(VALU_DEP_4)
	v_subrev_nc_u32_e32 v30, s4, v20
	s_mov_b32 s4, 0
	s_branch .LBB285_8
.LBB285_7:                              ;   in Loop: Header=BB285_8 Depth=1
	v_add_nc_u32_e32 v31, 16, v31
	v_add_nc_u32_e32 v19, 0x1a0, v19
	;; [unrolled: 1-line block ×3, first 2 shown]
	s_delay_alu instid0(VALU_DEP_3) | instskip(SKIP_1) | instid1(SALU_CYCLE_1)
	v_cmp_ge_i32_e32 vcc_lo, v31, v28
	s_or_b32 s4, vcc_lo, s4
	s_and_not1_b32 exec_lo, exec_lo, s4
	s_cbranch_execz .LBB285_13
.LBB285_8:                              ; =>This Loop Header: Depth=1
                                        ;     Child Loop BB285_10 Depth 2
	global_load_b32 v20, v31, s[6:7] scale_offset
	v_mov_b64_e32 v[24:25], v[14:15]
	v_mov_b64_e32 v[26:27], v[16:17]
	;; [unrolled: 1-line block ×3, first 2 shown]
	s_mov_b32 s5, 0
	s_wait_loadcnt 0x0
	v_subrev_nc_u32_e32 v20, s12, v20
	s_delay_alu instid0(VALU_DEP_1)
	v_mul_lo_u32 v32, v20, 13
	v_mov_b64_e32 v[20:21], v[0:1]
	s_branch .LBB285_10
.LBB285_9:                              ;   in Loop: Header=BB285_8 Depth=1
                                        ; implicit-def: $vgpr22_vgpr23
                                        ; implicit-def: $vgpr26_vgpr27
                                        ; implicit-def: $vgpr24_vgpr25
                                        ; implicit-def: $vgpr20_vgpr21
                                        ; implicit-def: $sgpr5
                                        ; implicit-def: $vgpr32
	s_branch .LBB285_7
.LBB285_10:                             ;   Parent Loop BB285_8 Depth=1
                                        ; =>  This Inner Loop Header: Depth=2
	v_add_nc_u32_e32 v0, s5, v30
	s_cmp_eq_u32 s5, 24
	global_load_b128 v[34:37], v32, s[10:11] scale_offset
	s_clause 0x1
	global_load_b128 v[38:41], v0, s[8:9] scale_offset
	global_load_b128 v[42:45], v0, s[8:9] offset:16 scale_offset
	s_wait_loadcnt 0x1
	v_fmac_f64_e32 v[20:21], v[40:41], v[34:35]
	s_wait_loadcnt 0x0
	v_fmac_f64_e32 v[22:23], v[44:45], v[34:35]
	v_fmac_f64_e32 v[24:25], v[38:39], v[34:35]
	;; [unrolled: 1-line block ×3, first 2 shown]
	s_delay_alu instid0(VALU_DEP_4) | instskip(NEXT) | instid1(VALU_DEP_4)
	v_mov_b64_e32 v[0:1], v[20:21]
	v_mov_b64_e32 v[12:13], v[22:23]
	s_delay_alu instid0(VALU_DEP_4) | instskip(NEXT) | instid1(VALU_DEP_4)
	v_fma_f64 v[14:15], -v[40:41], v[36:37], v[24:25]
	v_fma_f64 v[16:17], -v[44:45], v[36:37], v[26:27]
	s_delay_alu instid0(VALU_DEP_4) | instskip(NEXT) | instid1(VALU_DEP_4)
	v_fmac_f64_e32 v[0:1], v[38:39], v[36:37]
	v_fmac_f64_e32 v[12:13], v[42:43], v[36:37]
	s_cbranch_scc1 .LBB285_9
; %bb.11:                               ;   in Loop: Header=BB285_10 Depth=2
	v_dual_add_nc_u32 v20, s5, v19 :: v_dual_add_nc_u32 v21, 1, v32
	s_add_co_i32 s5, s5, 8
	s_delay_alu instid0(VALU_DEP_1)
	v_add_nc_u32_e32 v26, 2, v20
	global_load_b128 v[22:25], v21, s[10:11] scale_offset
	s_clause 0x1
	global_load_b128 v[34:37], v26, s[8:9] scale_offset
	global_load_b128 v[38:41], v26, s[8:9] offset:16 scale_offset
	s_wait_xcnt 0x2
	v_add_nc_u32_e32 v21, 2, v32
	s_wait_xcnt 0x0
	v_dual_add_nc_u32 v26, 4, v20 :: v_dual_add_nc_u32 v20, 6, v20
	global_load_b128 v[42:45], v21, s[10:11] scale_offset
	s_clause 0x1
	global_load_b128 v[46:49], v26, s[8:9] scale_offset
	global_load_b128 v[50:53], v26, s[8:9] offset:16 scale_offset
	s_wait_xcnt 0x2
	v_dual_add_nc_u32 v21, 3, v32 :: v_dual_add_nc_u32 v32, 4, v32
	s_wait_loadcnt 0x4
	s_wait_xcnt 0x0
	v_fma_f64 v[26:27], v[34:35], v[22:23], v[14:15]
	s_wait_loadcnt 0x3
	v_fma_f64 v[66:67], v[38:39], v[22:23], v[16:17]
	global_load_b128 v[54:57], v21, s[10:11] scale_offset
	s_clause 0x1
	global_load_b128 v[58:61], v20, s[8:9] scale_offset
	global_load_b128 v[62:65], v20, s[8:9] offset:16 scale_offset
	s_wait_xcnt 0x0
	v_fma_f64 v[20:21], v[36:37], v[22:23], v[0:1]
	v_fma_f64 v[22:23], v[40:41], v[22:23], v[12:13]
	v_fma_f64 v[26:27], -v[36:37], v[24:25], v[26:27]
	s_delay_alu instid0(VALU_DEP_3) | instskip(SKIP_1) | instid1(VALU_DEP_4)
	v_fmac_f64_e32 v[20:21], v[34:35], v[24:25]
	v_fma_f64 v[34:35], -v[40:41], v[24:25], v[66:67]
	v_fmac_f64_e32 v[22:23], v[38:39], v[24:25]
	s_wait_loadcnt 0x4
	s_delay_alu instid0(VALU_DEP_4) | instskip(NEXT) | instid1(VALU_DEP_4)
	v_fmac_f64_e32 v[26:27], v[46:47], v[42:43]
	v_fmac_f64_e32 v[20:21], v[48:49], v[42:43]
	s_wait_loadcnt 0x3
	s_delay_alu instid0(VALU_DEP_4) | instskip(NEXT) | instid1(VALU_DEP_4)
	v_fmac_f64_e32 v[34:35], v[50:51], v[42:43]
	v_fmac_f64_e32 v[22:23], v[52:53], v[42:43]
	s_delay_alu instid0(VALU_DEP_4) | instskip(NEXT) | instid1(VALU_DEP_4)
	v_fma_f64 v[24:25], -v[48:49], v[44:45], v[26:27]
	v_fmac_f64_e32 v[20:21], v[46:47], v[44:45]
	s_delay_alu instid0(VALU_DEP_4) | instskip(NEXT) | instid1(VALU_DEP_4)
	v_fma_f64 v[26:27], -v[52:53], v[44:45], v[34:35]
	v_fmac_f64_e32 v[22:23], v[50:51], v[44:45]
	s_wait_loadcnt 0x1
	s_delay_alu instid0(VALU_DEP_4) | instskip(NEXT) | instid1(VALU_DEP_4)
	v_fmac_f64_e32 v[24:25], v[58:59], v[54:55]
	v_fmac_f64_e32 v[20:21], v[60:61], v[54:55]
	s_wait_loadcnt 0x0
	s_delay_alu instid0(VALU_DEP_4) | instskip(NEXT) | instid1(VALU_DEP_4)
	v_fmac_f64_e32 v[26:27], v[62:63], v[54:55]
	v_fmac_f64_e32 v[22:23], v[64:65], v[54:55]
	s_delay_alu instid0(VALU_DEP_4) | instskip(NEXT) | instid1(VALU_DEP_4)
	v_fma_f64 v[24:25], -v[60:61], v[56:57], v[24:25]
	v_fmac_f64_e32 v[20:21], v[58:59], v[56:57]
	s_delay_alu instid0(VALU_DEP_4) | instskip(NEXT) | instid1(VALU_DEP_4)
	v_fma_f64 v[26:27], -v[64:65], v[56:57], v[26:27]
	v_fmac_f64_e32 v[22:23], v[62:63], v[56:57]
	s_cbranch_execnz .LBB285_10
	s_branch .LBB285_7
.LBB285_12:
                                        ; implicit-def: $vgpr0_vgpr1
                                        ; implicit-def: $vgpr14_vgpr15
                                        ; implicit-def: $vgpr16_vgpr17
                                        ; implicit-def: $vgpr12_vgpr13
	s_branch .LBB285_15
.LBB285_13:
	s_or_b32 exec_lo, exec_lo, s4
.LBB285_14:
	s_delay_alu instid0(SALU_CYCLE_1)
	s_or_b32 exec_lo, exec_lo, s3
	s_cbranch_execnz .LBB285_24
.LBB285_15:
	v_mov_b64_e32 v[0:1], 0
	v_mov_b64_e32 v[14:15], 0
	;; [unrolled: 1-line block ×4, first 2 shown]
	s_and_saveexec_b32 s3, s2
	s_cbranch_execz .LBB285_23
; %bb.16:
	v_mul_u32_u24_e32 v0, 26, v11
	v_mul_lo_u32 v26, v29, 26
	s_mul_i32 s2, s12, 26
	v_mov_b64_e32 v[14:15], 0
	v_mov_b64_e32 v[16:17], 0
	v_mad_u32 v18, v18, 26, v0
	v_mov_b64_e32 v[0:1], 0
	v_mov_b64_e32 v[12:13], 0
	s_delay_alu instid0(VALU_DEP_3)
	v_subrev_nc_u32_e32 v27, s2, v18
	s_mov_b32 s2, 0
	s_branch .LBB285_18
.LBB285_17:                             ;   in Loop: Header=BB285_18 Depth=1
	v_add_nc_u32_e32 v29, 16, v29
	v_add_nc_u32_e32 v26, 0x1a0, v26
	;; [unrolled: 1-line block ×3, first 2 shown]
	s_delay_alu instid0(VALU_DEP_3) | instskip(SKIP_1) | instid1(SALU_CYCLE_1)
	v_cmp_ge_i32_e32 vcc_lo, v29, v28
	s_or_b32 s2, vcc_lo, s2
	s_and_not1_b32 exec_lo, exec_lo, s2
	s_cbranch_execz .LBB285_22
.LBB285_18:                             ; =>This Loop Header: Depth=1
                                        ;     Child Loop BB285_20 Depth 2
	global_load_b32 v18, v29, s[6:7] scale_offset
	v_mov_b64_e32 v[22:23], v[14:15]
	v_mov_b64_e32 v[24:25], v[16:17]
	v_mov_b64_e32 v[20:21], v[12:13]
	s_mov_b32 s4, 0
	s_wait_loadcnt 0x0
	v_subrev_nc_u32_e32 v18, s12, v18
	s_delay_alu instid0(VALU_DEP_1)
	v_mul_lo_u32 v30, v18, 13
	v_mov_b64_e32 v[18:19], v[0:1]
	s_branch .LBB285_20
.LBB285_19:                             ;   in Loop: Header=BB285_20 Depth=2
	s_and_not1_b32 vcc_lo, exec_lo, s5
	s_cbranch_vccz .LBB285_17
.LBB285_20:                             ;   Parent Loop BB285_18 Depth=1
                                        ; =>  This Inner Loop Header: Depth=2
	v_dual_add_nc_u32 v31, s4, v26 :: v_dual_add_nc_u32 v0, s4, v27
	s_delay_alu instid0(VALU_DEP_3) | instskip(SKIP_2) | instid1(VALU_DEP_2)
	v_add_nc_u32_e32 v32, s4, v30
	s_cmp_eq_u32 s4, 12
	s_mov_b32 s5, -1
	v_add_nc_u32_e32 v1, 13, v31
	global_load_b128 v[34:37], v32, s[10:11] scale_offset
	s_clause 0x1
	global_load_b128 v[38:41], v0, s[8:9] scale_offset
	global_load_b128 v[42:45], v1, s[8:9] scale_offset
	s_wait_loadcnt 0x1
	v_fmac_f64_e32 v[18:19], v[40:41], v[34:35]
	s_wait_loadcnt 0x0
	v_fmac_f64_e32 v[20:21], v[44:45], v[34:35]
	v_fmac_f64_e32 v[22:23], v[38:39], v[34:35]
	;; [unrolled: 1-line block ×3, first 2 shown]
	s_delay_alu instid0(VALU_DEP_4) | instskip(NEXT) | instid1(VALU_DEP_4)
	v_mov_b64_e32 v[0:1], v[18:19]
	v_mov_b64_e32 v[12:13], v[20:21]
	s_delay_alu instid0(VALU_DEP_4) | instskip(NEXT) | instid1(VALU_DEP_4)
	v_fma_f64 v[14:15], -v[40:41], v[36:37], v[22:23]
	v_fma_f64 v[16:17], -v[44:45], v[36:37], v[24:25]
                                        ; implicit-def: $vgpr20_vgpr21
                                        ; implicit-def: $vgpr24_vgpr25
                                        ; implicit-def: $vgpr22_vgpr23
                                        ; implicit-def: $vgpr18_vgpr19
	s_delay_alu instid0(VALU_DEP_4) | instskip(NEXT) | instid1(VALU_DEP_4)
	v_fmac_f64_e32 v[0:1], v[38:39], v[36:37]
	v_fmac_f64_e32 v[12:13], v[42:43], v[36:37]
	s_cbranch_scc1 .LBB285_19
; %bb.21:                               ;   in Loop: Header=BB285_20 Depth=2
	v_dual_add_nc_u32 v18, 1, v31 :: v_dual_add_nc_u32 v19, 1, v32
	v_add_nc_u32_e32 v20, 14, v31
	s_add_co_i32 s4, s4, 4
	s_mov_b32 s5, 0
	global_load_b128 v[22:25], v18, s[8:9] scale_offset
	global_load_b128 v[34:37], v19, s[10:11] scale_offset
	global_load_b128 v[38:41], v20, s[8:9] scale_offset
	s_wait_xcnt 0x1
	v_dual_add_nc_u32 v18, 2, v31 :: v_dual_add_nc_u32 v19, 2, v32
	global_load_b128 v[42:45], v18, s[8:9] scale_offset
	global_load_b128 v[46:49], v19, s[10:11] scale_offset
	global_load_b128 v[50:53], v20, s[8:9] offset:16 scale_offset
	s_wait_xcnt 0x0
	v_dual_add_nc_u32 v19, 3, v32 :: v_dual_add_nc_u32 v20, 16, v31
	s_wait_loadcnt 0x4
	v_fma_f64 v[32:33], v[22:23], v[34:35], v[14:15]
	global_load_b128 v[54:57], v18, s[8:9] offset:16 scale_offset
	global_load_b128 v[58:61], v19, s[10:11] scale_offset
	global_load_b128 v[62:65], v20, s[8:9] scale_offset
	s_wait_xcnt 0x1
	v_fma_f64 v[18:19], v[24:25], v[34:35], v[0:1]
	s_wait_loadcnt 0x6
	v_fma_f64 v[66:67], v[38:39], v[34:35], v[16:17]
	s_wait_xcnt 0x0
	v_fma_f64 v[20:21], v[40:41], v[34:35], v[12:13]
	v_fma_f64 v[24:25], -v[24:25], v[36:37], v[32:33]
	s_delay_alu instid0(VALU_DEP_4) | instskip(NEXT) | instid1(VALU_DEP_4)
	v_fmac_f64_e32 v[18:19], v[22:23], v[36:37]
	v_fma_f64 v[22:23], -v[40:41], v[36:37], v[66:67]
	s_delay_alu instid0(VALU_DEP_4) | instskip(SKIP_1) | instid1(VALU_DEP_4)
	v_fmac_f64_e32 v[20:21], v[38:39], v[36:37]
	s_wait_loadcnt 0x4
	v_fmac_f64_e32 v[24:25], v[42:43], v[46:47]
	s_delay_alu instid0(VALU_DEP_4) | instskip(SKIP_1) | instid1(VALU_DEP_4)
	v_fmac_f64_e32 v[18:19], v[44:45], v[46:47]
	s_wait_loadcnt 0x3
	v_fmac_f64_e32 v[22:23], v[50:51], v[46:47]
	s_delay_alu instid0(VALU_DEP_4) | instskip(NEXT) | instid1(VALU_DEP_4)
	v_fmac_f64_e32 v[20:21], v[52:53], v[46:47]
	v_fma_f64 v[24:25], -v[44:45], v[48:49], v[24:25]
	s_delay_alu instid0(VALU_DEP_4) | instskip(NEXT) | instid1(VALU_DEP_4)
	v_fmac_f64_e32 v[18:19], v[42:43], v[48:49]
	v_fma_f64 v[32:33], -v[52:53], v[48:49], v[22:23]
	s_delay_alu instid0(VALU_DEP_4) | instskip(SKIP_1) | instid1(VALU_DEP_4)
	v_fmac_f64_e32 v[20:21], v[50:51], v[48:49]
	s_wait_loadcnt 0x1
	v_fmac_f64_e32 v[24:25], v[54:55], v[58:59]
	s_delay_alu instid0(VALU_DEP_4) | instskip(SKIP_1) | instid1(VALU_DEP_4)
	v_fmac_f64_e32 v[18:19], v[56:57], v[58:59]
	s_wait_loadcnt 0x0
	v_fmac_f64_e32 v[32:33], v[62:63], v[58:59]
	s_delay_alu instid0(VALU_DEP_4) | instskip(NEXT) | instid1(VALU_DEP_4)
	v_fmac_f64_e32 v[20:21], v[64:65], v[58:59]
	v_fma_f64 v[22:23], -v[56:57], v[60:61], v[24:25]
	s_delay_alu instid0(VALU_DEP_4) | instskip(NEXT) | instid1(VALU_DEP_4)
	v_fmac_f64_e32 v[18:19], v[54:55], v[60:61]
	v_fma_f64 v[24:25], -v[64:65], v[60:61], v[32:33]
	s_delay_alu instid0(VALU_DEP_4)
	v_fmac_f64_e32 v[20:21], v[62:63], v[60:61]
	s_branch .LBB285_19
.LBB285_22:
	s_or_b32 exec_lo, exec_lo, s2
.LBB285_23:
	s_delay_alu instid0(SALU_CYCLE_1)
	s_or_b32 exec_lo, exec_lo, s3
.LBB285_24:
	v_mbcnt_lo_u32_b32 v28, -1, 0
	s_delay_alu instid0(VALU_DEP_1) | instskip(NEXT) | instid1(VALU_DEP_1)
	v_xor_b32_e32 v18, 8, v28
	v_cmp_gt_i32_e32 vcc_lo, 32, v18
	v_cndmask_b32_e32 v18, v28, v18, vcc_lo
	s_delay_alu instid0(VALU_DEP_1)
	v_lshlrev_b32_e32 v25, 2, v18
	ds_bpermute_b32 v20, v25, v0
	ds_bpermute_b32 v21, v25, v1
	s_wait_dscnt 0x0
	v_add_f64_e32 v[0:1], v[0:1], v[20:21]
	ds_bpermute_b32 v18, v25, v14
	ds_bpermute_b32 v19, v25, v15
	;; [unrolled: 1-line block ×6, first 2 shown]
	s_wait_dscnt 0x4
	v_dual_add_f64 v[14:15], v[14:15], v[18:19] :: v_dual_bitop2_b32 v18, 4, v28 bitop3:0x14
	s_wait_dscnt 0x2
	v_add_f64_e32 v[16:17], v[16:17], v[22:23]
	s_delay_alu instid0(VALU_DEP_2) | instskip(SKIP_2) | instid1(VALU_DEP_1)
	v_cmp_gt_i32_e32 vcc_lo, 32, v18
	v_cndmask_b32_e32 v18, v28, v18, vcc_lo
	s_wait_dscnt 0x0
	v_dual_add_f64 v[12:13], v[12:13], v[24:25] :: v_dual_lshlrev_b32 v25, 2, v18
	ds_bpermute_b32 v20, v25, v0
	ds_bpermute_b32 v21, v25, v1
	;; [unrolled: 1-line block ×8, first 2 shown]
	s_wait_dscnt 0x4
	v_add_f64_e32 v[14:15], v[14:15], v[18:19]
	v_add_f64_e32 v[18:19], v[0:1], v[20:21]
	s_wait_dscnt 0x2
	v_dual_add_f64 v[20:21], v[16:17], v[22:23] :: v_dual_bitop2_b32 v0, 2, v28 bitop3:0x14
	s_delay_alu instid0(VALU_DEP_1) | instskip(SKIP_3) | instid1(VALU_DEP_1)
	v_cmp_gt_i32_e32 vcc_lo, 32, v0
	s_wait_dscnt 0x0
	v_add_f64_e32 v[22:23], v[12:13], v[24:25]
	v_cndmask_b32_e32 v0, v28, v0, vcc_lo
	v_lshlrev_b32_e32 v16, 2, v0
	ds_bpermute_b32 v0, v16, v14
	ds_bpermute_b32 v12, v16, v18
	ds_bpermute_b32 v13, v16, v19
	ds_bpermute_b32 v1, v16, v15
	ds_bpermute_b32 v24, v16, v20
	ds_bpermute_b32 v25, v16, v21
	ds_bpermute_b32 v26, v16, v22
	ds_bpermute_b32 v27, v16, v23
	s_wait_dscnt 0x5
	v_add_f64_e32 v[16:17], v[18:19], v[12:13]
	v_xor_b32_e32 v18, 1, v28
	s_wait_dscnt 0x2
	v_add_f64_e32 v[12:13], v[20:21], v[24:25]
	s_delay_alu instid0(VALU_DEP_2) | instskip(SKIP_2) | instid1(VALU_DEP_2)
	v_cmp_gt_i32_e32 vcc_lo, 32, v18
	v_dual_add_f64 v[0:1], v[14:15], v[0:1] :: v_dual_cndmask_b32 v18, v28, v18, vcc_lo
	v_cmp_eq_u32_e32 vcc_lo, 15, v11
	v_lshlrev_b32_e32 v21, 2, v18
	s_wait_dscnt 0x0
	v_add_f64_e32 v[14:15], v[22:23], v[26:27]
	ds_bpermute_b32 v22, v21, v16
	ds_bpermute_b32 v23, v21, v17
	;; [unrolled: 1-line block ×8, first 2 shown]
	s_and_b32 exec_lo, exec_lo, vcc_lo
	s_cbranch_execz .LBB285_29
; %bb.25:
	v_cmp_eq_f64_e32 vcc_lo, 0, v[6:7]
	v_cmp_eq_f64_e64 s2, 0, v[8:9]
	s_wait_dscnt 0x2
	v_add_f64_e32 v[0:1], v[0:1], v[24:25]
	v_add_f64_e32 v[16:17], v[16:17], v[22:23]
	;; [unrolled: 1-line block ×3, first 2 shown]
	s_wait_dscnt 0x0
	v_add_f64_e32 v[14:15], v[14:15], v[20:21]
	s_load_b64 s[0:1], s[0:1], 0x48
	s_and_b32 s2, vcc_lo, s2
	s_delay_alu instid0(SALU_CYCLE_1) | instskip(NEXT) | instid1(SALU_CYCLE_1)
	s_and_saveexec_b32 s3, s2
	s_xor_b32 s2, exec_lo, s3
	s_cbranch_execz .LBB285_27
; %bb.26:
	s_delay_alu instid0(VALU_DEP_3) | instskip(SKIP_1) | instid1(VALU_DEP_3)
	v_mul_f64_e64 v[6:7], v[16:17], -v[4:5]
	v_mul_f64_e32 v[8:9], v[2:3], v[16:17]
	v_mul_f64_e64 v[16:17], v[14:15], -v[4:5]
	v_mul_f64_e32 v[18:19], v[2:3], v[14:15]
                                        ; implicit-def: $vgpr14_vgpr15
	s_delay_alu instid0(VALU_DEP_4) | instskip(NEXT) | instid1(VALU_DEP_4)
	v_fmac_f64_e32 v[6:7], v[2:3], v[0:1]
	v_fmac_f64_e32 v[8:9], v[4:5], v[0:1]
	s_delay_alu instid0(VALU_DEP_4) | instskip(NEXT) | instid1(VALU_DEP_4)
	v_fmac_f64_e32 v[16:17], v[2:3], v[12:13]
	v_fmac_f64_e32 v[18:19], v[4:5], v[12:13]
	v_lshlrev_b32_e32 v0, 1, v10
                                        ; implicit-def: $vgpr10
                                        ; implicit-def: $vgpr12_vgpr13
                                        ; implicit-def: $vgpr4_vgpr5
	s_wait_kmcnt 0x0
	s_clause 0x1
	global_store_b128 v0, v[6:9], s[0:1] scale_offset
	global_store_b128 v0, v[16:19], s[0:1] offset:16 scale_offset
                                        ; implicit-def: $vgpr0_vgpr1
                                        ; implicit-def: $vgpr16_vgpr17
                                        ; implicit-def: $vgpr8_vgpr9
.LBB285_27:
	s_wait_xcnt 0x0
	s_and_not1_saveexec_b32 s2, s2
	s_cbranch_execz .LBB285_29
; %bb.28:
	s_delay_alu instid0(VALU_DEP_3) | instskip(SKIP_1) | instid1(VALU_DEP_3)
	v_dual_mul_f64 v[26:27], v[16:17], -v[4:5] :: v_dual_lshlrev_b32 v30, 1, v10
	v_mul_f64_e32 v[16:17], v[2:3], v[16:17]
	v_mul_f64_e64 v[28:29], v[14:15], -v[4:5]
	v_mul_f64_e32 v[10:11], v[2:3], v[14:15]
	s_wait_kmcnt 0x0
	s_clause 0x1
	global_load_b128 v[18:21], v30, s[0:1] scale_offset
	global_load_b128 v[22:25], v30, s[0:1] offset:16 scale_offset
	v_fmac_f64_e32 v[26:27], v[2:3], v[0:1]
	v_fmac_f64_e32 v[16:17], v[4:5], v[0:1]
	;; [unrolled: 1-line block ×4, first 2 shown]
	s_wait_loadcnt 0x1
	s_delay_alu instid0(VALU_DEP_4) | instskip(NEXT) | instid1(VALU_DEP_4)
	v_fmac_f64_e32 v[26:27], v[6:7], v[18:19]
	v_fmac_f64_e32 v[16:17], v[8:9], v[18:19]
	s_wait_loadcnt 0x0
	s_delay_alu instid0(VALU_DEP_4) | instskip(NEXT) | instid1(VALU_DEP_4)
	v_fmac_f64_e32 v[28:29], v[6:7], v[22:23]
	v_fmac_f64_e32 v[10:11], v[8:9], v[22:23]
	s_delay_alu instid0(VALU_DEP_4) | instskip(NEXT) | instid1(VALU_DEP_4)
	v_fma_f64 v[14:15], -v[8:9], v[20:21], v[26:27]
	v_fmac_f64_e32 v[16:17], v[6:7], v[20:21]
	s_delay_alu instid0(VALU_DEP_4) | instskip(NEXT) | instid1(VALU_DEP_4)
	v_fma_f64 v[8:9], -v[8:9], v[24:25], v[28:29]
	v_fmac_f64_e32 v[10:11], v[6:7], v[24:25]
	s_clause 0x1
	global_store_b128 v30, v[14:17], s[0:1] scale_offset
	global_store_b128 v30, v[8:11], s[0:1] offset:16 scale_offset
.LBB285_29:
	s_sendmsg sendmsg(MSG_DEALLOC_VGPRS)
	s_endpgm
	.section	.rodata,"a",@progbits
	.p2align	6, 0x0
	.amdhsa_kernel _ZN9rocsparseL19gebsrmvn_2xn_kernelILj128ELj13ELj16E21rocsparse_complex_numIdEEEvi20rocsparse_direction_NS_24const_host_device_scalarIT2_EEPKiS8_PKS5_SA_S6_PS5_21rocsparse_index_base_b
		.amdhsa_group_segment_fixed_size 0
		.amdhsa_private_segment_fixed_size 0
		.amdhsa_kernarg_size 88
		.amdhsa_user_sgpr_count 2
		.amdhsa_user_sgpr_dispatch_ptr 0
		.amdhsa_user_sgpr_queue_ptr 0
		.amdhsa_user_sgpr_kernarg_segment_ptr 1
		.amdhsa_user_sgpr_dispatch_id 0
		.amdhsa_user_sgpr_kernarg_preload_length 0
		.amdhsa_user_sgpr_kernarg_preload_offset 0
		.amdhsa_user_sgpr_private_segment_size 0
		.amdhsa_wavefront_size32 1
		.amdhsa_uses_dynamic_stack 0
		.amdhsa_enable_private_segment 0
		.amdhsa_system_sgpr_workgroup_id_x 1
		.amdhsa_system_sgpr_workgroup_id_y 0
		.amdhsa_system_sgpr_workgroup_id_z 0
		.amdhsa_system_sgpr_workgroup_info 0
		.amdhsa_system_vgpr_workitem_id 0
		.amdhsa_next_free_vgpr 68
		.amdhsa_next_free_sgpr 14
		.amdhsa_named_barrier_count 0
		.amdhsa_reserve_vcc 1
		.amdhsa_float_round_mode_32 0
		.amdhsa_float_round_mode_16_64 0
		.amdhsa_float_denorm_mode_32 3
		.amdhsa_float_denorm_mode_16_64 3
		.amdhsa_fp16_overflow 0
		.amdhsa_memory_ordered 1
		.amdhsa_forward_progress 1
		.amdhsa_inst_pref_size 21
		.amdhsa_round_robin_scheduling 0
		.amdhsa_exception_fp_ieee_invalid_op 0
		.amdhsa_exception_fp_denorm_src 0
		.amdhsa_exception_fp_ieee_div_zero 0
		.amdhsa_exception_fp_ieee_overflow 0
		.amdhsa_exception_fp_ieee_underflow 0
		.amdhsa_exception_fp_ieee_inexact 0
		.amdhsa_exception_int_div_zero 0
	.end_amdhsa_kernel
	.section	.text._ZN9rocsparseL19gebsrmvn_2xn_kernelILj128ELj13ELj16E21rocsparse_complex_numIdEEEvi20rocsparse_direction_NS_24const_host_device_scalarIT2_EEPKiS8_PKS5_SA_S6_PS5_21rocsparse_index_base_b,"axG",@progbits,_ZN9rocsparseL19gebsrmvn_2xn_kernelILj128ELj13ELj16E21rocsparse_complex_numIdEEEvi20rocsparse_direction_NS_24const_host_device_scalarIT2_EEPKiS8_PKS5_SA_S6_PS5_21rocsparse_index_base_b,comdat
.Lfunc_end285:
	.size	_ZN9rocsparseL19gebsrmvn_2xn_kernelILj128ELj13ELj16E21rocsparse_complex_numIdEEEvi20rocsparse_direction_NS_24const_host_device_scalarIT2_EEPKiS8_PKS5_SA_S6_PS5_21rocsparse_index_base_b, .Lfunc_end285-_ZN9rocsparseL19gebsrmvn_2xn_kernelILj128ELj13ELj16E21rocsparse_complex_numIdEEEvi20rocsparse_direction_NS_24const_host_device_scalarIT2_EEPKiS8_PKS5_SA_S6_PS5_21rocsparse_index_base_b
                                        ; -- End function
	.set _ZN9rocsparseL19gebsrmvn_2xn_kernelILj128ELj13ELj16E21rocsparse_complex_numIdEEEvi20rocsparse_direction_NS_24const_host_device_scalarIT2_EEPKiS8_PKS5_SA_S6_PS5_21rocsparse_index_base_b.num_vgpr, 68
	.set _ZN9rocsparseL19gebsrmvn_2xn_kernelILj128ELj13ELj16E21rocsparse_complex_numIdEEEvi20rocsparse_direction_NS_24const_host_device_scalarIT2_EEPKiS8_PKS5_SA_S6_PS5_21rocsparse_index_base_b.num_agpr, 0
	.set _ZN9rocsparseL19gebsrmvn_2xn_kernelILj128ELj13ELj16E21rocsparse_complex_numIdEEEvi20rocsparse_direction_NS_24const_host_device_scalarIT2_EEPKiS8_PKS5_SA_S6_PS5_21rocsparse_index_base_b.numbered_sgpr, 14
	.set _ZN9rocsparseL19gebsrmvn_2xn_kernelILj128ELj13ELj16E21rocsparse_complex_numIdEEEvi20rocsparse_direction_NS_24const_host_device_scalarIT2_EEPKiS8_PKS5_SA_S6_PS5_21rocsparse_index_base_b.num_named_barrier, 0
	.set _ZN9rocsparseL19gebsrmvn_2xn_kernelILj128ELj13ELj16E21rocsparse_complex_numIdEEEvi20rocsparse_direction_NS_24const_host_device_scalarIT2_EEPKiS8_PKS5_SA_S6_PS5_21rocsparse_index_base_b.private_seg_size, 0
	.set _ZN9rocsparseL19gebsrmvn_2xn_kernelILj128ELj13ELj16E21rocsparse_complex_numIdEEEvi20rocsparse_direction_NS_24const_host_device_scalarIT2_EEPKiS8_PKS5_SA_S6_PS5_21rocsparse_index_base_b.uses_vcc, 1
	.set _ZN9rocsparseL19gebsrmvn_2xn_kernelILj128ELj13ELj16E21rocsparse_complex_numIdEEEvi20rocsparse_direction_NS_24const_host_device_scalarIT2_EEPKiS8_PKS5_SA_S6_PS5_21rocsparse_index_base_b.uses_flat_scratch, 0
	.set _ZN9rocsparseL19gebsrmvn_2xn_kernelILj128ELj13ELj16E21rocsparse_complex_numIdEEEvi20rocsparse_direction_NS_24const_host_device_scalarIT2_EEPKiS8_PKS5_SA_S6_PS5_21rocsparse_index_base_b.has_dyn_sized_stack, 0
	.set _ZN9rocsparseL19gebsrmvn_2xn_kernelILj128ELj13ELj16E21rocsparse_complex_numIdEEEvi20rocsparse_direction_NS_24const_host_device_scalarIT2_EEPKiS8_PKS5_SA_S6_PS5_21rocsparse_index_base_b.has_recursion, 0
	.set _ZN9rocsparseL19gebsrmvn_2xn_kernelILj128ELj13ELj16E21rocsparse_complex_numIdEEEvi20rocsparse_direction_NS_24const_host_device_scalarIT2_EEPKiS8_PKS5_SA_S6_PS5_21rocsparse_index_base_b.has_indirect_call, 0
	.section	.AMDGPU.csdata,"",@progbits
; Kernel info:
; codeLenInByte = 2576
; TotalNumSgprs: 16
; NumVgprs: 68
; ScratchSize: 0
; MemoryBound: 0
; FloatMode: 240
; IeeeMode: 1
; LDSByteSize: 0 bytes/workgroup (compile time only)
; SGPRBlocks: 0
; VGPRBlocks: 4
; NumSGPRsForWavesPerEU: 16
; NumVGPRsForWavesPerEU: 68
; NamedBarCnt: 0
; Occupancy: 12
; WaveLimiterHint : 1
; COMPUTE_PGM_RSRC2:SCRATCH_EN: 0
; COMPUTE_PGM_RSRC2:USER_SGPR: 2
; COMPUTE_PGM_RSRC2:TRAP_HANDLER: 0
; COMPUTE_PGM_RSRC2:TGID_X_EN: 1
; COMPUTE_PGM_RSRC2:TGID_Y_EN: 0
; COMPUTE_PGM_RSRC2:TGID_Z_EN: 0
; COMPUTE_PGM_RSRC2:TIDIG_COMP_CNT: 0
	.section	.text._ZN9rocsparseL19gebsrmvn_2xn_kernelILj128ELj13ELj32E21rocsparse_complex_numIdEEEvi20rocsparse_direction_NS_24const_host_device_scalarIT2_EEPKiS8_PKS5_SA_S6_PS5_21rocsparse_index_base_b,"axG",@progbits,_ZN9rocsparseL19gebsrmvn_2xn_kernelILj128ELj13ELj32E21rocsparse_complex_numIdEEEvi20rocsparse_direction_NS_24const_host_device_scalarIT2_EEPKiS8_PKS5_SA_S6_PS5_21rocsparse_index_base_b,comdat
	.globl	_ZN9rocsparseL19gebsrmvn_2xn_kernelILj128ELj13ELj32E21rocsparse_complex_numIdEEEvi20rocsparse_direction_NS_24const_host_device_scalarIT2_EEPKiS8_PKS5_SA_S6_PS5_21rocsparse_index_base_b ; -- Begin function _ZN9rocsparseL19gebsrmvn_2xn_kernelILj128ELj13ELj32E21rocsparse_complex_numIdEEEvi20rocsparse_direction_NS_24const_host_device_scalarIT2_EEPKiS8_PKS5_SA_S6_PS5_21rocsparse_index_base_b
	.p2align	8
	.type	_ZN9rocsparseL19gebsrmvn_2xn_kernelILj128ELj13ELj32E21rocsparse_complex_numIdEEEvi20rocsparse_direction_NS_24const_host_device_scalarIT2_EEPKiS8_PKS5_SA_S6_PS5_21rocsparse_index_base_b,@function
_ZN9rocsparseL19gebsrmvn_2xn_kernelILj128ELj13ELj32E21rocsparse_complex_numIdEEEvi20rocsparse_direction_NS_24const_host_device_scalarIT2_EEPKiS8_PKS5_SA_S6_PS5_21rocsparse_index_base_b: ; @_ZN9rocsparseL19gebsrmvn_2xn_kernelILj128ELj13ELj32E21rocsparse_complex_numIdEEEvi20rocsparse_direction_NS_24const_host_device_scalarIT2_EEPKiS8_PKS5_SA_S6_PS5_21rocsparse_index_base_b
; %bb.0:
	s_clause 0x1
	s_load_b64 s[12:13], s[0:1], 0x50
	s_load_b64 s[2:3], s[0:1], 0x8
	v_mov_b32_e32 v1, 0
	s_add_nc_u64 s[4:5], s[0:1], 8
	s_load_b64 s[6:7], s[0:1], 0x38
	s_wait_kmcnt 0x0
	s_bitcmp1_b32 s13, 0
	s_cselect_b32 s3, s5, s3
	s_cselect_b32 s2, s4, s2
	flat_load_b128 v[2:5], v1, s[2:3]
	s_wait_xcnt 0x0
	s_add_nc_u64 s[2:3], s[0:1], 56
	s_delay_alu instid0(SALU_CYCLE_1)
	s_cselect_b32 s3, s3, s7
	s_cselect_b32 s2, s2, s6
	flat_load_b128 v[6:9], v1, s[2:3]
	s_wait_loadcnt_dscnt 0x101
	v_cmp_eq_f64_e32 vcc_lo, 0, v[2:3]
	s_wait_xcnt 0x0
	v_cmp_eq_f64_e64 s2, 0, v[4:5]
	s_and_b32 s4, vcc_lo, s2
	s_mov_b32 s2, -1
	s_and_saveexec_b32 s3, s4
	s_cbranch_execz .LBB286_2
; %bb.1:
	s_wait_loadcnt_dscnt 0x0
	v_cmp_neq_f64_e32 vcc_lo, 1.0, v[6:7]
	v_cmp_neq_f64_e64 s2, 0, v[8:9]
	s_or_b32 s2, vcc_lo, s2
	s_delay_alu instid0(SALU_CYCLE_1)
	s_or_not1_b32 s2, s2, exec_lo
.LBB286_2:
	s_or_b32 exec_lo, exec_lo, s3
	s_and_saveexec_b32 s3, s2
	s_cbranch_execz .LBB286_29
; %bb.3:
	s_load_b64 s[2:3], s[0:1], 0x0
	s_bfe_u32 s4, ttmp6, 0x4000c
	s_and_b32 s5, ttmp6, 15
	s_add_co_i32 s4, s4, 1
	s_getreg_b32 s6, hwreg(HW_REG_IB_STS2, 6, 4)
	s_mul_i32 s4, ttmp9, s4
	v_lshrrev_b32_e32 v1, 5, v0
	s_add_co_i32 s5, s5, s4
	s_cmp_eq_u32 s6, 0
	s_cselect_b32 s4, ttmp9, s5
	s_delay_alu instid0(VALU_DEP_1) | instid1(SALU_CYCLE_1)
	v_lshl_or_b32 v10, s4, 2, v1
	s_wait_kmcnt 0x0
	s_delay_alu instid0(VALU_DEP_1)
	v_cmp_gt_i32_e32 vcc_lo, s2, v10
	s_and_b32 exec_lo, exec_lo, vcc_lo
	s_cbranch_execz .LBB286_29
; %bb.4:
	s_load_b256 s[4:11], s[0:1], 0x18
	v_ashrrev_i32_e32 v11, 31, v10
	s_cmp_lg_u32 s3, 0
	s_wait_kmcnt 0x0
	s_delay_alu instid0(VALU_DEP_1)
	v_lshl_add_u64 v[12:13], v[10:11], 2, s[4:5]
	v_and_b32_e32 v11, 31, v0
	global_load_b64 v[18:19], v[12:13], off
	s_wait_loadcnt 0x0
	v_subrev_nc_u32_e32 v0, s12, v18
	v_subrev_nc_u32_e32 v28, s12, v19
	s_delay_alu instid0(VALU_DEP_2) | instskip(NEXT) | instid1(VALU_DEP_1)
	v_add_nc_u32_e32 v29, v0, v11
	v_cmp_lt_i32_e64 s2, v29, v28
	s_cbranch_scc0 .LBB286_12
; %bb.5:
	v_mov_b64_e32 v[0:1], 0
	v_mov_b64_e32 v[14:15], 0
	;; [unrolled: 1-line block ×4, first 2 shown]
	s_and_saveexec_b32 s3, s2
	s_cbranch_execz .LBB286_14
; %bb.6:
	v_mul_u32_u24_e32 v0, 26, v11
	v_mul_lo_u32 v19, v29, 26
	s_mul_i32 s4, s12, 26
	v_mov_b64_e32 v[14:15], 0
	v_mov_b64_e32 v[16:17], 0
	v_mad_u32 v20, v18, 26, v0
	v_mov_b64_e32 v[0:1], 0
	v_mov_b64_e32 v[12:13], 0
	v_mov_b32_e32 v31, v29
	s_delay_alu instid0(VALU_DEP_4)
	v_subrev_nc_u32_e32 v30, s4, v20
	s_mov_b32 s4, 0
	s_branch .LBB286_8
.LBB286_7:                              ;   in Loop: Header=BB286_8 Depth=1
	v_add_nc_u32_e32 v31, 32, v31
	v_add_nc_u32_e32 v19, 0x340, v19
	;; [unrolled: 1-line block ×3, first 2 shown]
	s_delay_alu instid0(VALU_DEP_3) | instskip(SKIP_1) | instid1(SALU_CYCLE_1)
	v_cmp_ge_i32_e32 vcc_lo, v31, v28
	s_or_b32 s4, vcc_lo, s4
	s_and_not1_b32 exec_lo, exec_lo, s4
	s_cbranch_execz .LBB286_13
.LBB286_8:                              ; =>This Loop Header: Depth=1
                                        ;     Child Loop BB286_10 Depth 2
	global_load_b32 v20, v31, s[6:7] scale_offset
	v_mov_b64_e32 v[24:25], v[14:15]
	v_mov_b64_e32 v[26:27], v[16:17]
	v_mov_b64_e32 v[22:23], v[12:13]
	s_mov_b32 s5, 0
	s_wait_loadcnt 0x0
	v_subrev_nc_u32_e32 v20, s12, v20
	s_delay_alu instid0(VALU_DEP_1)
	v_mul_lo_u32 v32, v20, 13
	v_mov_b64_e32 v[20:21], v[0:1]
	s_branch .LBB286_10
.LBB286_9:                              ;   in Loop: Header=BB286_8 Depth=1
                                        ; implicit-def: $vgpr22_vgpr23
                                        ; implicit-def: $vgpr26_vgpr27
                                        ; implicit-def: $vgpr24_vgpr25
                                        ; implicit-def: $vgpr20_vgpr21
                                        ; implicit-def: $sgpr5
                                        ; implicit-def: $vgpr32
	s_branch .LBB286_7
.LBB286_10:                             ;   Parent Loop BB286_8 Depth=1
                                        ; =>  This Inner Loop Header: Depth=2
	v_add_nc_u32_e32 v0, s5, v30
	s_cmp_eq_u32 s5, 24
	global_load_b128 v[34:37], v32, s[10:11] scale_offset
	s_clause 0x1
	global_load_b128 v[38:41], v0, s[8:9] scale_offset
	global_load_b128 v[42:45], v0, s[8:9] offset:16 scale_offset
	s_wait_loadcnt 0x1
	v_fmac_f64_e32 v[20:21], v[40:41], v[34:35]
	s_wait_loadcnt 0x0
	v_fmac_f64_e32 v[22:23], v[44:45], v[34:35]
	v_fmac_f64_e32 v[24:25], v[38:39], v[34:35]
	;; [unrolled: 1-line block ×3, first 2 shown]
	s_delay_alu instid0(VALU_DEP_4) | instskip(NEXT) | instid1(VALU_DEP_4)
	v_mov_b64_e32 v[0:1], v[20:21]
	v_mov_b64_e32 v[12:13], v[22:23]
	s_delay_alu instid0(VALU_DEP_4) | instskip(NEXT) | instid1(VALU_DEP_4)
	v_fma_f64 v[14:15], -v[40:41], v[36:37], v[24:25]
	v_fma_f64 v[16:17], -v[44:45], v[36:37], v[26:27]
	s_delay_alu instid0(VALU_DEP_4) | instskip(NEXT) | instid1(VALU_DEP_4)
	v_fmac_f64_e32 v[0:1], v[38:39], v[36:37]
	v_fmac_f64_e32 v[12:13], v[42:43], v[36:37]
	s_cbranch_scc1 .LBB286_9
; %bb.11:                               ;   in Loop: Header=BB286_10 Depth=2
	v_dual_add_nc_u32 v20, s5, v19 :: v_dual_add_nc_u32 v21, 1, v32
	s_add_co_i32 s5, s5, 8
	s_delay_alu instid0(VALU_DEP_1)
	v_add_nc_u32_e32 v26, 2, v20
	global_load_b128 v[22:25], v21, s[10:11] scale_offset
	s_clause 0x1
	global_load_b128 v[34:37], v26, s[8:9] scale_offset
	global_load_b128 v[38:41], v26, s[8:9] offset:16 scale_offset
	s_wait_xcnt 0x2
	v_add_nc_u32_e32 v21, 2, v32
	s_wait_xcnt 0x0
	v_dual_add_nc_u32 v26, 4, v20 :: v_dual_add_nc_u32 v20, 6, v20
	global_load_b128 v[42:45], v21, s[10:11] scale_offset
	s_clause 0x1
	global_load_b128 v[46:49], v26, s[8:9] scale_offset
	global_load_b128 v[50:53], v26, s[8:9] offset:16 scale_offset
	s_wait_xcnt 0x2
	v_dual_add_nc_u32 v21, 3, v32 :: v_dual_add_nc_u32 v32, 4, v32
	s_wait_loadcnt 0x4
	s_wait_xcnt 0x0
	v_fma_f64 v[26:27], v[34:35], v[22:23], v[14:15]
	s_wait_loadcnt 0x3
	v_fma_f64 v[66:67], v[38:39], v[22:23], v[16:17]
	global_load_b128 v[54:57], v21, s[10:11] scale_offset
	s_clause 0x1
	global_load_b128 v[58:61], v20, s[8:9] scale_offset
	global_load_b128 v[62:65], v20, s[8:9] offset:16 scale_offset
	s_wait_xcnt 0x0
	v_fma_f64 v[20:21], v[36:37], v[22:23], v[0:1]
	v_fma_f64 v[22:23], v[40:41], v[22:23], v[12:13]
	v_fma_f64 v[26:27], -v[36:37], v[24:25], v[26:27]
	s_delay_alu instid0(VALU_DEP_3) | instskip(SKIP_1) | instid1(VALU_DEP_4)
	v_fmac_f64_e32 v[20:21], v[34:35], v[24:25]
	v_fma_f64 v[34:35], -v[40:41], v[24:25], v[66:67]
	v_fmac_f64_e32 v[22:23], v[38:39], v[24:25]
	s_wait_loadcnt 0x4
	s_delay_alu instid0(VALU_DEP_4) | instskip(NEXT) | instid1(VALU_DEP_4)
	v_fmac_f64_e32 v[26:27], v[46:47], v[42:43]
	v_fmac_f64_e32 v[20:21], v[48:49], v[42:43]
	s_wait_loadcnt 0x3
	s_delay_alu instid0(VALU_DEP_4) | instskip(NEXT) | instid1(VALU_DEP_4)
	v_fmac_f64_e32 v[34:35], v[50:51], v[42:43]
	v_fmac_f64_e32 v[22:23], v[52:53], v[42:43]
	s_delay_alu instid0(VALU_DEP_4) | instskip(NEXT) | instid1(VALU_DEP_4)
	v_fma_f64 v[24:25], -v[48:49], v[44:45], v[26:27]
	v_fmac_f64_e32 v[20:21], v[46:47], v[44:45]
	s_delay_alu instid0(VALU_DEP_4) | instskip(NEXT) | instid1(VALU_DEP_4)
	v_fma_f64 v[26:27], -v[52:53], v[44:45], v[34:35]
	v_fmac_f64_e32 v[22:23], v[50:51], v[44:45]
	s_wait_loadcnt 0x1
	s_delay_alu instid0(VALU_DEP_4) | instskip(NEXT) | instid1(VALU_DEP_4)
	v_fmac_f64_e32 v[24:25], v[58:59], v[54:55]
	v_fmac_f64_e32 v[20:21], v[60:61], v[54:55]
	s_wait_loadcnt 0x0
	s_delay_alu instid0(VALU_DEP_4) | instskip(NEXT) | instid1(VALU_DEP_4)
	v_fmac_f64_e32 v[26:27], v[62:63], v[54:55]
	v_fmac_f64_e32 v[22:23], v[64:65], v[54:55]
	s_delay_alu instid0(VALU_DEP_4) | instskip(NEXT) | instid1(VALU_DEP_4)
	v_fma_f64 v[24:25], -v[60:61], v[56:57], v[24:25]
	v_fmac_f64_e32 v[20:21], v[58:59], v[56:57]
	s_delay_alu instid0(VALU_DEP_4) | instskip(NEXT) | instid1(VALU_DEP_4)
	v_fma_f64 v[26:27], -v[64:65], v[56:57], v[26:27]
	v_fmac_f64_e32 v[22:23], v[62:63], v[56:57]
	s_cbranch_execnz .LBB286_10
	s_branch .LBB286_7
.LBB286_12:
                                        ; implicit-def: $vgpr0_vgpr1
                                        ; implicit-def: $vgpr14_vgpr15
                                        ; implicit-def: $vgpr16_vgpr17
                                        ; implicit-def: $vgpr12_vgpr13
	s_branch .LBB286_15
.LBB286_13:
	s_or_b32 exec_lo, exec_lo, s4
.LBB286_14:
	s_delay_alu instid0(SALU_CYCLE_1)
	s_or_b32 exec_lo, exec_lo, s3
	s_cbranch_execnz .LBB286_24
.LBB286_15:
	v_mov_b64_e32 v[0:1], 0
	v_mov_b64_e32 v[14:15], 0
	;; [unrolled: 1-line block ×4, first 2 shown]
	s_and_saveexec_b32 s3, s2
	s_cbranch_execz .LBB286_23
; %bb.16:
	v_mul_u32_u24_e32 v0, 26, v11
	v_mul_lo_u32 v26, v29, 26
	s_mul_i32 s2, s12, 26
	v_mov_b64_e32 v[14:15], 0
	v_mov_b64_e32 v[16:17], 0
	v_mad_u32 v18, v18, 26, v0
	v_mov_b64_e32 v[0:1], 0
	v_mov_b64_e32 v[12:13], 0
	s_delay_alu instid0(VALU_DEP_3)
	v_subrev_nc_u32_e32 v27, s2, v18
	s_mov_b32 s2, 0
	s_branch .LBB286_18
.LBB286_17:                             ;   in Loop: Header=BB286_18 Depth=1
	v_add_nc_u32_e32 v29, 32, v29
	v_add_nc_u32_e32 v26, 0x340, v26
	;; [unrolled: 1-line block ×3, first 2 shown]
	s_delay_alu instid0(VALU_DEP_3) | instskip(SKIP_1) | instid1(SALU_CYCLE_1)
	v_cmp_ge_i32_e32 vcc_lo, v29, v28
	s_or_b32 s2, vcc_lo, s2
	s_and_not1_b32 exec_lo, exec_lo, s2
	s_cbranch_execz .LBB286_22
.LBB286_18:                             ; =>This Loop Header: Depth=1
                                        ;     Child Loop BB286_20 Depth 2
	global_load_b32 v18, v29, s[6:7] scale_offset
	v_mov_b64_e32 v[22:23], v[14:15]
	v_mov_b64_e32 v[24:25], v[16:17]
	;; [unrolled: 1-line block ×3, first 2 shown]
	s_mov_b32 s4, 0
	s_wait_loadcnt 0x0
	v_subrev_nc_u32_e32 v18, s12, v18
	s_delay_alu instid0(VALU_DEP_1)
	v_mul_lo_u32 v30, v18, 13
	v_mov_b64_e32 v[18:19], v[0:1]
	s_branch .LBB286_20
.LBB286_19:                             ;   in Loop: Header=BB286_20 Depth=2
	s_and_not1_b32 vcc_lo, exec_lo, s5
	s_cbranch_vccz .LBB286_17
.LBB286_20:                             ;   Parent Loop BB286_18 Depth=1
                                        ; =>  This Inner Loop Header: Depth=2
	v_dual_add_nc_u32 v31, s4, v26 :: v_dual_add_nc_u32 v0, s4, v27
	s_delay_alu instid0(VALU_DEP_3) | instskip(SKIP_2) | instid1(VALU_DEP_2)
	v_add_nc_u32_e32 v32, s4, v30
	s_cmp_eq_u32 s4, 12
	s_mov_b32 s5, -1
	v_add_nc_u32_e32 v1, 13, v31
	global_load_b128 v[34:37], v32, s[10:11] scale_offset
	s_clause 0x1
	global_load_b128 v[38:41], v0, s[8:9] scale_offset
	global_load_b128 v[42:45], v1, s[8:9] scale_offset
	s_wait_loadcnt 0x1
	v_fmac_f64_e32 v[18:19], v[40:41], v[34:35]
	s_wait_loadcnt 0x0
	v_fmac_f64_e32 v[20:21], v[44:45], v[34:35]
	v_fmac_f64_e32 v[22:23], v[38:39], v[34:35]
	;; [unrolled: 1-line block ×3, first 2 shown]
	s_delay_alu instid0(VALU_DEP_4) | instskip(NEXT) | instid1(VALU_DEP_4)
	v_mov_b64_e32 v[0:1], v[18:19]
	v_mov_b64_e32 v[12:13], v[20:21]
	s_delay_alu instid0(VALU_DEP_4) | instskip(NEXT) | instid1(VALU_DEP_4)
	v_fma_f64 v[14:15], -v[40:41], v[36:37], v[22:23]
	v_fma_f64 v[16:17], -v[44:45], v[36:37], v[24:25]
                                        ; implicit-def: $vgpr20_vgpr21
                                        ; implicit-def: $vgpr24_vgpr25
                                        ; implicit-def: $vgpr22_vgpr23
                                        ; implicit-def: $vgpr18_vgpr19
	s_delay_alu instid0(VALU_DEP_4) | instskip(NEXT) | instid1(VALU_DEP_4)
	v_fmac_f64_e32 v[0:1], v[38:39], v[36:37]
	v_fmac_f64_e32 v[12:13], v[42:43], v[36:37]
	s_cbranch_scc1 .LBB286_19
; %bb.21:                               ;   in Loop: Header=BB286_20 Depth=2
	v_dual_add_nc_u32 v18, 1, v31 :: v_dual_add_nc_u32 v19, 1, v32
	v_add_nc_u32_e32 v20, 14, v31
	s_add_co_i32 s4, s4, 4
	s_mov_b32 s5, 0
	global_load_b128 v[22:25], v18, s[8:9] scale_offset
	global_load_b128 v[34:37], v19, s[10:11] scale_offset
	;; [unrolled: 1-line block ×3, first 2 shown]
	s_wait_xcnt 0x1
	v_dual_add_nc_u32 v18, 2, v31 :: v_dual_add_nc_u32 v19, 2, v32
	global_load_b128 v[42:45], v18, s[8:9] scale_offset
	global_load_b128 v[46:49], v19, s[10:11] scale_offset
	global_load_b128 v[50:53], v20, s[8:9] offset:16 scale_offset
	s_wait_xcnt 0x0
	v_dual_add_nc_u32 v19, 3, v32 :: v_dual_add_nc_u32 v20, 16, v31
	s_wait_loadcnt 0x4
	v_fma_f64 v[32:33], v[22:23], v[34:35], v[14:15]
	global_load_b128 v[54:57], v18, s[8:9] offset:16 scale_offset
	global_load_b128 v[58:61], v19, s[10:11] scale_offset
	global_load_b128 v[62:65], v20, s[8:9] scale_offset
	s_wait_xcnt 0x1
	v_fma_f64 v[18:19], v[24:25], v[34:35], v[0:1]
	s_wait_loadcnt 0x6
	v_fma_f64 v[66:67], v[38:39], v[34:35], v[16:17]
	s_wait_xcnt 0x0
	v_fma_f64 v[20:21], v[40:41], v[34:35], v[12:13]
	v_fma_f64 v[24:25], -v[24:25], v[36:37], v[32:33]
	s_delay_alu instid0(VALU_DEP_4) | instskip(NEXT) | instid1(VALU_DEP_4)
	v_fmac_f64_e32 v[18:19], v[22:23], v[36:37]
	v_fma_f64 v[22:23], -v[40:41], v[36:37], v[66:67]
	s_delay_alu instid0(VALU_DEP_4) | instskip(SKIP_1) | instid1(VALU_DEP_4)
	v_fmac_f64_e32 v[20:21], v[38:39], v[36:37]
	s_wait_loadcnt 0x4
	v_fmac_f64_e32 v[24:25], v[42:43], v[46:47]
	s_delay_alu instid0(VALU_DEP_4) | instskip(SKIP_1) | instid1(VALU_DEP_4)
	v_fmac_f64_e32 v[18:19], v[44:45], v[46:47]
	s_wait_loadcnt 0x3
	v_fmac_f64_e32 v[22:23], v[50:51], v[46:47]
	s_delay_alu instid0(VALU_DEP_4) | instskip(NEXT) | instid1(VALU_DEP_4)
	v_fmac_f64_e32 v[20:21], v[52:53], v[46:47]
	v_fma_f64 v[24:25], -v[44:45], v[48:49], v[24:25]
	s_delay_alu instid0(VALU_DEP_4) | instskip(NEXT) | instid1(VALU_DEP_4)
	v_fmac_f64_e32 v[18:19], v[42:43], v[48:49]
	v_fma_f64 v[32:33], -v[52:53], v[48:49], v[22:23]
	s_delay_alu instid0(VALU_DEP_4) | instskip(SKIP_1) | instid1(VALU_DEP_4)
	v_fmac_f64_e32 v[20:21], v[50:51], v[48:49]
	s_wait_loadcnt 0x1
	v_fmac_f64_e32 v[24:25], v[54:55], v[58:59]
	s_delay_alu instid0(VALU_DEP_4) | instskip(SKIP_1) | instid1(VALU_DEP_4)
	v_fmac_f64_e32 v[18:19], v[56:57], v[58:59]
	s_wait_loadcnt 0x0
	v_fmac_f64_e32 v[32:33], v[62:63], v[58:59]
	s_delay_alu instid0(VALU_DEP_4) | instskip(NEXT) | instid1(VALU_DEP_4)
	v_fmac_f64_e32 v[20:21], v[64:65], v[58:59]
	v_fma_f64 v[22:23], -v[56:57], v[60:61], v[24:25]
	s_delay_alu instid0(VALU_DEP_4) | instskip(NEXT) | instid1(VALU_DEP_4)
	v_fmac_f64_e32 v[18:19], v[54:55], v[60:61]
	v_fma_f64 v[24:25], -v[64:65], v[60:61], v[32:33]
	s_delay_alu instid0(VALU_DEP_4)
	v_fmac_f64_e32 v[20:21], v[62:63], v[60:61]
	s_branch .LBB286_19
.LBB286_22:
	s_or_b32 exec_lo, exec_lo, s2
.LBB286_23:
	s_delay_alu instid0(SALU_CYCLE_1)
	s_or_b32 exec_lo, exec_lo, s3
.LBB286_24:
	v_mbcnt_lo_u32_b32 v28, -1, 0
	s_delay_alu instid0(VALU_DEP_1) | instskip(NEXT) | instid1(VALU_DEP_1)
	v_xor_b32_e32 v18, 16, v28
	v_cmp_gt_i32_e32 vcc_lo, 32, v18
	v_cndmask_b32_e32 v18, v28, v18, vcc_lo
	s_delay_alu instid0(VALU_DEP_1)
	v_lshlrev_b32_e32 v25, 2, v18
	ds_bpermute_b32 v20, v25, v0
	ds_bpermute_b32 v21, v25, v1
	s_wait_dscnt 0x0
	v_add_f64_e32 v[0:1], v[0:1], v[20:21]
	ds_bpermute_b32 v18, v25, v14
	ds_bpermute_b32 v19, v25, v15
	;; [unrolled: 1-line block ×6, first 2 shown]
	s_wait_dscnt 0x4
	v_dual_add_f64 v[14:15], v[14:15], v[18:19] :: v_dual_bitop2_b32 v18, 8, v28 bitop3:0x14
	s_wait_dscnt 0x2
	v_add_f64_e32 v[16:17], v[16:17], v[22:23]
	s_delay_alu instid0(VALU_DEP_2) | instskip(SKIP_2) | instid1(VALU_DEP_1)
	v_cmp_gt_i32_e32 vcc_lo, 32, v18
	v_cndmask_b32_e32 v18, v28, v18, vcc_lo
	s_wait_dscnt 0x0
	v_dual_add_f64 v[12:13], v[12:13], v[24:25] :: v_dual_lshlrev_b32 v25, 2, v18
	ds_bpermute_b32 v20, v25, v0
	ds_bpermute_b32 v21, v25, v1
	ds_bpermute_b32 v18, v25, v14
	ds_bpermute_b32 v19, v25, v15
	ds_bpermute_b32 v22, v25, v16
	ds_bpermute_b32 v23, v25, v17
	ds_bpermute_b32 v24, v25, v12
	ds_bpermute_b32 v25, v25, v13
	s_wait_dscnt 0x4
	v_dual_add_f64 v[14:15], v[14:15], v[18:19] :: v_dual_bitop2_b32 v18, 4, v28 bitop3:0x14
	s_wait_dscnt 0x2
	v_add_f64_e32 v[16:17], v[16:17], v[22:23]
	s_delay_alu instid0(VALU_DEP_2) | instskip(SKIP_3) | instid1(VALU_DEP_2)
	v_cmp_gt_i32_e32 vcc_lo, 32, v18
	v_cndmask_b32_e32 v18, v28, v18, vcc_lo
	v_add_f64_e32 v[0:1], v[0:1], v[20:21]
	s_wait_dscnt 0x0
	v_dual_add_f64 v[12:13], v[12:13], v[24:25] :: v_dual_lshlrev_b32 v25, 2, v18
	ds_bpermute_b32 v18, v25, v14
	ds_bpermute_b32 v19, v25, v15
	;; [unrolled: 1-line block ×8, first 2 shown]
	s_wait_dscnt 0x6
	v_add_f64_e32 v[14:15], v[14:15], v[18:19]
	s_wait_dscnt 0x2
	v_add_f64_e32 v[18:19], v[0:1], v[20:21]
	v_add_f64_e32 v[20:21], v[16:17], v[22:23]
	s_wait_dscnt 0x0
	v_add_f64_e32 v[22:23], v[12:13], v[24:25]
	v_xor_b32_e32 v0, 2, v28
	s_delay_alu instid0(VALU_DEP_1) | instskip(SKIP_1) | instid1(VALU_DEP_1)
	v_cmp_gt_i32_e32 vcc_lo, 32, v0
	v_cndmask_b32_e32 v0, v28, v0, vcc_lo
	v_lshlrev_b32_e32 v16, 2, v0
	ds_bpermute_b32 v0, v16, v14
	ds_bpermute_b32 v1, v16, v15
	;; [unrolled: 1-line block ×8, first 2 shown]
	s_wait_dscnt 0x4
	v_add_f64_e32 v[16:17], v[18:19], v[12:13]
	v_xor_b32_e32 v18, 1, v28
	s_wait_dscnt 0x2
	v_add_f64_e32 v[12:13], v[20:21], v[24:25]
	s_delay_alu instid0(VALU_DEP_2)
	v_cmp_gt_i32_e32 vcc_lo, 32, v18
	v_add_f64_e32 v[0:1], v[14:15], v[0:1]
	s_wait_dscnt 0x0
	v_add_f64_e32 v[14:15], v[22:23], v[26:27]
	v_cndmask_b32_e32 v18, v28, v18, vcc_lo
	v_cmp_eq_u32_e32 vcc_lo, 31, v11
	s_delay_alu instid0(VALU_DEP_2)
	v_lshlrev_b32_e32 v21, 2, v18
	ds_bpermute_b32 v22, v21, v16
	ds_bpermute_b32 v23, v21, v17
	;; [unrolled: 1-line block ×8, first 2 shown]
	s_and_b32 exec_lo, exec_lo, vcc_lo
	s_cbranch_execz .LBB286_29
; %bb.25:
	v_cmp_eq_f64_e32 vcc_lo, 0, v[6:7]
	v_cmp_eq_f64_e64 s2, 0, v[8:9]
	s_wait_dscnt 0x2
	v_add_f64_e32 v[0:1], v[0:1], v[24:25]
	v_add_f64_e32 v[16:17], v[16:17], v[22:23]
	v_add_f64_e32 v[12:13], v[12:13], v[18:19]
	s_wait_dscnt 0x0
	v_add_f64_e32 v[14:15], v[14:15], v[20:21]
	s_load_b64 s[0:1], s[0:1], 0x48
	s_and_b32 s2, vcc_lo, s2
	s_delay_alu instid0(SALU_CYCLE_1) | instskip(NEXT) | instid1(SALU_CYCLE_1)
	s_and_saveexec_b32 s3, s2
	s_xor_b32 s2, exec_lo, s3
	s_cbranch_execz .LBB286_27
; %bb.26:
	s_delay_alu instid0(VALU_DEP_3) | instskip(SKIP_1) | instid1(VALU_DEP_3)
	v_mul_f64_e64 v[6:7], v[16:17], -v[4:5]
	v_mul_f64_e32 v[8:9], v[2:3], v[16:17]
	v_mul_f64_e64 v[16:17], v[14:15], -v[4:5]
	v_mul_f64_e32 v[18:19], v[2:3], v[14:15]
                                        ; implicit-def: $vgpr14_vgpr15
	s_delay_alu instid0(VALU_DEP_4) | instskip(NEXT) | instid1(VALU_DEP_4)
	v_fmac_f64_e32 v[6:7], v[2:3], v[0:1]
	v_fmac_f64_e32 v[8:9], v[4:5], v[0:1]
	s_delay_alu instid0(VALU_DEP_4) | instskip(NEXT) | instid1(VALU_DEP_4)
	v_fmac_f64_e32 v[16:17], v[2:3], v[12:13]
	v_fmac_f64_e32 v[18:19], v[4:5], v[12:13]
	v_lshlrev_b32_e32 v0, 1, v10
                                        ; implicit-def: $vgpr10
                                        ; implicit-def: $vgpr12_vgpr13
                                        ; implicit-def: $vgpr4_vgpr5
	s_wait_kmcnt 0x0
	s_clause 0x1
	global_store_b128 v0, v[6:9], s[0:1] scale_offset
	global_store_b128 v0, v[16:19], s[0:1] offset:16 scale_offset
                                        ; implicit-def: $vgpr0_vgpr1
                                        ; implicit-def: $vgpr16_vgpr17
                                        ; implicit-def: $vgpr8_vgpr9
.LBB286_27:
	s_wait_xcnt 0x0
	s_and_not1_saveexec_b32 s2, s2
	s_cbranch_execz .LBB286_29
; %bb.28:
	s_delay_alu instid0(VALU_DEP_3) | instskip(SKIP_1) | instid1(VALU_DEP_3)
	v_dual_mul_f64 v[26:27], v[16:17], -v[4:5] :: v_dual_lshlrev_b32 v30, 1, v10
	v_mul_f64_e32 v[16:17], v[2:3], v[16:17]
	v_mul_f64_e64 v[28:29], v[14:15], -v[4:5]
	v_mul_f64_e32 v[10:11], v[2:3], v[14:15]
	s_wait_kmcnt 0x0
	s_clause 0x1
	global_load_b128 v[18:21], v30, s[0:1] scale_offset
	global_load_b128 v[22:25], v30, s[0:1] offset:16 scale_offset
	v_fmac_f64_e32 v[26:27], v[2:3], v[0:1]
	v_fmac_f64_e32 v[16:17], v[4:5], v[0:1]
	;; [unrolled: 1-line block ×4, first 2 shown]
	s_wait_loadcnt 0x1
	s_delay_alu instid0(VALU_DEP_4) | instskip(NEXT) | instid1(VALU_DEP_4)
	v_fmac_f64_e32 v[26:27], v[6:7], v[18:19]
	v_fmac_f64_e32 v[16:17], v[8:9], v[18:19]
	s_wait_loadcnt 0x0
	s_delay_alu instid0(VALU_DEP_4) | instskip(NEXT) | instid1(VALU_DEP_4)
	v_fmac_f64_e32 v[28:29], v[6:7], v[22:23]
	v_fmac_f64_e32 v[10:11], v[8:9], v[22:23]
	s_delay_alu instid0(VALU_DEP_4) | instskip(NEXT) | instid1(VALU_DEP_4)
	v_fma_f64 v[14:15], -v[8:9], v[20:21], v[26:27]
	v_fmac_f64_e32 v[16:17], v[6:7], v[20:21]
	s_delay_alu instid0(VALU_DEP_4) | instskip(NEXT) | instid1(VALU_DEP_4)
	v_fma_f64 v[8:9], -v[8:9], v[24:25], v[28:29]
	v_fmac_f64_e32 v[10:11], v[6:7], v[24:25]
	s_clause 0x1
	global_store_b128 v30, v[14:17], s[0:1] scale_offset
	global_store_b128 v30, v[8:11], s[0:1] offset:16 scale_offset
.LBB286_29:
	s_sendmsg sendmsg(MSG_DEALLOC_VGPRS)
	s_endpgm
	.section	.rodata,"a",@progbits
	.p2align	6, 0x0
	.amdhsa_kernel _ZN9rocsparseL19gebsrmvn_2xn_kernelILj128ELj13ELj32E21rocsparse_complex_numIdEEEvi20rocsparse_direction_NS_24const_host_device_scalarIT2_EEPKiS8_PKS5_SA_S6_PS5_21rocsparse_index_base_b
		.amdhsa_group_segment_fixed_size 0
		.amdhsa_private_segment_fixed_size 0
		.amdhsa_kernarg_size 88
		.amdhsa_user_sgpr_count 2
		.amdhsa_user_sgpr_dispatch_ptr 0
		.amdhsa_user_sgpr_queue_ptr 0
		.amdhsa_user_sgpr_kernarg_segment_ptr 1
		.amdhsa_user_sgpr_dispatch_id 0
		.amdhsa_user_sgpr_kernarg_preload_length 0
		.amdhsa_user_sgpr_kernarg_preload_offset 0
		.amdhsa_user_sgpr_private_segment_size 0
		.amdhsa_wavefront_size32 1
		.amdhsa_uses_dynamic_stack 0
		.amdhsa_enable_private_segment 0
		.amdhsa_system_sgpr_workgroup_id_x 1
		.amdhsa_system_sgpr_workgroup_id_y 0
		.amdhsa_system_sgpr_workgroup_id_z 0
		.amdhsa_system_sgpr_workgroup_info 0
		.amdhsa_system_vgpr_workitem_id 0
		.amdhsa_next_free_vgpr 68
		.amdhsa_next_free_sgpr 14
		.amdhsa_named_barrier_count 0
		.amdhsa_reserve_vcc 1
		.amdhsa_float_round_mode_32 0
		.amdhsa_float_round_mode_16_64 0
		.amdhsa_float_denorm_mode_32 3
		.amdhsa_float_denorm_mode_16_64 3
		.amdhsa_fp16_overflow 0
		.amdhsa_memory_ordered 1
		.amdhsa_forward_progress 1
		.amdhsa_inst_pref_size 22
		.amdhsa_round_robin_scheduling 0
		.amdhsa_exception_fp_ieee_invalid_op 0
		.amdhsa_exception_fp_denorm_src 0
		.amdhsa_exception_fp_ieee_div_zero 0
		.amdhsa_exception_fp_ieee_overflow 0
		.amdhsa_exception_fp_ieee_underflow 0
		.amdhsa_exception_fp_ieee_inexact 0
		.amdhsa_exception_int_div_zero 0
	.end_amdhsa_kernel
	.section	.text._ZN9rocsparseL19gebsrmvn_2xn_kernelILj128ELj13ELj32E21rocsparse_complex_numIdEEEvi20rocsparse_direction_NS_24const_host_device_scalarIT2_EEPKiS8_PKS5_SA_S6_PS5_21rocsparse_index_base_b,"axG",@progbits,_ZN9rocsparseL19gebsrmvn_2xn_kernelILj128ELj13ELj32E21rocsparse_complex_numIdEEEvi20rocsparse_direction_NS_24const_host_device_scalarIT2_EEPKiS8_PKS5_SA_S6_PS5_21rocsparse_index_base_b,comdat
.Lfunc_end286:
	.size	_ZN9rocsparseL19gebsrmvn_2xn_kernelILj128ELj13ELj32E21rocsparse_complex_numIdEEEvi20rocsparse_direction_NS_24const_host_device_scalarIT2_EEPKiS8_PKS5_SA_S6_PS5_21rocsparse_index_base_b, .Lfunc_end286-_ZN9rocsparseL19gebsrmvn_2xn_kernelILj128ELj13ELj32E21rocsparse_complex_numIdEEEvi20rocsparse_direction_NS_24const_host_device_scalarIT2_EEPKiS8_PKS5_SA_S6_PS5_21rocsparse_index_base_b
                                        ; -- End function
	.set _ZN9rocsparseL19gebsrmvn_2xn_kernelILj128ELj13ELj32E21rocsparse_complex_numIdEEEvi20rocsparse_direction_NS_24const_host_device_scalarIT2_EEPKiS8_PKS5_SA_S6_PS5_21rocsparse_index_base_b.num_vgpr, 68
	.set _ZN9rocsparseL19gebsrmvn_2xn_kernelILj128ELj13ELj32E21rocsparse_complex_numIdEEEvi20rocsparse_direction_NS_24const_host_device_scalarIT2_EEPKiS8_PKS5_SA_S6_PS5_21rocsparse_index_base_b.num_agpr, 0
	.set _ZN9rocsparseL19gebsrmvn_2xn_kernelILj128ELj13ELj32E21rocsparse_complex_numIdEEEvi20rocsparse_direction_NS_24const_host_device_scalarIT2_EEPKiS8_PKS5_SA_S6_PS5_21rocsparse_index_base_b.numbered_sgpr, 14
	.set _ZN9rocsparseL19gebsrmvn_2xn_kernelILj128ELj13ELj32E21rocsparse_complex_numIdEEEvi20rocsparse_direction_NS_24const_host_device_scalarIT2_EEPKiS8_PKS5_SA_S6_PS5_21rocsparse_index_base_b.num_named_barrier, 0
	.set _ZN9rocsparseL19gebsrmvn_2xn_kernelILj128ELj13ELj32E21rocsparse_complex_numIdEEEvi20rocsparse_direction_NS_24const_host_device_scalarIT2_EEPKiS8_PKS5_SA_S6_PS5_21rocsparse_index_base_b.private_seg_size, 0
	.set _ZN9rocsparseL19gebsrmvn_2xn_kernelILj128ELj13ELj32E21rocsparse_complex_numIdEEEvi20rocsparse_direction_NS_24const_host_device_scalarIT2_EEPKiS8_PKS5_SA_S6_PS5_21rocsparse_index_base_b.uses_vcc, 1
	.set _ZN9rocsparseL19gebsrmvn_2xn_kernelILj128ELj13ELj32E21rocsparse_complex_numIdEEEvi20rocsparse_direction_NS_24const_host_device_scalarIT2_EEPKiS8_PKS5_SA_S6_PS5_21rocsparse_index_base_b.uses_flat_scratch, 0
	.set _ZN9rocsparseL19gebsrmvn_2xn_kernelILj128ELj13ELj32E21rocsparse_complex_numIdEEEvi20rocsparse_direction_NS_24const_host_device_scalarIT2_EEPKiS8_PKS5_SA_S6_PS5_21rocsparse_index_base_b.has_dyn_sized_stack, 0
	.set _ZN9rocsparseL19gebsrmvn_2xn_kernelILj128ELj13ELj32E21rocsparse_complex_numIdEEEvi20rocsparse_direction_NS_24const_host_device_scalarIT2_EEPKiS8_PKS5_SA_S6_PS5_21rocsparse_index_base_b.has_recursion, 0
	.set _ZN9rocsparseL19gebsrmvn_2xn_kernelILj128ELj13ELj32E21rocsparse_complex_numIdEEEvi20rocsparse_direction_NS_24const_host_device_scalarIT2_EEPKiS8_PKS5_SA_S6_PS5_21rocsparse_index_base_b.has_indirect_call, 0
	.section	.AMDGPU.csdata,"",@progbits
; Kernel info:
; codeLenInByte = 2692
; TotalNumSgprs: 16
; NumVgprs: 68
; ScratchSize: 0
; MemoryBound: 0
; FloatMode: 240
; IeeeMode: 1
; LDSByteSize: 0 bytes/workgroup (compile time only)
; SGPRBlocks: 0
; VGPRBlocks: 4
; NumSGPRsForWavesPerEU: 16
; NumVGPRsForWavesPerEU: 68
; NamedBarCnt: 0
; Occupancy: 12
; WaveLimiterHint : 1
; COMPUTE_PGM_RSRC2:SCRATCH_EN: 0
; COMPUTE_PGM_RSRC2:USER_SGPR: 2
; COMPUTE_PGM_RSRC2:TRAP_HANDLER: 0
; COMPUTE_PGM_RSRC2:TGID_X_EN: 1
; COMPUTE_PGM_RSRC2:TGID_Y_EN: 0
; COMPUTE_PGM_RSRC2:TGID_Z_EN: 0
; COMPUTE_PGM_RSRC2:TIDIG_COMP_CNT: 0
	.section	.text._ZN9rocsparseL19gebsrmvn_2xn_kernelILj128ELj13ELj64E21rocsparse_complex_numIdEEEvi20rocsparse_direction_NS_24const_host_device_scalarIT2_EEPKiS8_PKS5_SA_S6_PS5_21rocsparse_index_base_b,"axG",@progbits,_ZN9rocsparseL19gebsrmvn_2xn_kernelILj128ELj13ELj64E21rocsparse_complex_numIdEEEvi20rocsparse_direction_NS_24const_host_device_scalarIT2_EEPKiS8_PKS5_SA_S6_PS5_21rocsparse_index_base_b,comdat
	.globl	_ZN9rocsparseL19gebsrmvn_2xn_kernelILj128ELj13ELj64E21rocsparse_complex_numIdEEEvi20rocsparse_direction_NS_24const_host_device_scalarIT2_EEPKiS8_PKS5_SA_S6_PS5_21rocsparse_index_base_b ; -- Begin function _ZN9rocsparseL19gebsrmvn_2xn_kernelILj128ELj13ELj64E21rocsparse_complex_numIdEEEvi20rocsparse_direction_NS_24const_host_device_scalarIT2_EEPKiS8_PKS5_SA_S6_PS5_21rocsparse_index_base_b
	.p2align	8
	.type	_ZN9rocsparseL19gebsrmvn_2xn_kernelILj128ELj13ELj64E21rocsparse_complex_numIdEEEvi20rocsparse_direction_NS_24const_host_device_scalarIT2_EEPKiS8_PKS5_SA_S6_PS5_21rocsparse_index_base_b,@function
_ZN9rocsparseL19gebsrmvn_2xn_kernelILj128ELj13ELj64E21rocsparse_complex_numIdEEEvi20rocsparse_direction_NS_24const_host_device_scalarIT2_EEPKiS8_PKS5_SA_S6_PS5_21rocsparse_index_base_b: ; @_ZN9rocsparseL19gebsrmvn_2xn_kernelILj128ELj13ELj64E21rocsparse_complex_numIdEEEvi20rocsparse_direction_NS_24const_host_device_scalarIT2_EEPKiS8_PKS5_SA_S6_PS5_21rocsparse_index_base_b
; %bb.0:
	s_clause 0x1
	s_load_b64 s[12:13], s[0:1], 0x50
	s_load_b64 s[2:3], s[0:1], 0x8
	v_mov_b32_e32 v1, 0
	s_add_nc_u64 s[4:5], s[0:1], 8
	s_load_b64 s[6:7], s[0:1], 0x38
	s_wait_kmcnt 0x0
	s_bitcmp1_b32 s13, 0
	s_cselect_b32 s3, s5, s3
	s_cselect_b32 s2, s4, s2
	flat_load_b128 v[2:5], v1, s[2:3]
	s_wait_xcnt 0x0
	s_add_nc_u64 s[2:3], s[0:1], 56
	s_delay_alu instid0(SALU_CYCLE_1)
	s_cselect_b32 s3, s3, s7
	s_cselect_b32 s2, s2, s6
	flat_load_b128 v[6:9], v1, s[2:3]
	s_wait_loadcnt_dscnt 0x101
	v_cmp_eq_f64_e32 vcc_lo, 0, v[2:3]
	s_wait_xcnt 0x0
	v_cmp_eq_f64_e64 s2, 0, v[4:5]
	s_and_b32 s4, vcc_lo, s2
	s_mov_b32 s2, -1
	s_and_saveexec_b32 s3, s4
	s_cbranch_execz .LBB287_2
; %bb.1:
	s_wait_loadcnt_dscnt 0x0
	v_cmp_neq_f64_e32 vcc_lo, 1.0, v[6:7]
	v_cmp_neq_f64_e64 s2, 0, v[8:9]
	s_or_b32 s2, vcc_lo, s2
	s_delay_alu instid0(SALU_CYCLE_1)
	s_or_not1_b32 s2, s2, exec_lo
.LBB287_2:
	s_or_b32 exec_lo, exec_lo, s3
	s_and_saveexec_b32 s3, s2
	s_cbranch_execz .LBB287_29
; %bb.3:
	s_load_b64 s[2:3], s[0:1], 0x0
	s_bfe_u32 s4, ttmp6, 0x4000c
	s_and_b32 s5, ttmp6, 15
	s_add_co_i32 s4, s4, 1
	s_getreg_b32 s6, hwreg(HW_REG_IB_STS2, 6, 4)
	s_mul_i32 s4, ttmp9, s4
	v_lshrrev_b32_e32 v1, 6, v0
	s_add_co_i32 s5, s5, s4
	s_cmp_eq_u32 s6, 0
	s_cselect_b32 s4, ttmp9, s5
	s_delay_alu instid0(VALU_DEP_1) | instid1(SALU_CYCLE_1)
	v_lshl_or_b32 v10, s4, 1, v1
	s_wait_kmcnt 0x0
	s_delay_alu instid0(VALU_DEP_1)
	v_cmp_gt_i32_e32 vcc_lo, s2, v10
	s_and_b32 exec_lo, exec_lo, vcc_lo
	s_cbranch_execz .LBB287_29
; %bb.4:
	s_load_b256 s[4:11], s[0:1], 0x18
	v_ashrrev_i32_e32 v11, 31, v10
	s_cmp_lg_u32 s3, 0
	s_wait_kmcnt 0x0
	s_delay_alu instid0(VALU_DEP_1)
	v_lshl_add_u64 v[12:13], v[10:11], 2, s[4:5]
	v_and_b32_e32 v11, 63, v0
	global_load_b64 v[18:19], v[12:13], off
	s_wait_loadcnt 0x0
	v_subrev_nc_u32_e32 v0, s12, v18
	v_subrev_nc_u32_e32 v28, s12, v19
	s_delay_alu instid0(VALU_DEP_2) | instskip(NEXT) | instid1(VALU_DEP_1)
	v_add_nc_u32_e32 v29, v0, v11
	v_cmp_lt_i32_e64 s2, v29, v28
	s_cbranch_scc0 .LBB287_12
; %bb.5:
	v_mov_b64_e32 v[0:1], 0
	v_mov_b64_e32 v[14:15], 0
	;; [unrolled: 1-line block ×4, first 2 shown]
	s_and_saveexec_b32 s3, s2
	s_cbranch_execz .LBB287_14
; %bb.6:
	v_mul_u32_u24_e32 v0, 26, v11
	v_mul_lo_u32 v19, v29, 26
	s_mul_i32 s4, s12, 26
	v_mov_b64_e32 v[14:15], 0
	v_mov_b64_e32 v[16:17], 0
	v_mad_u32 v20, v18, 26, v0
	v_mov_b64_e32 v[0:1], 0
	v_mov_b64_e32 v[12:13], 0
	v_mov_b32_e32 v31, v29
	s_delay_alu instid0(VALU_DEP_4)
	v_subrev_nc_u32_e32 v30, s4, v20
	s_mov_b32 s4, 0
	s_branch .LBB287_8
.LBB287_7:                              ;   in Loop: Header=BB287_8 Depth=1
	v_add_nc_u32_e32 v31, 64, v31
	v_add_nc_u32_e32 v19, 0x680, v19
	;; [unrolled: 1-line block ×3, first 2 shown]
	s_delay_alu instid0(VALU_DEP_3) | instskip(SKIP_1) | instid1(SALU_CYCLE_1)
	v_cmp_ge_i32_e32 vcc_lo, v31, v28
	s_or_b32 s4, vcc_lo, s4
	s_and_not1_b32 exec_lo, exec_lo, s4
	s_cbranch_execz .LBB287_13
.LBB287_8:                              ; =>This Loop Header: Depth=1
                                        ;     Child Loop BB287_10 Depth 2
	global_load_b32 v20, v31, s[6:7] scale_offset
	v_mov_b64_e32 v[24:25], v[14:15]
	v_mov_b64_e32 v[26:27], v[16:17]
	;; [unrolled: 1-line block ×3, first 2 shown]
	s_mov_b32 s5, 0
	s_wait_loadcnt 0x0
	v_subrev_nc_u32_e32 v20, s12, v20
	s_delay_alu instid0(VALU_DEP_1)
	v_mul_lo_u32 v32, v20, 13
	v_mov_b64_e32 v[20:21], v[0:1]
	s_branch .LBB287_10
.LBB287_9:                              ;   in Loop: Header=BB287_8 Depth=1
                                        ; implicit-def: $vgpr22_vgpr23
                                        ; implicit-def: $vgpr26_vgpr27
                                        ; implicit-def: $vgpr24_vgpr25
                                        ; implicit-def: $vgpr20_vgpr21
                                        ; implicit-def: $sgpr5
                                        ; implicit-def: $vgpr32
	s_branch .LBB287_7
.LBB287_10:                             ;   Parent Loop BB287_8 Depth=1
                                        ; =>  This Inner Loop Header: Depth=2
	v_add_nc_u32_e32 v0, s5, v30
	s_cmp_eq_u32 s5, 24
	global_load_b128 v[34:37], v32, s[10:11] scale_offset
	s_clause 0x1
	global_load_b128 v[38:41], v0, s[8:9] scale_offset
	global_load_b128 v[42:45], v0, s[8:9] offset:16 scale_offset
	s_wait_loadcnt 0x1
	v_fmac_f64_e32 v[20:21], v[40:41], v[34:35]
	s_wait_loadcnt 0x0
	v_fmac_f64_e32 v[22:23], v[44:45], v[34:35]
	v_fmac_f64_e32 v[24:25], v[38:39], v[34:35]
	;; [unrolled: 1-line block ×3, first 2 shown]
	s_delay_alu instid0(VALU_DEP_4) | instskip(NEXT) | instid1(VALU_DEP_4)
	v_mov_b64_e32 v[0:1], v[20:21]
	v_mov_b64_e32 v[12:13], v[22:23]
	s_delay_alu instid0(VALU_DEP_4) | instskip(NEXT) | instid1(VALU_DEP_4)
	v_fma_f64 v[14:15], -v[40:41], v[36:37], v[24:25]
	v_fma_f64 v[16:17], -v[44:45], v[36:37], v[26:27]
	s_delay_alu instid0(VALU_DEP_4) | instskip(NEXT) | instid1(VALU_DEP_4)
	v_fmac_f64_e32 v[0:1], v[38:39], v[36:37]
	v_fmac_f64_e32 v[12:13], v[42:43], v[36:37]
	s_cbranch_scc1 .LBB287_9
; %bb.11:                               ;   in Loop: Header=BB287_10 Depth=2
	v_dual_add_nc_u32 v20, s5, v19 :: v_dual_add_nc_u32 v21, 1, v32
	s_add_co_i32 s5, s5, 8
	s_delay_alu instid0(VALU_DEP_1)
	v_add_nc_u32_e32 v26, 2, v20
	global_load_b128 v[22:25], v21, s[10:11] scale_offset
	s_clause 0x1
	global_load_b128 v[34:37], v26, s[8:9] scale_offset
	global_load_b128 v[38:41], v26, s[8:9] offset:16 scale_offset
	s_wait_xcnt 0x2
	v_add_nc_u32_e32 v21, 2, v32
	s_wait_xcnt 0x0
	v_dual_add_nc_u32 v26, 4, v20 :: v_dual_add_nc_u32 v20, 6, v20
	global_load_b128 v[42:45], v21, s[10:11] scale_offset
	s_clause 0x1
	global_load_b128 v[46:49], v26, s[8:9] scale_offset
	global_load_b128 v[50:53], v26, s[8:9] offset:16 scale_offset
	s_wait_xcnt 0x2
	v_dual_add_nc_u32 v21, 3, v32 :: v_dual_add_nc_u32 v32, 4, v32
	s_wait_loadcnt 0x4
	s_wait_xcnt 0x0
	v_fma_f64 v[26:27], v[34:35], v[22:23], v[14:15]
	s_wait_loadcnt 0x3
	v_fma_f64 v[66:67], v[38:39], v[22:23], v[16:17]
	global_load_b128 v[54:57], v21, s[10:11] scale_offset
	s_clause 0x1
	global_load_b128 v[58:61], v20, s[8:9] scale_offset
	global_load_b128 v[62:65], v20, s[8:9] offset:16 scale_offset
	s_wait_xcnt 0x0
	v_fma_f64 v[20:21], v[36:37], v[22:23], v[0:1]
	v_fma_f64 v[22:23], v[40:41], v[22:23], v[12:13]
	v_fma_f64 v[26:27], -v[36:37], v[24:25], v[26:27]
	s_delay_alu instid0(VALU_DEP_3) | instskip(SKIP_1) | instid1(VALU_DEP_4)
	v_fmac_f64_e32 v[20:21], v[34:35], v[24:25]
	v_fma_f64 v[34:35], -v[40:41], v[24:25], v[66:67]
	v_fmac_f64_e32 v[22:23], v[38:39], v[24:25]
	s_wait_loadcnt 0x4
	s_delay_alu instid0(VALU_DEP_4) | instskip(NEXT) | instid1(VALU_DEP_4)
	v_fmac_f64_e32 v[26:27], v[46:47], v[42:43]
	v_fmac_f64_e32 v[20:21], v[48:49], v[42:43]
	s_wait_loadcnt 0x3
	s_delay_alu instid0(VALU_DEP_4) | instskip(NEXT) | instid1(VALU_DEP_4)
	v_fmac_f64_e32 v[34:35], v[50:51], v[42:43]
	v_fmac_f64_e32 v[22:23], v[52:53], v[42:43]
	s_delay_alu instid0(VALU_DEP_4) | instskip(NEXT) | instid1(VALU_DEP_4)
	v_fma_f64 v[24:25], -v[48:49], v[44:45], v[26:27]
	v_fmac_f64_e32 v[20:21], v[46:47], v[44:45]
	s_delay_alu instid0(VALU_DEP_4) | instskip(NEXT) | instid1(VALU_DEP_4)
	v_fma_f64 v[26:27], -v[52:53], v[44:45], v[34:35]
	v_fmac_f64_e32 v[22:23], v[50:51], v[44:45]
	s_wait_loadcnt 0x1
	s_delay_alu instid0(VALU_DEP_4) | instskip(NEXT) | instid1(VALU_DEP_4)
	v_fmac_f64_e32 v[24:25], v[58:59], v[54:55]
	v_fmac_f64_e32 v[20:21], v[60:61], v[54:55]
	s_wait_loadcnt 0x0
	s_delay_alu instid0(VALU_DEP_4) | instskip(NEXT) | instid1(VALU_DEP_4)
	v_fmac_f64_e32 v[26:27], v[62:63], v[54:55]
	v_fmac_f64_e32 v[22:23], v[64:65], v[54:55]
	s_delay_alu instid0(VALU_DEP_4) | instskip(NEXT) | instid1(VALU_DEP_4)
	v_fma_f64 v[24:25], -v[60:61], v[56:57], v[24:25]
	v_fmac_f64_e32 v[20:21], v[58:59], v[56:57]
	s_delay_alu instid0(VALU_DEP_4) | instskip(NEXT) | instid1(VALU_DEP_4)
	v_fma_f64 v[26:27], -v[64:65], v[56:57], v[26:27]
	v_fmac_f64_e32 v[22:23], v[62:63], v[56:57]
	s_cbranch_execnz .LBB287_10
	s_branch .LBB287_7
.LBB287_12:
                                        ; implicit-def: $vgpr0_vgpr1
                                        ; implicit-def: $vgpr14_vgpr15
                                        ; implicit-def: $vgpr16_vgpr17
                                        ; implicit-def: $vgpr12_vgpr13
	s_branch .LBB287_15
.LBB287_13:
	s_or_b32 exec_lo, exec_lo, s4
.LBB287_14:
	s_delay_alu instid0(SALU_CYCLE_1)
	s_or_b32 exec_lo, exec_lo, s3
	s_cbranch_execnz .LBB287_24
.LBB287_15:
	v_mov_b64_e32 v[0:1], 0
	v_mov_b64_e32 v[14:15], 0
	;; [unrolled: 1-line block ×4, first 2 shown]
	s_and_saveexec_b32 s3, s2
	s_cbranch_execz .LBB287_23
; %bb.16:
	v_mul_u32_u24_e32 v0, 26, v11
	v_mul_lo_u32 v26, v29, 26
	s_mul_i32 s2, s12, 26
	v_mov_b64_e32 v[14:15], 0
	v_mov_b64_e32 v[16:17], 0
	v_mad_u32 v18, v18, 26, v0
	v_mov_b64_e32 v[0:1], 0
	v_mov_b64_e32 v[12:13], 0
	s_delay_alu instid0(VALU_DEP_3)
	v_subrev_nc_u32_e32 v27, s2, v18
	s_mov_b32 s2, 0
	s_branch .LBB287_18
.LBB287_17:                             ;   in Loop: Header=BB287_18 Depth=1
	v_add_nc_u32_e32 v29, 64, v29
	v_add_nc_u32_e32 v26, 0x680, v26
	;; [unrolled: 1-line block ×3, first 2 shown]
	s_delay_alu instid0(VALU_DEP_3) | instskip(SKIP_1) | instid1(SALU_CYCLE_1)
	v_cmp_ge_i32_e32 vcc_lo, v29, v28
	s_or_b32 s2, vcc_lo, s2
	s_and_not1_b32 exec_lo, exec_lo, s2
	s_cbranch_execz .LBB287_22
.LBB287_18:                             ; =>This Loop Header: Depth=1
                                        ;     Child Loop BB287_20 Depth 2
	global_load_b32 v18, v29, s[6:7] scale_offset
	v_mov_b64_e32 v[22:23], v[14:15]
	v_mov_b64_e32 v[24:25], v[16:17]
	;; [unrolled: 1-line block ×3, first 2 shown]
	s_mov_b32 s4, 0
	s_wait_loadcnt 0x0
	v_subrev_nc_u32_e32 v18, s12, v18
	s_delay_alu instid0(VALU_DEP_1)
	v_mul_lo_u32 v30, v18, 13
	v_mov_b64_e32 v[18:19], v[0:1]
	s_branch .LBB287_20
.LBB287_19:                             ;   in Loop: Header=BB287_20 Depth=2
	s_and_not1_b32 vcc_lo, exec_lo, s5
	s_cbranch_vccz .LBB287_17
.LBB287_20:                             ;   Parent Loop BB287_18 Depth=1
                                        ; =>  This Inner Loop Header: Depth=2
	v_dual_add_nc_u32 v31, s4, v26 :: v_dual_add_nc_u32 v0, s4, v27
	s_delay_alu instid0(VALU_DEP_3) | instskip(SKIP_2) | instid1(VALU_DEP_2)
	v_add_nc_u32_e32 v32, s4, v30
	s_cmp_eq_u32 s4, 12
	s_mov_b32 s5, -1
	v_add_nc_u32_e32 v1, 13, v31
	global_load_b128 v[34:37], v32, s[10:11] scale_offset
	s_clause 0x1
	global_load_b128 v[38:41], v0, s[8:9] scale_offset
	global_load_b128 v[42:45], v1, s[8:9] scale_offset
	s_wait_loadcnt 0x1
	v_fmac_f64_e32 v[18:19], v[40:41], v[34:35]
	s_wait_loadcnt 0x0
	v_fmac_f64_e32 v[20:21], v[44:45], v[34:35]
	v_fmac_f64_e32 v[22:23], v[38:39], v[34:35]
	;; [unrolled: 1-line block ×3, first 2 shown]
	s_delay_alu instid0(VALU_DEP_4) | instskip(NEXT) | instid1(VALU_DEP_4)
	v_mov_b64_e32 v[0:1], v[18:19]
	v_mov_b64_e32 v[12:13], v[20:21]
	s_delay_alu instid0(VALU_DEP_4) | instskip(NEXT) | instid1(VALU_DEP_4)
	v_fma_f64 v[14:15], -v[40:41], v[36:37], v[22:23]
	v_fma_f64 v[16:17], -v[44:45], v[36:37], v[24:25]
                                        ; implicit-def: $vgpr20_vgpr21
                                        ; implicit-def: $vgpr24_vgpr25
                                        ; implicit-def: $vgpr22_vgpr23
                                        ; implicit-def: $vgpr18_vgpr19
	s_delay_alu instid0(VALU_DEP_4) | instskip(NEXT) | instid1(VALU_DEP_4)
	v_fmac_f64_e32 v[0:1], v[38:39], v[36:37]
	v_fmac_f64_e32 v[12:13], v[42:43], v[36:37]
	s_cbranch_scc1 .LBB287_19
; %bb.21:                               ;   in Loop: Header=BB287_20 Depth=2
	v_dual_add_nc_u32 v18, 1, v31 :: v_dual_add_nc_u32 v19, 1, v32
	v_add_nc_u32_e32 v20, 14, v31
	s_add_co_i32 s4, s4, 4
	s_mov_b32 s5, 0
	global_load_b128 v[22:25], v18, s[8:9] scale_offset
	global_load_b128 v[34:37], v19, s[10:11] scale_offset
	;; [unrolled: 1-line block ×3, first 2 shown]
	s_wait_xcnt 0x1
	v_dual_add_nc_u32 v18, 2, v31 :: v_dual_add_nc_u32 v19, 2, v32
	global_load_b128 v[42:45], v18, s[8:9] scale_offset
	global_load_b128 v[46:49], v19, s[10:11] scale_offset
	global_load_b128 v[50:53], v20, s[8:9] offset:16 scale_offset
	s_wait_xcnt 0x0
	v_dual_add_nc_u32 v19, 3, v32 :: v_dual_add_nc_u32 v20, 16, v31
	s_wait_loadcnt 0x4
	v_fma_f64 v[32:33], v[22:23], v[34:35], v[14:15]
	global_load_b128 v[54:57], v18, s[8:9] offset:16 scale_offset
	global_load_b128 v[58:61], v19, s[10:11] scale_offset
	global_load_b128 v[62:65], v20, s[8:9] scale_offset
	s_wait_xcnt 0x1
	v_fma_f64 v[18:19], v[24:25], v[34:35], v[0:1]
	s_wait_loadcnt 0x6
	v_fma_f64 v[66:67], v[38:39], v[34:35], v[16:17]
	s_wait_xcnt 0x0
	v_fma_f64 v[20:21], v[40:41], v[34:35], v[12:13]
	v_fma_f64 v[24:25], -v[24:25], v[36:37], v[32:33]
	s_delay_alu instid0(VALU_DEP_4) | instskip(NEXT) | instid1(VALU_DEP_4)
	v_fmac_f64_e32 v[18:19], v[22:23], v[36:37]
	v_fma_f64 v[22:23], -v[40:41], v[36:37], v[66:67]
	s_delay_alu instid0(VALU_DEP_4) | instskip(SKIP_1) | instid1(VALU_DEP_4)
	v_fmac_f64_e32 v[20:21], v[38:39], v[36:37]
	s_wait_loadcnt 0x4
	v_fmac_f64_e32 v[24:25], v[42:43], v[46:47]
	s_delay_alu instid0(VALU_DEP_4) | instskip(SKIP_1) | instid1(VALU_DEP_4)
	v_fmac_f64_e32 v[18:19], v[44:45], v[46:47]
	s_wait_loadcnt 0x3
	v_fmac_f64_e32 v[22:23], v[50:51], v[46:47]
	s_delay_alu instid0(VALU_DEP_4) | instskip(NEXT) | instid1(VALU_DEP_4)
	v_fmac_f64_e32 v[20:21], v[52:53], v[46:47]
	v_fma_f64 v[24:25], -v[44:45], v[48:49], v[24:25]
	s_delay_alu instid0(VALU_DEP_4) | instskip(NEXT) | instid1(VALU_DEP_4)
	v_fmac_f64_e32 v[18:19], v[42:43], v[48:49]
	v_fma_f64 v[32:33], -v[52:53], v[48:49], v[22:23]
	s_delay_alu instid0(VALU_DEP_4) | instskip(SKIP_1) | instid1(VALU_DEP_4)
	v_fmac_f64_e32 v[20:21], v[50:51], v[48:49]
	s_wait_loadcnt 0x1
	v_fmac_f64_e32 v[24:25], v[54:55], v[58:59]
	s_delay_alu instid0(VALU_DEP_4) | instskip(SKIP_1) | instid1(VALU_DEP_4)
	v_fmac_f64_e32 v[18:19], v[56:57], v[58:59]
	s_wait_loadcnt 0x0
	v_fmac_f64_e32 v[32:33], v[62:63], v[58:59]
	s_delay_alu instid0(VALU_DEP_4) | instskip(NEXT) | instid1(VALU_DEP_4)
	v_fmac_f64_e32 v[20:21], v[64:65], v[58:59]
	v_fma_f64 v[22:23], -v[56:57], v[60:61], v[24:25]
	s_delay_alu instid0(VALU_DEP_4) | instskip(NEXT) | instid1(VALU_DEP_4)
	v_fmac_f64_e32 v[18:19], v[54:55], v[60:61]
	v_fma_f64 v[24:25], -v[64:65], v[60:61], v[32:33]
	s_delay_alu instid0(VALU_DEP_4)
	v_fmac_f64_e32 v[20:21], v[62:63], v[60:61]
	s_branch .LBB287_19
.LBB287_22:
	s_or_b32 exec_lo, exec_lo, s2
.LBB287_23:
	s_delay_alu instid0(SALU_CYCLE_1)
	s_or_b32 exec_lo, exec_lo, s3
.LBB287_24:
	v_mbcnt_lo_u32_b32 v28, -1, 0
	s_delay_alu instid0(VALU_DEP_1) | instskip(NEXT) | instid1(VALU_DEP_1)
	v_or_b32_e32 v18, 32, v28
	v_cmp_gt_i32_e32 vcc_lo, 32, v18
	v_cndmask_b32_e32 v18, v28, v18, vcc_lo
	s_delay_alu instid0(VALU_DEP_1)
	v_lshlrev_b32_e32 v25, 2, v18
	ds_bpermute_b32 v20, v25, v0
	ds_bpermute_b32 v21, v25, v1
	s_wait_dscnt 0x0
	v_add_f64_e32 v[0:1], v[0:1], v[20:21]
	ds_bpermute_b32 v18, v25, v14
	ds_bpermute_b32 v19, v25, v15
	;; [unrolled: 1-line block ×6, first 2 shown]
	s_wait_dscnt 0x4
	v_dual_add_f64 v[14:15], v[14:15], v[18:19] :: v_dual_bitop2_b32 v18, 16, v28 bitop3:0x14
	s_wait_dscnt 0x2
	v_add_f64_e32 v[16:17], v[16:17], v[22:23]
	s_delay_alu instid0(VALU_DEP_2) | instskip(SKIP_2) | instid1(VALU_DEP_1)
	v_cmp_gt_i32_e32 vcc_lo, 32, v18
	v_cndmask_b32_e32 v18, v28, v18, vcc_lo
	s_wait_dscnt 0x0
	v_dual_add_f64 v[12:13], v[12:13], v[24:25] :: v_dual_lshlrev_b32 v25, 2, v18
	ds_bpermute_b32 v20, v25, v0
	ds_bpermute_b32 v21, v25, v1
	;; [unrolled: 1-line block ×8, first 2 shown]
	s_wait_dscnt 0x4
	v_dual_add_f64 v[14:15], v[14:15], v[18:19] :: v_dual_bitop2_b32 v18, 8, v28 bitop3:0x14
	s_wait_dscnt 0x2
	v_add_f64_e32 v[16:17], v[16:17], v[22:23]
	s_delay_alu instid0(VALU_DEP_2) | instskip(SKIP_3) | instid1(VALU_DEP_2)
	v_cmp_gt_i32_e32 vcc_lo, 32, v18
	v_cndmask_b32_e32 v18, v28, v18, vcc_lo
	v_add_f64_e32 v[0:1], v[0:1], v[20:21]
	s_wait_dscnt 0x0
	v_dual_add_f64 v[12:13], v[12:13], v[24:25] :: v_dual_lshlrev_b32 v25, 2, v18
	ds_bpermute_b32 v18, v25, v14
	ds_bpermute_b32 v19, v25, v15
	;; [unrolled: 1-line block ×5, first 2 shown]
	s_wait_dscnt 0x3
	v_dual_add_f64 v[14:15], v[14:15], v[18:19] :: v_dual_bitop2_b32 v18, 4, v28 bitop3:0x14
	ds_bpermute_b32 v22, v25, v16
	ds_bpermute_b32 v23, v25, v17
	;; [unrolled: 1-line block ×3, first 2 shown]
	v_cmp_gt_i32_e32 vcc_lo, 32, v18
	v_cndmask_b32_e32 v18, v28, v18, vcc_lo
	s_wait_dscnt 0x4
	v_add_f64_e32 v[0:1], v[0:1], v[20:21]
	s_wait_dscnt 0x1
	v_add_f64_e32 v[16:17], v[16:17], v[22:23]
	s_wait_dscnt 0x0
	v_dual_add_f64 v[12:13], v[12:13], v[24:25] :: v_dual_lshlrev_b32 v25, 2, v18
	ds_bpermute_b32 v18, v25, v14
	ds_bpermute_b32 v19, v25, v15
	;; [unrolled: 1-line block ×4, first 2 shown]
	s_wait_dscnt 0x2
	v_add_f64_e32 v[14:15], v[14:15], v[18:19]
	ds_bpermute_b32 v22, v25, v16
	ds_bpermute_b32 v23, v25, v17
	;; [unrolled: 1-line block ×4, first 2 shown]
	s_wait_dscnt 0x4
	v_add_f64_e32 v[18:19], v[0:1], v[20:21]
	v_xor_b32_e32 v0, 2, v28
	s_delay_alu instid0(VALU_DEP_1)
	v_cmp_gt_i32_e32 vcc_lo, 32, v0
	s_wait_dscnt 0x2
	v_add_f64_e32 v[20:21], v[16:17], v[22:23]
	v_cndmask_b32_e32 v0, v28, v0, vcc_lo
	s_wait_dscnt 0x0
	v_add_f64_e32 v[22:23], v[12:13], v[24:25]
	s_delay_alu instid0(VALU_DEP_2)
	v_lshlrev_b32_e32 v16, 2, v0
	ds_bpermute_b32 v0, v16, v14
	ds_bpermute_b32 v1, v16, v15
	;; [unrolled: 1-line block ×8, first 2 shown]
	s_wait_dscnt 0x6
	v_add_f64_e32 v[0:1], v[14:15], v[0:1]
	s_wait_dscnt 0x4
	v_add_f64_e32 v[16:17], v[18:19], v[12:13]
	v_xor_b32_e32 v18, 1, v28
	s_delay_alu instid0(VALU_DEP_1)
	v_cmp_gt_i32_e32 vcc_lo, 32, v18
	s_wait_dscnt 0x2
	v_add_f64_e32 v[12:13], v[20:21], v[24:25]
	v_cndmask_b32_e32 v18, v28, v18, vcc_lo
	s_wait_dscnt 0x0
	v_add_f64_e32 v[14:15], v[22:23], v[26:27]
	v_cmp_eq_u32_e32 vcc_lo, 63, v11
	s_delay_alu instid0(VALU_DEP_3)
	v_lshlrev_b32_e32 v21, 2, v18
	ds_bpermute_b32 v24, v21, v0
	ds_bpermute_b32 v25, v21, v1
	;; [unrolled: 1-line block ×8, first 2 shown]
	s_and_b32 exec_lo, exec_lo, vcc_lo
	s_cbranch_execz .LBB287_29
; %bb.25:
	v_cmp_eq_f64_e32 vcc_lo, 0, v[6:7]
	v_cmp_eq_f64_e64 s2, 0, v[8:9]
	s_wait_dscnt 0x6
	v_add_f64_e32 v[0:1], v[0:1], v[24:25]
	s_wait_dscnt 0x4
	v_add_f64_e32 v[16:17], v[16:17], v[22:23]
	;; [unrolled: 2-line block ×4, first 2 shown]
	s_load_b64 s[0:1], s[0:1], 0x48
	s_and_b32 s2, vcc_lo, s2
	s_delay_alu instid0(SALU_CYCLE_1) | instskip(NEXT) | instid1(SALU_CYCLE_1)
	s_and_saveexec_b32 s3, s2
	s_xor_b32 s2, exec_lo, s3
	s_cbranch_execz .LBB287_27
; %bb.26:
	s_delay_alu instid0(VALU_DEP_3) | instskip(SKIP_1) | instid1(VALU_DEP_3)
	v_mul_f64_e64 v[6:7], v[16:17], -v[4:5]
	v_mul_f64_e32 v[8:9], v[2:3], v[16:17]
	v_mul_f64_e64 v[16:17], v[14:15], -v[4:5]
	v_mul_f64_e32 v[18:19], v[2:3], v[14:15]
                                        ; implicit-def: $vgpr14_vgpr15
	s_delay_alu instid0(VALU_DEP_4) | instskip(NEXT) | instid1(VALU_DEP_4)
	v_fmac_f64_e32 v[6:7], v[2:3], v[0:1]
	v_fmac_f64_e32 v[8:9], v[4:5], v[0:1]
	s_delay_alu instid0(VALU_DEP_4) | instskip(NEXT) | instid1(VALU_DEP_4)
	v_fmac_f64_e32 v[16:17], v[2:3], v[12:13]
	v_fmac_f64_e32 v[18:19], v[4:5], v[12:13]
	v_lshlrev_b32_e32 v0, 1, v10
                                        ; implicit-def: $vgpr10
                                        ; implicit-def: $vgpr12_vgpr13
                                        ; implicit-def: $vgpr4_vgpr5
	s_wait_kmcnt 0x0
	s_clause 0x1
	global_store_b128 v0, v[6:9], s[0:1] scale_offset
	global_store_b128 v0, v[16:19], s[0:1] offset:16 scale_offset
                                        ; implicit-def: $vgpr0_vgpr1
                                        ; implicit-def: $vgpr16_vgpr17
                                        ; implicit-def: $vgpr8_vgpr9
.LBB287_27:
	s_wait_xcnt 0x0
	s_and_not1_saveexec_b32 s2, s2
	s_cbranch_execz .LBB287_29
; %bb.28:
	s_delay_alu instid0(VALU_DEP_3) | instskip(SKIP_1) | instid1(VALU_DEP_3)
	v_dual_mul_f64 v[26:27], v[16:17], -v[4:5] :: v_dual_lshlrev_b32 v30, 1, v10
	v_mul_f64_e32 v[16:17], v[2:3], v[16:17]
	v_mul_f64_e64 v[28:29], v[14:15], -v[4:5]
	v_mul_f64_e32 v[10:11], v[2:3], v[14:15]
	s_wait_kmcnt 0x0
	s_clause 0x1
	global_load_b128 v[18:21], v30, s[0:1] scale_offset
	global_load_b128 v[22:25], v30, s[0:1] offset:16 scale_offset
	v_fmac_f64_e32 v[26:27], v[2:3], v[0:1]
	v_fmac_f64_e32 v[16:17], v[4:5], v[0:1]
	;; [unrolled: 1-line block ×4, first 2 shown]
	s_wait_loadcnt 0x1
	s_delay_alu instid0(VALU_DEP_4) | instskip(NEXT) | instid1(VALU_DEP_4)
	v_fmac_f64_e32 v[26:27], v[6:7], v[18:19]
	v_fmac_f64_e32 v[16:17], v[8:9], v[18:19]
	s_wait_loadcnt 0x0
	s_delay_alu instid0(VALU_DEP_4) | instskip(NEXT) | instid1(VALU_DEP_4)
	v_fmac_f64_e32 v[28:29], v[6:7], v[22:23]
	v_fmac_f64_e32 v[10:11], v[8:9], v[22:23]
	s_delay_alu instid0(VALU_DEP_4) | instskip(NEXT) | instid1(VALU_DEP_4)
	v_fma_f64 v[14:15], -v[8:9], v[20:21], v[26:27]
	v_fmac_f64_e32 v[16:17], v[6:7], v[20:21]
	s_delay_alu instid0(VALU_DEP_4) | instskip(NEXT) | instid1(VALU_DEP_4)
	v_fma_f64 v[8:9], -v[8:9], v[24:25], v[28:29]
	v_fmac_f64_e32 v[10:11], v[6:7], v[24:25]
	s_clause 0x1
	global_store_b128 v30, v[14:17], s[0:1] scale_offset
	global_store_b128 v30, v[8:11], s[0:1] offset:16 scale_offset
.LBB287_29:
	s_sendmsg sendmsg(MSG_DEALLOC_VGPRS)
	s_endpgm
	.section	.rodata,"a",@progbits
	.p2align	6, 0x0
	.amdhsa_kernel _ZN9rocsparseL19gebsrmvn_2xn_kernelILj128ELj13ELj64E21rocsparse_complex_numIdEEEvi20rocsparse_direction_NS_24const_host_device_scalarIT2_EEPKiS8_PKS5_SA_S6_PS5_21rocsparse_index_base_b
		.amdhsa_group_segment_fixed_size 0
		.amdhsa_private_segment_fixed_size 0
		.amdhsa_kernarg_size 88
		.amdhsa_user_sgpr_count 2
		.amdhsa_user_sgpr_dispatch_ptr 0
		.amdhsa_user_sgpr_queue_ptr 0
		.amdhsa_user_sgpr_kernarg_segment_ptr 1
		.amdhsa_user_sgpr_dispatch_id 0
		.amdhsa_user_sgpr_kernarg_preload_length 0
		.amdhsa_user_sgpr_kernarg_preload_offset 0
		.amdhsa_user_sgpr_private_segment_size 0
		.amdhsa_wavefront_size32 1
		.amdhsa_uses_dynamic_stack 0
		.amdhsa_enable_private_segment 0
		.amdhsa_system_sgpr_workgroup_id_x 1
		.amdhsa_system_sgpr_workgroup_id_y 0
		.amdhsa_system_sgpr_workgroup_id_z 0
		.amdhsa_system_sgpr_workgroup_info 0
		.amdhsa_system_vgpr_workitem_id 0
		.amdhsa_next_free_vgpr 68
		.amdhsa_next_free_sgpr 14
		.amdhsa_named_barrier_count 0
		.amdhsa_reserve_vcc 1
		.amdhsa_float_round_mode_32 0
		.amdhsa_float_round_mode_16_64 0
		.amdhsa_float_denorm_mode_32 3
		.amdhsa_float_denorm_mode_16_64 3
		.amdhsa_fp16_overflow 0
		.amdhsa_memory_ordered 1
		.amdhsa_forward_progress 1
		.amdhsa_inst_pref_size 23
		.amdhsa_round_robin_scheduling 0
		.amdhsa_exception_fp_ieee_invalid_op 0
		.amdhsa_exception_fp_denorm_src 0
		.amdhsa_exception_fp_ieee_div_zero 0
		.amdhsa_exception_fp_ieee_overflow 0
		.amdhsa_exception_fp_ieee_underflow 0
		.amdhsa_exception_fp_ieee_inexact 0
		.amdhsa_exception_int_div_zero 0
	.end_amdhsa_kernel
	.section	.text._ZN9rocsparseL19gebsrmvn_2xn_kernelILj128ELj13ELj64E21rocsparse_complex_numIdEEEvi20rocsparse_direction_NS_24const_host_device_scalarIT2_EEPKiS8_PKS5_SA_S6_PS5_21rocsparse_index_base_b,"axG",@progbits,_ZN9rocsparseL19gebsrmvn_2xn_kernelILj128ELj13ELj64E21rocsparse_complex_numIdEEEvi20rocsparse_direction_NS_24const_host_device_scalarIT2_EEPKiS8_PKS5_SA_S6_PS5_21rocsparse_index_base_b,comdat
.Lfunc_end287:
	.size	_ZN9rocsparseL19gebsrmvn_2xn_kernelILj128ELj13ELj64E21rocsparse_complex_numIdEEEvi20rocsparse_direction_NS_24const_host_device_scalarIT2_EEPKiS8_PKS5_SA_S6_PS5_21rocsparse_index_base_b, .Lfunc_end287-_ZN9rocsparseL19gebsrmvn_2xn_kernelILj128ELj13ELj64E21rocsparse_complex_numIdEEEvi20rocsparse_direction_NS_24const_host_device_scalarIT2_EEPKiS8_PKS5_SA_S6_PS5_21rocsparse_index_base_b
                                        ; -- End function
	.set _ZN9rocsparseL19gebsrmvn_2xn_kernelILj128ELj13ELj64E21rocsparse_complex_numIdEEEvi20rocsparse_direction_NS_24const_host_device_scalarIT2_EEPKiS8_PKS5_SA_S6_PS5_21rocsparse_index_base_b.num_vgpr, 68
	.set _ZN9rocsparseL19gebsrmvn_2xn_kernelILj128ELj13ELj64E21rocsparse_complex_numIdEEEvi20rocsparse_direction_NS_24const_host_device_scalarIT2_EEPKiS8_PKS5_SA_S6_PS5_21rocsparse_index_base_b.num_agpr, 0
	.set _ZN9rocsparseL19gebsrmvn_2xn_kernelILj128ELj13ELj64E21rocsparse_complex_numIdEEEvi20rocsparse_direction_NS_24const_host_device_scalarIT2_EEPKiS8_PKS5_SA_S6_PS5_21rocsparse_index_base_b.numbered_sgpr, 14
	.set _ZN9rocsparseL19gebsrmvn_2xn_kernelILj128ELj13ELj64E21rocsparse_complex_numIdEEEvi20rocsparse_direction_NS_24const_host_device_scalarIT2_EEPKiS8_PKS5_SA_S6_PS5_21rocsparse_index_base_b.num_named_barrier, 0
	.set _ZN9rocsparseL19gebsrmvn_2xn_kernelILj128ELj13ELj64E21rocsparse_complex_numIdEEEvi20rocsparse_direction_NS_24const_host_device_scalarIT2_EEPKiS8_PKS5_SA_S6_PS5_21rocsparse_index_base_b.private_seg_size, 0
	.set _ZN9rocsparseL19gebsrmvn_2xn_kernelILj128ELj13ELj64E21rocsparse_complex_numIdEEEvi20rocsparse_direction_NS_24const_host_device_scalarIT2_EEPKiS8_PKS5_SA_S6_PS5_21rocsparse_index_base_b.uses_vcc, 1
	.set _ZN9rocsparseL19gebsrmvn_2xn_kernelILj128ELj13ELj64E21rocsparse_complex_numIdEEEvi20rocsparse_direction_NS_24const_host_device_scalarIT2_EEPKiS8_PKS5_SA_S6_PS5_21rocsparse_index_base_b.uses_flat_scratch, 0
	.set _ZN9rocsparseL19gebsrmvn_2xn_kernelILj128ELj13ELj64E21rocsparse_complex_numIdEEEvi20rocsparse_direction_NS_24const_host_device_scalarIT2_EEPKiS8_PKS5_SA_S6_PS5_21rocsparse_index_base_b.has_dyn_sized_stack, 0
	.set _ZN9rocsparseL19gebsrmvn_2xn_kernelILj128ELj13ELj64E21rocsparse_complex_numIdEEEvi20rocsparse_direction_NS_24const_host_device_scalarIT2_EEPKiS8_PKS5_SA_S6_PS5_21rocsparse_index_base_b.has_recursion, 0
	.set _ZN9rocsparseL19gebsrmvn_2xn_kernelILj128ELj13ELj64E21rocsparse_complex_numIdEEEvi20rocsparse_direction_NS_24const_host_device_scalarIT2_EEPKiS8_PKS5_SA_S6_PS5_21rocsparse_index_base_b.has_indirect_call, 0
	.section	.AMDGPU.csdata,"",@progbits
; Kernel info:
; codeLenInByte = 2832
; TotalNumSgprs: 16
; NumVgprs: 68
; ScratchSize: 0
; MemoryBound: 0
; FloatMode: 240
; IeeeMode: 1
; LDSByteSize: 0 bytes/workgroup (compile time only)
; SGPRBlocks: 0
; VGPRBlocks: 4
; NumSGPRsForWavesPerEU: 16
; NumVGPRsForWavesPerEU: 68
; NamedBarCnt: 0
; Occupancy: 12
; WaveLimiterHint : 1
; COMPUTE_PGM_RSRC2:SCRATCH_EN: 0
; COMPUTE_PGM_RSRC2:USER_SGPR: 2
; COMPUTE_PGM_RSRC2:TRAP_HANDLER: 0
; COMPUTE_PGM_RSRC2:TGID_X_EN: 1
; COMPUTE_PGM_RSRC2:TGID_Y_EN: 0
; COMPUTE_PGM_RSRC2:TGID_Z_EN: 0
; COMPUTE_PGM_RSRC2:TIDIG_COMP_CNT: 0
	.section	.text._ZN9rocsparseL19gebsrmvn_2xn_kernelILj128ELj14ELj4E21rocsparse_complex_numIdEEEvi20rocsparse_direction_NS_24const_host_device_scalarIT2_EEPKiS8_PKS5_SA_S6_PS5_21rocsparse_index_base_b,"axG",@progbits,_ZN9rocsparseL19gebsrmvn_2xn_kernelILj128ELj14ELj4E21rocsparse_complex_numIdEEEvi20rocsparse_direction_NS_24const_host_device_scalarIT2_EEPKiS8_PKS5_SA_S6_PS5_21rocsparse_index_base_b,comdat
	.globl	_ZN9rocsparseL19gebsrmvn_2xn_kernelILj128ELj14ELj4E21rocsparse_complex_numIdEEEvi20rocsparse_direction_NS_24const_host_device_scalarIT2_EEPKiS8_PKS5_SA_S6_PS5_21rocsparse_index_base_b ; -- Begin function _ZN9rocsparseL19gebsrmvn_2xn_kernelILj128ELj14ELj4E21rocsparse_complex_numIdEEEvi20rocsparse_direction_NS_24const_host_device_scalarIT2_EEPKiS8_PKS5_SA_S6_PS5_21rocsparse_index_base_b
	.p2align	8
	.type	_ZN9rocsparseL19gebsrmvn_2xn_kernelILj128ELj14ELj4E21rocsparse_complex_numIdEEEvi20rocsparse_direction_NS_24const_host_device_scalarIT2_EEPKiS8_PKS5_SA_S6_PS5_21rocsparse_index_base_b,@function
_ZN9rocsparseL19gebsrmvn_2xn_kernelILj128ELj14ELj4E21rocsparse_complex_numIdEEEvi20rocsparse_direction_NS_24const_host_device_scalarIT2_EEPKiS8_PKS5_SA_S6_PS5_21rocsparse_index_base_b: ; @_ZN9rocsparseL19gebsrmvn_2xn_kernelILj128ELj14ELj4E21rocsparse_complex_numIdEEEvi20rocsparse_direction_NS_24const_host_device_scalarIT2_EEPKiS8_PKS5_SA_S6_PS5_21rocsparse_index_base_b
; %bb.0:
	s_clause 0x1
	s_load_b64 s[12:13], s[0:1], 0x50
	s_load_b64 s[2:3], s[0:1], 0x8
	v_mov_b32_e32 v1, 0
	s_add_nc_u64 s[4:5], s[0:1], 8
	s_load_b64 s[6:7], s[0:1], 0x38
	s_wait_kmcnt 0x0
	s_bitcmp1_b32 s13, 0
	s_cselect_b32 s3, s5, s3
	s_cselect_b32 s2, s4, s2
	flat_load_b128 v[2:5], v1, s[2:3]
	s_wait_xcnt 0x0
	s_add_nc_u64 s[2:3], s[0:1], 56
	s_delay_alu instid0(SALU_CYCLE_1)
	s_cselect_b32 s3, s3, s7
	s_cselect_b32 s2, s2, s6
	flat_load_b128 v[6:9], v1, s[2:3]
	s_wait_loadcnt_dscnt 0x101
	v_cmp_eq_f64_e32 vcc_lo, 0, v[2:3]
	s_wait_xcnt 0x0
	v_cmp_eq_f64_e64 s2, 0, v[4:5]
	s_and_b32 s4, vcc_lo, s2
	s_mov_b32 s2, -1
	s_and_saveexec_b32 s3, s4
	s_cbranch_execz .LBB288_2
; %bb.1:
	s_wait_loadcnt_dscnt 0x0
	v_cmp_neq_f64_e32 vcc_lo, 1.0, v[6:7]
	v_cmp_neq_f64_e64 s2, 0, v[8:9]
	s_or_b32 s2, vcc_lo, s2
	s_delay_alu instid0(SALU_CYCLE_1)
	s_or_not1_b32 s2, s2, exec_lo
.LBB288_2:
	s_or_b32 exec_lo, exec_lo, s3
	s_and_saveexec_b32 s3, s2
	s_cbranch_execz .LBB288_25
; %bb.3:
	s_load_b64 s[2:3], s[0:1], 0x0
	s_bfe_u32 s4, ttmp6, 0x4000c
	s_and_b32 s5, ttmp6, 15
	s_add_co_i32 s4, s4, 1
	s_getreg_b32 s6, hwreg(HW_REG_IB_STS2, 6, 4)
	s_mul_i32 s4, ttmp9, s4
	v_lshrrev_b32_e32 v1, 2, v0
	s_add_co_i32 s5, s5, s4
	s_cmp_eq_u32 s6, 0
	s_cselect_b32 s4, ttmp9, s5
	s_delay_alu instid0(VALU_DEP_1) | instid1(SALU_CYCLE_1)
	v_lshl_or_b32 v10, s4, 5, v1
	s_wait_kmcnt 0x0
	s_delay_alu instid0(VALU_DEP_1)
	v_cmp_gt_i32_e32 vcc_lo, s2, v10
	s_and_b32 exec_lo, exec_lo, vcc_lo
	s_cbranch_execz .LBB288_25
; %bb.4:
	s_load_b256 s[4:11], s[0:1], 0x18
	v_ashrrev_i32_e32 v11, 31, v10
	s_cmp_lg_u32 s3, 0
	s_wait_kmcnt 0x0
	s_delay_alu instid0(VALU_DEP_1)
	v_lshl_add_u64 v[12:13], v[10:11], 2, s[4:5]
	v_and_b32_e32 v11, 3, v0
	global_load_b64 v[18:19], v[12:13], off
	s_wait_loadcnt 0x0
	v_subrev_nc_u32_e32 v0, s12, v18
	v_subrev_nc_u32_e32 v19, s12, v19
	s_delay_alu instid0(VALU_DEP_2) | instskip(NEXT) | instid1(VALU_DEP_1)
	v_add_nc_u32_e32 v20, v0, v11
	v_cmp_lt_i32_e64 s2, v20, v19
	s_cbranch_scc0 .LBB288_12
; %bb.5:
	v_mov_b64_e32 v[0:1], 0
	v_mov_b64_e32 v[14:15], 0
	;; [unrolled: 1-line block ×4, first 2 shown]
	s_and_saveexec_b32 s3, s2
	s_cbranch_execz .LBB288_11
; %bb.6:
	v_mul_lo_u32 v21, v20, 28
	v_mov_b64_e32 v[0:1], 0
	v_mov_b64_e32 v[14:15], 0
	;; [unrolled: 1-line block ×4, first 2 shown]
	v_mov_b32_e32 v22, v20
	s_mov_b32 s4, 0
.LBB288_7:                              ; =>This Loop Header: Depth=1
                                        ;     Child Loop BB288_8 Depth 2
	global_load_b32 v23, v22, s[6:7] scale_offset
	v_mov_b32_e32 v24, v21
	s_mov_b32 s5, 0
	s_wait_loadcnt 0x0
	v_subrev_nc_u32_e32 v23, s12, v23
	s_delay_alu instid0(VALU_DEP_1)
	v_mul_lo_u32 v23, v23, 14
.LBB288_8:                              ;   Parent Loop BB288_7 Depth=1
                                        ; =>  This Inner Loop Header: Depth=2
	s_delay_alu instid0(VALU_DEP_1)
	v_add_nc_u32_e32 v25, s5, v23
	s_add_co_i32 s5, s5, 2
	s_clause 0x1
	global_load_b128 v[26:29], v24, s[8:9] offset:16 scale_offset
	global_load_b128 v[30:33], v24, s[8:9] scale_offset
	s_clause 0x1
	global_load_b128 v[34:37], v25, s[10:11] scale_offset
	global_load_b128 v[38:41], v25, s[10:11] offset:16 scale_offset
	s_clause 0x1
	global_load_b128 v[42:45], v24, s[8:9] offset:32 scale_offset
	global_load_b128 v[46:49], v24, s[8:9] offset:48 scale_offset
	s_wait_xcnt 0x0
	v_add_nc_u32_e32 v24, 4, v24
	s_cmp_eq_u32 s5, 14
	s_wait_loadcnt 0x3
	v_fmac_f64_e32 v[14:15], v[30:31], v[34:35]
	v_fmac_f64_e32 v[0:1], v[32:33], v[34:35]
	;; [unrolled: 1-line block ×4, first 2 shown]
	s_delay_alu instid0(VALU_DEP_4) | instskip(NEXT) | instid1(VALU_DEP_4)
	v_fma_f64 v[14:15], -v[32:33], v[36:37], v[14:15]
	v_fmac_f64_e32 v[0:1], v[30:31], v[36:37]
	s_delay_alu instid0(VALU_DEP_4) | instskip(NEXT) | instid1(VALU_DEP_4)
	v_fma_f64 v[16:17], -v[28:29], v[36:37], v[16:17]
	v_fmac_f64_e32 v[12:13], v[26:27], v[36:37]
	s_wait_loadcnt 0x1
	s_delay_alu instid0(VALU_DEP_4) | instskip(NEXT) | instid1(VALU_DEP_4)
	v_fmac_f64_e32 v[14:15], v[42:43], v[38:39]
	v_fmac_f64_e32 v[0:1], v[44:45], v[38:39]
	s_wait_loadcnt 0x0
	s_delay_alu instid0(VALU_DEP_4) | instskip(NEXT) | instid1(VALU_DEP_4)
	v_fmac_f64_e32 v[16:17], v[46:47], v[38:39]
	v_fmac_f64_e32 v[12:13], v[48:49], v[38:39]
	s_delay_alu instid0(VALU_DEP_4) | instskip(NEXT) | instid1(VALU_DEP_4)
	v_fma_f64 v[14:15], -v[44:45], v[40:41], v[14:15]
	v_fmac_f64_e32 v[0:1], v[42:43], v[40:41]
	s_delay_alu instid0(VALU_DEP_4) | instskip(NEXT) | instid1(VALU_DEP_4)
	v_fma_f64 v[16:17], -v[48:49], v[40:41], v[16:17]
	v_fmac_f64_e32 v[12:13], v[46:47], v[40:41]
	s_cbranch_scc0 .LBB288_8
; %bb.9:                                ;   in Loop: Header=BB288_7 Depth=1
	v_add_nc_u32_e32 v22, 4, v22
	v_add_nc_u32_e32 v21, 0x70, v21
	s_delay_alu instid0(VALU_DEP_2) | instskip(SKIP_1) | instid1(SALU_CYCLE_1)
	v_cmp_ge_i32_e32 vcc_lo, v22, v19
	s_or_b32 s4, vcc_lo, s4
	s_and_not1_b32 exec_lo, exec_lo, s4
	s_cbranch_execnz .LBB288_7
; %bb.10:
	s_or_b32 exec_lo, exec_lo, s4
.LBB288_11:
	s_delay_alu instid0(SALU_CYCLE_1)
	s_or_b32 exec_lo, exec_lo, s3
	s_cbranch_execz .LBB288_13
	s_branch .LBB288_20
.LBB288_12:
                                        ; implicit-def: $vgpr0_vgpr1
                                        ; implicit-def: $vgpr14_vgpr15
                                        ; implicit-def: $vgpr16_vgpr17
                                        ; implicit-def: $vgpr12_vgpr13
.LBB288_13:
	v_mov_b64_e32 v[0:1], 0
	v_mov_b64_e32 v[14:15], 0
	;; [unrolled: 1-line block ×4, first 2 shown]
	s_and_saveexec_b32 s3, s2
	s_cbranch_execz .LBB288_19
; %bb.14:
	v_mul_u32_u24_e32 v0, 28, v11
	s_mul_i32 s2, s12, 28
	v_mov_b64_e32 v[14:15], 0
	v_mov_b64_e32 v[16:17], 0
	;; [unrolled: 1-line block ×3, first 2 shown]
	v_mad_u32 v21, v18, 28, v0
	v_mul_lo_u32 v18, v20, 28
	v_mov_b64_e32 v[0:1], 0
	s_delay_alu instid0(VALU_DEP_3)
	v_subrev_nc_u32_e32 v21, s2, v21
	s_mov_b32 s2, 0
.LBB288_15:                             ; =>This Loop Header: Depth=1
                                        ;     Child Loop BB288_16 Depth 2
	global_load_b32 v22, v20, s[6:7] scale_offset
	s_mov_b32 s4, 0
	s_wait_loadcnt 0x0
	v_subrev_nc_u32_e32 v22, s12, v22
	s_delay_alu instid0(VALU_DEP_1)
	v_mul_lo_u32 v22, v22, 14
.LBB288_16:                             ;   Parent Loop BB288_15 Depth=1
                                        ; =>  This Inner Loop Header: Depth=2
	s_delay_alu instid0(VALU_DEP_1)
	v_dual_add_nc_u32 v23, s4, v21 :: v_dual_add_nc_u32 v48, s4, v22
	v_add3_u32 v49, v18, s4, 14
	s_add_co_i32 s4, s4, 2
	global_load_b128 v[24:27], v23, s[8:9] scale_offset
	global_load_b128 v[28:31], v48, s[10:11] scale_offset
	s_clause 0x1
	global_load_b128 v[32:35], v49, s[8:9] scale_offset
	global_load_b128 v[36:39], v23, s[8:9] offset:16 scale_offset
	global_load_b128 v[40:43], v48, s[10:11] offset:16 scale_offset
	;; [unrolled: 1-line block ×3, first 2 shown]
	s_cmp_eq_u32 s4, 14
	s_wait_loadcnt 0x4
	v_fmac_f64_e32 v[14:15], v[24:25], v[28:29]
	v_fmac_f64_e32 v[0:1], v[26:27], v[28:29]
	s_wait_loadcnt 0x3
	v_fmac_f64_e32 v[16:17], v[32:33], v[28:29]
	v_fmac_f64_e32 v[12:13], v[34:35], v[28:29]
	s_delay_alu instid0(VALU_DEP_4) | instskip(NEXT) | instid1(VALU_DEP_4)
	v_fma_f64 v[14:15], -v[26:27], v[30:31], v[14:15]
	v_fmac_f64_e32 v[0:1], v[24:25], v[30:31]
	s_delay_alu instid0(VALU_DEP_4) | instskip(NEXT) | instid1(VALU_DEP_4)
	v_fma_f64 v[16:17], -v[34:35], v[30:31], v[16:17]
	v_fmac_f64_e32 v[12:13], v[32:33], v[30:31]
	s_wait_loadcnt 0x1
	s_delay_alu instid0(VALU_DEP_4) | instskip(NEXT) | instid1(VALU_DEP_4)
	v_fmac_f64_e32 v[14:15], v[36:37], v[40:41]
	v_fmac_f64_e32 v[0:1], v[38:39], v[40:41]
	s_wait_loadcnt 0x0
	s_delay_alu instid0(VALU_DEP_4) | instskip(NEXT) | instid1(VALU_DEP_4)
	v_fmac_f64_e32 v[16:17], v[44:45], v[40:41]
	v_fmac_f64_e32 v[12:13], v[46:47], v[40:41]
	s_delay_alu instid0(VALU_DEP_4) | instskip(NEXT) | instid1(VALU_DEP_4)
	v_fma_f64 v[14:15], -v[38:39], v[42:43], v[14:15]
	v_fmac_f64_e32 v[0:1], v[36:37], v[42:43]
	s_delay_alu instid0(VALU_DEP_4) | instskip(NEXT) | instid1(VALU_DEP_4)
	v_fma_f64 v[16:17], -v[46:47], v[42:43], v[16:17]
	v_fmac_f64_e32 v[12:13], v[44:45], v[42:43]
	s_cbranch_scc0 .LBB288_16
; %bb.17:                               ;   in Loop: Header=BB288_15 Depth=1
	v_add_nc_u32_e32 v20, 4, v20
	v_add_nc_u32_e32 v18, 0x70, v18
	;; [unrolled: 1-line block ×3, first 2 shown]
	s_delay_alu instid0(VALU_DEP_3) | instskip(SKIP_1) | instid1(SALU_CYCLE_1)
	v_cmp_ge_i32_e32 vcc_lo, v20, v19
	s_or_b32 s2, vcc_lo, s2
	s_and_not1_b32 exec_lo, exec_lo, s2
	s_cbranch_execnz .LBB288_15
; %bb.18:
	s_or_b32 exec_lo, exec_lo, s2
.LBB288_19:
	s_delay_alu instid0(SALU_CYCLE_1)
	s_or_b32 exec_lo, exec_lo, s3
.LBB288_20:
	v_mbcnt_lo_u32_b32 v28, -1, 0
	s_delay_alu instid0(VALU_DEP_1) | instskip(NEXT) | instid1(VALU_DEP_1)
	v_xor_b32_e32 v18, 2, v28
	v_cmp_gt_i32_e32 vcc_lo, 32, v18
	v_cndmask_b32_e32 v18, v28, v18, vcc_lo
	s_delay_alu instid0(VALU_DEP_1)
	v_lshlrev_b32_e32 v22, 2, v18
	ds_bpermute_b32 v20, v22, v0
	ds_bpermute_b32 v21, v22, v1
	s_wait_dscnt 0x0
	v_add_f64_e32 v[20:21], v[0:1], v[20:21]
	ds_bpermute_b32 v18, v22, v14
	ds_bpermute_b32 v19, v22, v15
	;; [unrolled: 1-line block ×6, first 2 shown]
	v_xor_b32_e32 v0, 1, v28
	s_delay_alu instid0(VALU_DEP_1)
	v_cmp_gt_i32_e32 vcc_lo, 32, v0
	v_cndmask_b32_e32 v0, v28, v0, vcc_lo
	v_cmp_eq_u32_e32 vcc_lo, 3, v11
	s_wait_dscnt 0x4
	v_add_f64_e32 v[22:23], v[14:15], v[18:19]
	s_wait_dscnt 0x2
	v_add_f64_e32 v[14:15], v[16:17], v[24:25]
	s_wait_dscnt 0x0
	v_dual_add_f64 v[18:19], v[12:13], v[26:27] :: v_dual_lshlrev_b32 v25, 2, v0
	ds_bpermute_b32 v16, v25, v20
	ds_bpermute_b32 v17, v25, v21
	;; [unrolled: 1-line block ×8, first 2 shown]
	s_and_b32 exec_lo, exec_lo, vcc_lo
	s_cbranch_execz .LBB288_25
; %bb.21:
	v_cmp_eq_f64_e32 vcc_lo, 0, v[6:7]
	v_cmp_eq_f64_e64 s2, 0, v[8:9]
	s_wait_dscnt 0x4
	v_add_f64_e32 v[0:1], v[22:23], v[0:1]
	v_add_f64_e32 v[16:17], v[20:21], v[16:17]
	s_wait_dscnt 0x2
	v_add_f64_e32 v[12:13], v[14:15], v[12:13]
	s_wait_dscnt 0x0
	v_add_f64_e32 v[14:15], v[18:19], v[24:25]
	s_load_b64 s[0:1], s[0:1], 0x48
	s_and_b32 s2, vcc_lo, s2
	s_delay_alu instid0(SALU_CYCLE_1) | instskip(NEXT) | instid1(SALU_CYCLE_1)
	s_and_saveexec_b32 s3, s2
	s_xor_b32 s2, exec_lo, s3
	s_cbranch_execz .LBB288_23
; %bb.22:
	s_delay_alu instid0(VALU_DEP_3) | instskip(SKIP_1) | instid1(VALU_DEP_3)
	v_mul_f64_e64 v[6:7], v[16:17], -v[4:5]
	v_mul_f64_e32 v[8:9], v[2:3], v[16:17]
	v_mul_f64_e64 v[16:17], v[14:15], -v[4:5]
	v_mul_f64_e32 v[18:19], v[2:3], v[14:15]
                                        ; implicit-def: $vgpr14_vgpr15
	s_delay_alu instid0(VALU_DEP_4) | instskip(NEXT) | instid1(VALU_DEP_4)
	v_fmac_f64_e32 v[6:7], v[2:3], v[0:1]
	v_fmac_f64_e32 v[8:9], v[4:5], v[0:1]
	s_delay_alu instid0(VALU_DEP_4) | instskip(NEXT) | instid1(VALU_DEP_4)
	v_fmac_f64_e32 v[16:17], v[2:3], v[12:13]
	v_fmac_f64_e32 v[18:19], v[4:5], v[12:13]
	v_lshlrev_b32_e32 v0, 1, v10
                                        ; implicit-def: $vgpr10
                                        ; implicit-def: $vgpr12_vgpr13
                                        ; implicit-def: $vgpr4_vgpr5
	s_wait_kmcnt 0x0
	s_clause 0x1
	global_store_b128 v0, v[6:9], s[0:1] scale_offset
	global_store_b128 v0, v[16:19], s[0:1] offset:16 scale_offset
                                        ; implicit-def: $vgpr0_vgpr1
                                        ; implicit-def: $vgpr16_vgpr17
                                        ; implicit-def: $vgpr8_vgpr9
.LBB288_23:
	s_wait_xcnt 0x0
	s_and_not1_saveexec_b32 s2, s2
	s_cbranch_execz .LBB288_25
; %bb.24:
	s_delay_alu instid0(VALU_DEP_3) | instskip(SKIP_1) | instid1(VALU_DEP_3)
	v_dual_mul_f64 v[26:27], v[16:17], -v[4:5] :: v_dual_lshlrev_b32 v30, 1, v10
	v_mul_f64_e32 v[16:17], v[2:3], v[16:17]
	v_mul_f64_e64 v[28:29], v[14:15], -v[4:5]
	v_mul_f64_e32 v[10:11], v[2:3], v[14:15]
	s_wait_kmcnt 0x0
	s_clause 0x1
	global_load_b128 v[18:21], v30, s[0:1] scale_offset
	global_load_b128 v[22:25], v30, s[0:1] offset:16 scale_offset
	v_fmac_f64_e32 v[26:27], v[2:3], v[0:1]
	v_fmac_f64_e32 v[16:17], v[4:5], v[0:1]
	;; [unrolled: 1-line block ×4, first 2 shown]
	s_wait_loadcnt 0x1
	s_delay_alu instid0(VALU_DEP_4) | instskip(NEXT) | instid1(VALU_DEP_4)
	v_fmac_f64_e32 v[26:27], v[6:7], v[18:19]
	v_fmac_f64_e32 v[16:17], v[8:9], v[18:19]
	s_wait_loadcnt 0x0
	s_delay_alu instid0(VALU_DEP_4) | instskip(NEXT) | instid1(VALU_DEP_4)
	v_fmac_f64_e32 v[28:29], v[6:7], v[22:23]
	v_fmac_f64_e32 v[10:11], v[8:9], v[22:23]
	s_delay_alu instid0(VALU_DEP_4) | instskip(NEXT) | instid1(VALU_DEP_4)
	v_fma_f64 v[14:15], -v[8:9], v[20:21], v[26:27]
	v_fmac_f64_e32 v[16:17], v[6:7], v[20:21]
	s_delay_alu instid0(VALU_DEP_4) | instskip(NEXT) | instid1(VALU_DEP_4)
	v_fma_f64 v[8:9], -v[8:9], v[24:25], v[28:29]
	v_fmac_f64_e32 v[10:11], v[6:7], v[24:25]
	s_clause 0x1
	global_store_b128 v30, v[14:17], s[0:1] scale_offset
	global_store_b128 v30, v[8:11], s[0:1] offset:16 scale_offset
.LBB288_25:
	s_endpgm
	.section	.rodata,"a",@progbits
	.p2align	6, 0x0
	.amdhsa_kernel _ZN9rocsparseL19gebsrmvn_2xn_kernelILj128ELj14ELj4E21rocsparse_complex_numIdEEEvi20rocsparse_direction_NS_24const_host_device_scalarIT2_EEPKiS8_PKS5_SA_S6_PS5_21rocsparse_index_base_b
		.amdhsa_group_segment_fixed_size 0
		.amdhsa_private_segment_fixed_size 0
		.amdhsa_kernarg_size 88
		.amdhsa_user_sgpr_count 2
		.amdhsa_user_sgpr_dispatch_ptr 0
		.amdhsa_user_sgpr_queue_ptr 0
		.amdhsa_user_sgpr_kernarg_segment_ptr 1
		.amdhsa_user_sgpr_dispatch_id 0
		.amdhsa_user_sgpr_kernarg_preload_length 0
		.amdhsa_user_sgpr_kernarg_preload_offset 0
		.amdhsa_user_sgpr_private_segment_size 0
		.amdhsa_wavefront_size32 1
		.amdhsa_uses_dynamic_stack 0
		.amdhsa_enable_private_segment 0
		.amdhsa_system_sgpr_workgroup_id_x 1
		.amdhsa_system_sgpr_workgroup_id_y 0
		.amdhsa_system_sgpr_workgroup_id_z 0
		.amdhsa_system_sgpr_workgroup_info 0
		.amdhsa_system_vgpr_workitem_id 0
		.amdhsa_next_free_vgpr 50
		.amdhsa_next_free_sgpr 14
		.amdhsa_named_barrier_count 0
		.amdhsa_reserve_vcc 1
		.amdhsa_float_round_mode_32 0
		.amdhsa_float_round_mode_16_64 0
		.amdhsa_float_denorm_mode_32 3
		.amdhsa_float_denorm_mode_16_64 3
		.amdhsa_fp16_overflow 0
		.amdhsa_memory_ordered 1
		.amdhsa_forward_progress 1
		.amdhsa_inst_pref_size 14
		.amdhsa_round_robin_scheduling 0
		.amdhsa_exception_fp_ieee_invalid_op 0
		.amdhsa_exception_fp_denorm_src 0
		.amdhsa_exception_fp_ieee_div_zero 0
		.amdhsa_exception_fp_ieee_overflow 0
		.amdhsa_exception_fp_ieee_underflow 0
		.amdhsa_exception_fp_ieee_inexact 0
		.amdhsa_exception_int_div_zero 0
	.end_amdhsa_kernel
	.section	.text._ZN9rocsparseL19gebsrmvn_2xn_kernelILj128ELj14ELj4E21rocsparse_complex_numIdEEEvi20rocsparse_direction_NS_24const_host_device_scalarIT2_EEPKiS8_PKS5_SA_S6_PS5_21rocsparse_index_base_b,"axG",@progbits,_ZN9rocsparseL19gebsrmvn_2xn_kernelILj128ELj14ELj4E21rocsparse_complex_numIdEEEvi20rocsparse_direction_NS_24const_host_device_scalarIT2_EEPKiS8_PKS5_SA_S6_PS5_21rocsparse_index_base_b,comdat
.Lfunc_end288:
	.size	_ZN9rocsparseL19gebsrmvn_2xn_kernelILj128ELj14ELj4E21rocsparse_complex_numIdEEEvi20rocsparse_direction_NS_24const_host_device_scalarIT2_EEPKiS8_PKS5_SA_S6_PS5_21rocsparse_index_base_b, .Lfunc_end288-_ZN9rocsparseL19gebsrmvn_2xn_kernelILj128ELj14ELj4E21rocsparse_complex_numIdEEEvi20rocsparse_direction_NS_24const_host_device_scalarIT2_EEPKiS8_PKS5_SA_S6_PS5_21rocsparse_index_base_b
                                        ; -- End function
	.set _ZN9rocsparseL19gebsrmvn_2xn_kernelILj128ELj14ELj4E21rocsparse_complex_numIdEEEvi20rocsparse_direction_NS_24const_host_device_scalarIT2_EEPKiS8_PKS5_SA_S6_PS5_21rocsparse_index_base_b.num_vgpr, 50
	.set _ZN9rocsparseL19gebsrmvn_2xn_kernelILj128ELj14ELj4E21rocsparse_complex_numIdEEEvi20rocsparse_direction_NS_24const_host_device_scalarIT2_EEPKiS8_PKS5_SA_S6_PS5_21rocsparse_index_base_b.num_agpr, 0
	.set _ZN9rocsparseL19gebsrmvn_2xn_kernelILj128ELj14ELj4E21rocsparse_complex_numIdEEEvi20rocsparse_direction_NS_24const_host_device_scalarIT2_EEPKiS8_PKS5_SA_S6_PS5_21rocsparse_index_base_b.numbered_sgpr, 14
	.set _ZN9rocsparseL19gebsrmvn_2xn_kernelILj128ELj14ELj4E21rocsparse_complex_numIdEEEvi20rocsparse_direction_NS_24const_host_device_scalarIT2_EEPKiS8_PKS5_SA_S6_PS5_21rocsparse_index_base_b.num_named_barrier, 0
	.set _ZN9rocsparseL19gebsrmvn_2xn_kernelILj128ELj14ELj4E21rocsparse_complex_numIdEEEvi20rocsparse_direction_NS_24const_host_device_scalarIT2_EEPKiS8_PKS5_SA_S6_PS5_21rocsparse_index_base_b.private_seg_size, 0
	.set _ZN9rocsparseL19gebsrmvn_2xn_kernelILj128ELj14ELj4E21rocsparse_complex_numIdEEEvi20rocsparse_direction_NS_24const_host_device_scalarIT2_EEPKiS8_PKS5_SA_S6_PS5_21rocsparse_index_base_b.uses_vcc, 1
	.set _ZN9rocsparseL19gebsrmvn_2xn_kernelILj128ELj14ELj4E21rocsparse_complex_numIdEEEvi20rocsparse_direction_NS_24const_host_device_scalarIT2_EEPKiS8_PKS5_SA_S6_PS5_21rocsparse_index_base_b.uses_flat_scratch, 0
	.set _ZN9rocsparseL19gebsrmvn_2xn_kernelILj128ELj14ELj4E21rocsparse_complex_numIdEEEvi20rocsparse_direction_NS_24const_host_device_scalarIT2_EEPKiS8_PKS5_SA_S6_PS5_21rocsparse_index_base_b.has_dyn_sized_stack, 0
	.set _ZN9rocsparseL19gebsrmvn_2xn_kernelILj128ELj14ELj4E21rocsparse_complex_numIdEEEvi20rocsparse_direction_NS_24const_host_device_scalarIT2_EEPKiS8_PKS5_SA_S6_PS5_21rocsparse_index_base_b.has_recursion, 0
	.set _ZN9rocsparseL19gebsrmvn_2xn_kernelILj128ELj14ELj4E21rocsparse_complex_numIdEEEvi20rocsparse_direction_NS_24const_host_device_scalarIT2_EEPKiS8_PKS5_SA_S6_PS5_21rocsparse_index_base_b.has_indirect_call, 0
	.section	.AMDGPU.csdata,"",@progbits
; Kernel info:
; codeLenInByte = 1676
; TotalNumSgprs: 16
; NumVgprs: 50
; ScratchSize: 0
; MemoryBound: 0
; FloatMode: 240
; IeeeMode: 1
; LDSByteSize: 0 bytes/workgroup (compile time only)
; SGPRBlocks: 0
; VGPRBlocks: 3
; NumSGPRsForWavesPerEU: 16
; NumVGPRsForWavesPerEU: 50
; NamedBarCnt: 0
; Occupancy: 16
; WaveLimiterHint : 1
; COMPUTE_PGM_RSRC2:SCRATCH_EN: 0
; COMPUTE_PGM_RSRC2:USER_SGPR: 2
; COMPUTE_PGM_RSRC2:TRAP_HANDLER: 0
; COMPUTE_PGM_RSRC2:TGID_X_EN: 1
; COMPUTE_PGM_RSRC2:TGID_Y_EN: 0
; COMPUTE_PGM_RSRC2:TGID_Z_EN: 0
; COMPUTE_PGM_RSRC2:TIDIG_COMP_CNT: 0
	.section	.text._ZN9rocsparseL19gebsrmvn_2xn_kernelILj128ELj14ELj8E21rocsparse_complex_numIdEEEvi20rocsparse_direction_NS_24const_host_device_scalarIT2_EEPKiS8_PKS5_SA_S6_PS5_21rocsparse_index_base_b,"axG",@progbits,_ZN9rocsparseL19gebsrmvn_2xn_kernelILj128ELj14ELj8E21rocsparse_complex_numIdEEEvi20rocsparse_direction_NS_24const_host_device_scalarIT2_EEPKiS8_PKS5_SA_S6_PS5_21rocsparse_index_base_b,comdat
	.globl	_ZN9rocsparseL19gebsrmvn_2xn_kernelILj128ELj14ELj8E21rocsparse_complex_numIdEEEvi20rocsparse_direction_NS_24const_host_device_scalarIT2_EEPKiS8_PKS5_SA_S6_PS5_21rocsparse_index_base_b ; -- Begin function _ZN9rocsparseL19gebsrmvn_2xn_kernelILj128ELj14ELj8E21rocsparse_complex_numIdEEEvi20rocsparse_direction_NS_24const_host_device_scalarIT2_EEPKiS8_PKS5_SA_S6_PS5_21rocsparse_index_base_b
	.p2align	8
	.type	_ZN9rocsparseL19gebsrmvn_2xn_kernelILj128ELj14ELj8E21rocsparse_complex_numIdEEEvi20rocsparse_direction_NS_24const_host_device_scalarIT2_EEPKiS8_PKS5_SA_S6_PS5_21rocsparse_index_base_b,@function
_ZN9rocsparseL19gebsrmvn_2xn_kernelILj128ELj14ELj8E21rocsparse_complex_numIdEEEvi20rocsparse_direction_NS_24const_host_device_scalarIT2_EEPKiS8_PKS5_SA_S6_PS5_21rocsparse_index_base_b: ; @_ZN9rocsparseL19gebsrmvn_2xn_kernelILj128ELj14ELj8E21rocsparse_complex_numIdEEEvi20rocsparse_direction_NS_24const_host_device_scalarIT2_EEPKiS8_PKS5_SA_S6_PS5_21rocsparse_index_base_b
; %bb.0:
	s_clause 0x1
	s_load_b64 s[12:13], s[0:1], 0x50
	s_load_b64 s[2:3], s[0:1], 0x8
	v_mov_b32_e32 v1, 0
	s_add_nc_u64 s[4:5], s[0:1], 8
	s_load_b64 s[6:7], s[0:1], 0x38
	s_wait_kmcnt 0x0
	s_bitcmp1_b32 s13, 0
	s_cselect_b32 s3, s5, s3
	s_cselect_b32 s2, s4, s2
	flat_load_b128 v[2:5], v1, s[2:3]
	s_wait_xcnt 0x0
	s_add_nc_u64 s[2:3], s[0:1], 56
	s_delay_alu instid0(SALU_CYCLE_1)
	s_cselect_b32 s3, s3, s7
	s_cselect_b32 s2, s2, s6
	flat_load_b128 v[6:9], v1, s[2:3]
	s_wait_loadcnt_dscnt 0x101
	v_cmp_eq_f64_e32 vcc_lo, 0, v[2:3]
	s_wait_xcnt 0x0
	v_cmp_eq_f64_e64 s2, 0, v[4:5]
	s_and_b32 s4, vcc_lo, s2
	s_mov_b32 s2, -1
	s_and_saveexec_b32 s3, s4
	s_cbranch_execz .LBB289_2
; %bb.1:
	s_wait_loadcnt_dscnt 0x0
	v_cmp_neq_f64_e32 vcc_lo, 1.0, v[6:7]
	v_cmp_neq_f64_e64 s2, 0, v[8:9]
	s_or_b32 s2, vcc_lo, s2
	s_delay_alu instid0(SALU_CYCLE_1)
	s_or_not1_b32 s2, s2, exec_lo
.LBB289_2:
	s_or_b32 exec_lo, exec_lo, s3
	s_and_saveexec_b32 s3, s2
	s_cbranch_execz .LBB289_25
; %bb.3:
	s_load_b64 s[2:3], s[0:1], 0x0
	s_bfe_u32 s4, ttmp6, 0x4000c
	s_and_b32 s5, ttmp6, 15
	s_add_co_i32 s4, s4, 1
	s_getreg_b32 s6, hwreg(HW_REG_IB_STS2, 6, 4)
	s_mul_i32 s4, ttmp9, s4
	v_lshrrev_b32_e32 v1, 3, v0
	s_add_co_i32 s5, s5, s4
	s_cmp_eq_u32 s6, 0
	s_cselect_b32 s4, ttmp9, s5
	s_delay_alu instid0(VALU_DEP_1) | instid1(SALU_CYCLE_1)
	v_lshl_or_b32 v10, s4, 4, v1
	s_wait_kmcnt 0x0
	s_delay_alu instid0(VALU_DEP_1)
	v_cmp_gt_i32_e32 vcc_lo, s2, v10
	s_and_b32 exec_lo, exec_lo, vcc_lo
	s_cbranch_execz .LBB289_25
; %bb.4:
	s_load_b256 s[4:11], s[0:1], 0x18
	v_ashrrev_i32_e32 v11, 31, v10
	s_cmp_lg_u32 s3, 0
	s_wait_kmcnt 0x0
	s_delay_alu instid0(VALU_DEP_1)
	v_lshl_add_u64 v[12:13], v[10:11], 2, s[4:5]
	v_and_b32_e32 v11, 7, v0
	global_load_b64 v[18:19], v[12:13], off
	s_wait_loadcnt 0x0
	v_subrev_nc_u32_e32 v0, s12, v18
	v_subrev_nc_u32_e32 v19, s12, v19
	s_delay_alu instid0(VALU_DEP_2) | instskip(NEXT) | instid1(VALU_DEP_1)
	v_add_nc_u32_e32 v20, v0, v11
	v_cmp_lt_i32_e64 s2, v20, v19
	s_cbranch_scc0 .LBB289_12
; %bb.5:
	v_mov_b64_e32 v[0:1], 0
	v_mov_b64_e32 v[14:15], 0
	;; [unrolled: 1-line block ×4, first 2 shown]
	s_and_saveexec_b32 s3, s2
	s_cbranch_execz .LBB289_11
; %bb.6:
	v_mul_lo_u32 v21, v20, 28
	v_mov_b64_e32 v[0:1], 0
	v_mov_b64_e32 v[14:15], 0
	;; [unrolled: 1-line block ×4, first 2 shown]
	v_mov_b32_e32 v22, v20
	s_mov_b32 s4, 0
.LBB289_7:                              ; =>This Loop Header: Depth=1
                                        ;     Child Loop BB289_8 Depth 2
	global_load_b32 v23, v22, s[6:7] scale_offset
	v_mov_b32_e32 v24, v21
	s_mov_b32 s5, 0
	s_wait_loadcnt 0x0
	v_subrev_nc_u32_e32 v23, s12, v23
	s_delay_alu instid0(VALU_DEP_1)
	v_mul_lo_u32 v23, v23, 14
.LBB289_8:                              ;   Parent Loop BB289_7 Depth=1
                                        ; =>  This Inner Loop Header: Depth=2
	s_delay_alu instid0(VALU_DEP_1)
	v_add_nc_u32_e32 v25, s5, v23
	s_add_co_i32 s5, s5, 2
	s_clause 0x1
	global_load_b128 v[26:29], v24, s[8:9] offset:16 scale_offset
	global_load_b128 v[30:33], v24, s[8:9] scale_offset
	s_clause 0x1
	global_load_b128 v[34:37], v25, s[10:11] scale_offset
	global_load_b128 v[38:41], v25, s[10:11] offset:16 scale_offset
	s_clause 0x1
	global_load_b128 v[42:45], v24, s[8:9] offset:32 scale_offset
	global_load_b128 v[46:49], v24, s[8:9] offset:48 scale_offset
	s_wait_xcnt 0x0
	v_add_nc_u32_e32 v24, 4, v24
	s_cmp_eq_u32 s5, 14
	s_wait_loadcnt 0x3
	v_fmac_f64_e32 v[14:15], v[30:31], v[34:35]
	v_fmac_f64_e32 v[0:1], v[32:33], v[34:35]
	;; [unrolled: 1-line block ×4, first 2 shown]
	s_delay_alu instid0(VALU_DEP_4) | instskip(NEXT) | instid1(VALU_DEP_4)
	v_fma_f64 v[14:15], -v[32:33], v[36:37], v[14:15]
	v_fmac_f64_e32 v[0:1], v[30:31], v[36:37]
	s_delay_alu instid0(VALU_DEP_4) | instskip(NEXT) | instid1(VALU_DEP_4)
	v_fma_f64 v[16:17], -v[28:29], v[36:37], v[16:17]
	v_fmac_f64_e32 v[12:13], v[26:27], v[36:37]
	s_wait_loadcnt 0x1
	s_delay_alu instid0(VALU_DEP_4) | instskip(NEXT) | instid1(VALU_DEP_4)
	v_fmac_f64_e32 v[14:15], v[42:43], v[38:39]
	v_fmac_f64_e32 v[0:1], v[44:45], v[38:39]
	s_wait_loadcnt 0x0
	s_delay_alu instid0(VALU_DEP_4) | instskip(NEXT) | instid1(VALU_DEP_4)
	v_fmac_f64_e32 v[16:17], v[46:47], v[38:39]
	v_fmac_f64_e32 v[12:13], v[48:49], v[38:39]
	s_delay_alu instid0(VALU_DEP_4) | instskip(NEXT) | instid1(VALU_DEP_4)
	v_fma_f64 v[14:15], -v[44:45], v[40:41], v[14:15]
	v_fmac_f64_e32 v[0:1], v[42:43], v[40:41]
	s_delay_alu instid0(VALU_DEP_4) | instskip(NEXT) | instid1(VALU_DEP_4)
	v_fma_f64 v[16:17], -v[48:49], v[40:41], v[16:17]
	v_fmac_f64_e32 v[12:13], v[46:47], v[40:41]
	s_cbranch_scc0 .LBB289_8
; %bb.9:                                ;   in Loop: Header=BB289_7 Depth=1
	v_add_nc_u32_e32 v22, 8, v22
	v_add_nc_u32_e32 v21, 0xe0, v21
	s_delay_alu instid0(VALU_DEP_2) | instskip(SKIP_1) | instid1(SALU_CYCLE_1)
	v_cmp_ge_i32_e32 vcc_lo, v22, v19
	s_or_b32 s4, vcc_lo, s4
	s_and_not1_b32 exec_lo, exec_lo, s4
	s_cbranch_execnz .LBB289_7
; %bb.10:
	s_or_b32 exec_lo, exec_lo, s4
.LBB289_11:
	s_delay_alu instid0(SALU_CYCLE_1)
	s_or_b32 exec_lo, exec_lo, s3
	s_cbranch_execz .LBB289_13
	s_branch .LBB289_20
.LBB289_12:
                                        ; implicit-def: $vgpr0_vgpr1
                                        ; implicit-def: $vgpr14_vgpr15
                                        ; implicit-def: $vgpr16_vgpr17
                                        ; implicit-def: $vgpr12_vgpr13
.LBB289_13:
	v_mov_b64_e32 v[0:1], 0
	v_mov_b64_e32 v[14:15], 0
	;; [unrolled: 1-line block ×4, first 2 shown]
	s_and_saveexec_b32 s3, s2
	s_cbranch_execz .LBB289_19
; %bb.14:
	v_mul_u32_u24_e32 v0, 28, v11
	s_mul_i32 s2, s12, 28
	v_mov_b64_e32 v[14:15], 0
	v_mov_b64_e32 v[16:17], 0
	;; [unrolled: 1-line block ×3, first 2 shown]
	v_mad_u32 v21, v18, 28, v0
	v_mul_lo_u32 v18, v20, 28
	v_mov_b64_e32 v[0:1], 0
	s_delay_alu instid0(VALU_DEP_3)
	v_subrev_nc_u32_e32 v21, s2, v21
	s_mov_b32 s2, 0
.LBB289_15:                             ; =>This Loop Header: Depth=1
                                        ;     Child Loop BB289_16 Depth 2
	global_load_b32 v22, v20, s[6:7] scale_offset
	s_mov_b32 s4, 0
	s_wait_loadcnt 0x0
	v_subrev_nc_u32_e32 v22, s12, v22
	s_delay_alu instid0(VALU_DEP_1)
	v_mul_lo_u32 v22, v22, 14
.LBB289_16:                             ;   Parent Loop BB289_15 Depth=1
                                        ; =>  This Inner Loop Header: Depth=2
	s_delay_alu instid0(VALU_DEP_1)
	v_dual_add_nc_u32 v23, s4, v21 :: v_dual_add_nc_u32 v48, s4, v22
	v_add3_u32 v49, v18, s4, 14
	s_add_co_i32 s4, s4, 2
	global_load_b128 v[24:27], v23, s[8:9] scale_offset
	global_load_b128 v[28:31], v48, s[10:11] scale_offset
	s_clause 0x1
	global_load_b128 v[32:35], v49, s[8:9] scale_offset
	global_load_b128 v[36:39], v23, s[8:9] offset:16 scale_offset
	global_load_b128 v[40:43], v48, s[10:11] offset:16 scale_offset
	;; [unrolled: 1-line block ×3, first 2 shown]
	s_cmp_eq_u32 s4, 14
	s_wait_loadcnt 0x4
	v_fmac_f64_e32 v[14:15], v[24:25], v[28:29]
	v_fmac_f64_e32 v[0:1], v[26:27], v[28:29]
	s_wait_loadcnt 0x3
	v_fmac_f64_e32 v[16:17], v[32:33], v[28:29]
	v_fmac_f64_e32 v[12:13], v[34:35], v[28:29]
	s_delay_alu instid0(VALU_DEP_4) | instskip(NEXT) | instid1(VALU_DEP_4)
	v_fma_f64 v[14:15], -v[26:27], v[30:31], v[14:15]
	v_fmac_f64_e32 v[0:1], v[24:25], v[30:31]
	s_delay_alu instid0(VALU_DEP_4) | instskip(NEXT) | instid1(VALU_DEP_4)
	v_fma_f64 v[16:17], -v[34:35], v[30:31], v[16:17]
	v_fmac_f64_e32 v[12:13], v[32:33], v[30:31]
	s_wait_loadcnt 0x1
	s_delay_alu instid0(VALU_DEP_4) | instskip(NEXT) | instid1(VALU_DEP_4)
	v_fmac_f64_e32 v[14:15], v[36:37], v[40:41]
	v_fmac_f64_e32 v[0:1], v[38:39], v[40:41]
	s_wait_loadcnt 0x0
	s_delay_alu instid0(VALU_DEP_4) | instskip(NEXT) | instid1(VALU_DEP_4)
	v_fmac_f64_e32 v[16:17], v[44:45], v[40:41]
	v_fmac_f64_e32 v[12:13], v[46:47], v[40:41]
	s_delay_alu instid0(VALU_DEP_4) | instskip(NEXT) | instid1(VALU_DEP_4)
	v_fma_f64 v[14:15], -v[38:39], v[42:43], v[14:15]
	v_fmac_f64_e32 v[0:1], v[36:37], v[42:43]
	s_delay_alu instid0(VALU_DEP_4) | instskip(NEXT) | instid1(VALU_DEP_4)
	v_fma_f64 v[16:17], -v[46:47], v[42:43], v[16:17]
	v_fmac_f64_e32 v[12:13], v[44:45], v[42:43]
	s_cbranch_scc0 .LBB289_16
; %bb.17:                               ;   in Loop: Header=BB289_15 Depth=1
	v_add_nc_u32_e32 v20, 8, v20
	v_add_nc_u32_e32 v18, 0xe0, v18
	;; [unrolled: 1-line block ×3, first 2 shown]
	s_delay_alu instid0(VALU_DEP_3) | instskip(SKIP_1) | instid1(SALU_CYCLE_1)
	v_cmp_ge_i32_e32 vcc_lo, v20, v19
	s_or_b32 s2, vcc_lo, s2
	s_and_not1_b32 exec_lo, exec_lo, s2
	s_cbranch_execnz .LBB289_15
; %bb.18:
	s_or_b32 exec_lo, exec_lo, s2
.LBB289_19:
	s_delay_alu instid0(SALU_CYCLE_1)
	s_or_b32 exec_lo, exec_lo, s3
.LBB289_20:
	v_mbcnt_lo_u32_b32 v28, -1, 0
	s_delay_alu instid0(VALU_DEP_1) | instskip(NEXT) | instid1(VALU_DEP_1)
	v_xor_b32_e32 v18, 4, v28
	v_cmp_gt_i32_e32 vcc_lo, 32, v18
	v_cndmask_b32_e32 v18, v28, v18, vcc_lo
	s_delay_alu instid0(VALU_DEP_1)
	v_lshlrev_b32_e32 v25, 2, v18
	ds_bpermute_b32 v18, v25, v14
	ds_bpermute_b32 v19, v25, v15
	;; [unrolled: 1-line block ×4, first 2 shown]
	s_wait_dscnt 0x2
	v_add_f64_e32 v[14:15], v[14:15], v[18:19]
	s_wait_dscnt 0x0
	v_add_f64_e32 v[18:19], v[0:1], v[20:21]
	ds_bpermute_b32 v22, v25, v16
	ds_bpermute_b32 v23, v25, v17
	;; [unrolled: 1-line block ×4, first 2 shown]
	v_xor_b32_e32 v0, 2, v28
	s_delay_alu instid0(VALU_DEP_1)
	v_cmp_gt_i32_e32 vcc_lo, 32, v0
	v_cndmask_b32_e32 v0, v28, v0, vcc_lo
	s_wait_dscnt 0x2
	v_add_f64_e32 v[20:21], v[16:17], v[22:23]
	s_wait_dscnt 0x0
	v_add_f64_e32 v[22:23], v[12:13], v[24:25]
	v_lshlrev_b32_e32 v16, 2, v0
	ds_bpermute_b32 v0, v16, v14
	ds_bpermute_b32 v1, v16, v15
	;; [unrolled: 1-line block ×8, first 2 shown]
	s_wait_dscnt 0x4
	v_add_f64_e32 v[16:17], v[18:19], v[12:13]
	v_xor_b32_e32 v18, 1, v28
	s_delay_alu instid0(VALU_DEP_1) | instskip(SKIP_3) | instid1(VALU_DEP_2)
	v_cmp_gt_i32_e32 vcc_lo, 32, v18
	v_dual_add_f64 v[0:1], v[14:15], v[0:1] :: v_dual_cndmask_b32 v18, v28, v18, vcc_lo
	v_cmp_eq_u32_e32 vcc_lo, 7, v11
	s_wait_dscnt 0x2
	v_dual_add_f64 v[12:13], v[20:21], v[24:25] :: v_dual_lshlrev_b32 v21, 2, v18
	s_wait_dscnt 0x0
	v_add_f64_e32 v[14:15], v[22:23], v[26:27]
	ds_bpermute_b32 v22, v21, v16
	ds_bpermute_b32 v23, v21, v17
	;; [unrolled: 1-line block ×8, first 2 shown]
	s_and_b32 exec_lo, exec_lo, vcc_lo
	s_cbranch_execz .LBB289_25
; %bb.21:
	v_cmp_eq_f64_e32 vcc_lo, 0, v[6:7]
	v_cmp_eq_f64_e64 s2, 0, v[8:9]
	s_wait_dscnt 0x4
	v_add_f64_e32 v[0:1], v[0:1], v[24:25]
	v_add_f64_e32 v[16:17], v[16:17], v[22:23]
	s_wait_dscnt 0x2
	v_add_f64_e32 v[12:13], v[12:13], v[18:19]
	s_wait_dscnt 0x0
	v_add_f64_e32 v[14:15], v[14:15], v[20:21]
	s_load_b64 s[0:1], s[0:1], 0x48
	s_and_b32 s2, vcc_lo, s2
	s_delay_alu instid0(SALU_CYCLE_1) | instskip(NEXT) | instid1(SALU_CYCLE_1)
	s_and_saveexec_b32 s3, s2
	s_xor_b32 s2, exec_lo, s3
	s_cbranch_execz .LBB289_23
; %bb.22:
	s_delay_alu instid0(VALU_DEP_3) | instskip(SKIP_1) | instid1(VALU_DEP_3)
	v_mul_f64_e64 v[6:7], v[16:17], -v[4:5]
	v_mul_f64_e32 v[8:9], v[2:3], v[16:17]
	v_mul_f64_e64 v[16:17], v[14:15], -v[4:5]
	v_mul_f64_e32 v[18:19], v[2:3], v[14:15]
                                        ; implicit-def: $vgpr14_vgpr15
	s_delay_alu instid0(VALU_DEP_4) | instskip(NEXT) | instid1(VALU_DEP_4)
	v_fmac_f64_e32 v[6:7], v[2:3], v[0:1]
	v_fmac_f64_e32 v[8:9], v[4:5], v[0:1]
	s_delay_alu instid0(VALU_DEP_4) | instskip(NEXT) | instid1(VALU_DEP_4)
	v_fmac_f64_e32 v[16:17], v[2:3], v[12:13]
	v_fmac_f64_e32 v[18:19], v[4:5], v[12:13]
	v_lshlrev_b32_e32 v0, 1, v10
                                        ; implicit-def: $vgpr10
                                        ; implicit-def: $vgpr12_vgpr13
                                        ; implicit-def: $vgpr4_vgpr5
	s_wait_kmcnt 0x0
	s_clause 0x1
	global_store_b128 v0, v[6:9], s[0:1] scale_offset
	global_store_b128 v0, v[16:19], s[0:1] offset:16 scale_offset
                                        ; implicit-def: $vgpr0_vgpr1
                                        ; implicit-def: $vgpr16_vgpr17
                                        ; implicit-def: $vgpr8_vgpr9
.LBB289_23:
	s_wait_xcnt 0x0
	s_and_not1_saveexec_b32 s2, s2
	s_cbranch_execz .LBB289_25
; %bb.24:
	s_delay_alu instid0(VALU_DEP_3) | instskip(SKIP_1) | instid1(VALU_DEP_3)
	v_dual_mul_f64 v[26:27], v[16:17], -v[4:5] :: v_dual_lshlrev_b32 v30, 1, v10
	v_mul_f64_e32 v[16:17], v[2:3], v[16:17]
	v_mul_f64_e64 v[28:29], v[14:15], -v[4:5]
	v_mul_f64_e32 v[10:11], v[2:3], v[14:15]
	s_wait_kmcnt 0x0
	s_clause 0x1
	global_load_b128 v[18:21], v30, s[0:1] scale_offset
	global_load_b128 v[22:25], v30, s[0:1] offset:16 scale_offset
	v_fmac_f64_e32 v[26:27], v[2:3], v[0:1]
	v_fmac_f64_e32 v[16:17], v[4:5], v[0:1]
	v_fmac_f64_e32 v[28:29], v[2:3], v[12:13]
	v_fmac_f64_e32 v[10:11], v[4:5], v[12:13]
	s_wait_loadcnt 0x1
	s_delay_alu instid0(VALU_DEP_4) | instskip(NEXT) | instid1(VALU_DEP_4)
	v_fmac_f64_e32 v[26:27], v[6:7], v[18:19]
	v_fmac_f64_e32 v[16:17], v[8:9], v[18:19]
	s_wait_loadcnt 0x0
	s_delay_alu instid0(VALU_DEP_4) | instskip(NEXT) | instid1(VALU_DEP_4)
	v_fmac_f64_e32 v[28:29], v[6:7], v[22:23]
	v_fmac_f64_e32 v[10:11], v[8:9], v[22:23]
	s_delay_alu instid0(VALU_DEP_4) | instskip(NEXT) | instid1(VALU_DEP_4)
	v_fma_f64 v[14:15], -v[8:9], v[20:21], v[26:27]
	v_fmac_f64_e32 v[16:17], v[6:7], v[20:21]
	s_delay_alu instid0(VALU_DEP_4) | instskip(NEXT) | instid1(VALU_DEP_4)
	v_fma_f64 v[8:9], -v[8:9], v[24:25], v[28:29]
	v_fmac_f64_e32 v[10:11], v[6:7], v[24:25]
	s_clause 0x1
	global_store_b128 v30, v[14:17], s[0:1] scale_offset
	global_store_b128 v30, v[8:11], s[0:1] offset:16 scale_offset
.LBB289_25:
	s_endpgm
	.section	.rodata,"a",@progbits
	.p2align	6, 0x0
	.amdhsa_kernel _ZN9rocsparseL19gebsrmvn_2xn_kernelILj128ELj14ELj8E21rocsparse_complex_numIdEEEvi20rocsparse_direction_NS_24const_host_device_scalarIT2_EEPKiS8_PKS5_SA_S6_PS5_21rocsparse_index_base_b
		.amdhsa_group_segment_fixed_size 0
		.amdhsa_private_segment_fixed_size 0
		.amdhsa_kernarg_size 88
		.amdhsa_user_sgpr_count 2
		.amdhsa_user_sgpr_dispatch_ptr 0
		.amdhsa_user_sgpr_queue_ptr 0
		.amdhsa_user_sgpr_kernarg_segment_ptr 1
		.amdhsa_user_sgpr_dispatch_id 0
		.amdhsa_user_sgpr_kernarg_preload_length 0
		.amdhsa_user_sgpr_kernarg_preload_offset 0
		.amdhsa_user_sgpr_private_segment_size 0
		.amdhsa_wavefront_size32 1
		.amdhsa_uses_dynamic_stack 0
		.amdhsa_enable_private_segment 0
		.amdhsa_system_sgpr_workgroup_id_x 1
		.amdhsa_system_sgpr_workgroup_id_y 0
		.amdhsa_system_sgpr_workgroup_id_z 0
		.amdhsa_system_sgpr_workgroup_info 0
		.amdhsa_system_vgpr_workitem_id 0
		.amdhsa_next_free_vgpr 50
		.amdhsa_next_free_sgpr 14
		.amdhsa_named_barrier_count 0
		.amdhsa_reserve_vcc 1
		.amdhsa_float_round_mode_32 0
		.amdhsa_float_round_mode_16_64 0
		.amdhsa_float_denorm_mode_32 3
		.amdhsa_float_denorm_mode_16_64 3
		.amdhsa_fp16_overflow 0
		.amdhsa_memory_ordered 1
		.amdhsa_forward_progress 1
		.amdhsa_inst_pref_size 14
		.amdhsa_round_robin_scheduling 0
		.amdhsa_exception_fp_ieee_invalid_op 0
		.amdhsa_exception_fp_denorm_src 0
		.amdhsa_exception_fp_ieee_div_zero 0
		.amdhsa_exception_fp_ieee_overflow 0
		.amdhsa_exception_fp_ieee_underflow 0
		.amdhsa_exception_fp_ieee_inexact 0
		.amdhsa_exception_int_div_zero 0
	.end_amdhsa_kernel
	.section	.text._ZN9rocsparseL19gebsrmvn_2xn_kernelILj128ELj14ELj8E21rocsparse_complex_numIdEEEvi20rocsparse_direction_NS_24const_host_device_scalarIT2_EEPKiS8_PKS5_SA_S6_PS5_21rocsparse_index_base_b,"axG",@progbits,_ZN9rocsparseL19gebsrmvn_2xn_kernelILj128ELj14ELj8E21rocsparse_complex_numIdEEEvi20rocsparse_direction_NS_24const_host_device_scalarIT2_EEPKiS8_PKS5_SA_S6_PS5_21rocsparse_index_base_b,comdat
.Lfunc_end289:
	.size	_ZN9rocsparseL19gebsrmvn_2xn_kernelILj128ELj14ELj8E21rocsparse_complex_numIdEEEvi20rocsparse_direction_NS_24const_host_device_scalarIT2_EEPKiS8_PKS5_SA_S6_PS5_21rocsparse_index_base_b, .Lfunc_end289-_ZN9rocsparseL19gebsrmvn_2xn_kernelILj128ELj14ELj8E21rocsparse_complex_numIdEEEvi20rocsparse_direction_NS_24const_host_device_scalarIT2_EEPKiS8_PKS5_SA_S6_PS5_21rocsparse_index_base_b
                                        ; -- End function
	.set _ZN9rocsparseL19gebsrmvn_2xn_kernelILj128ELj14ELj8E21rocsparse_complex_numIdEEEvi20rocsparse_direction_NS_24const_host_device_scalarIT2_EEPKiS8_PKS5_SA_S6_PS5_21rocsparse_index_base_b.num_vgpr, 50
	.set _ZN9rocsparseL19gebsrmvn_2xn_kernelILj128ELj14ELj8E21rocsparse_complex_numIdEEEvi20rocsparse_direction_NS_24const_host_device_scalarIT2_EEPKiS8_PKS5_SA_S6_PS5_21rocsparse_index_base_b.num_agpr, 0
	.set _ZN9rocsparseL19gebsrmvn_2xn_kernelILj128ELj14ELj8E21rocsparse_complex_numIdEEEvi20rocsparse_direction_NS_24const_host_device_scalarIT2_EEPKiS8_PKS5_SA_S6_PS5_21rocsparse_index_base_b.numbered_sgpr, 14
	.set _ZN9rocsparseL19gebsrmvn_2xn_kernelILj128ELj14ELj8E21rocsparse_complex_numIdEEEvi20rocsparse_direction_NS_24const_host_device_scalarIT2_EEPKiS8_PKS5_SA_S6_PS5_21rocsparse_index_base_b.num_named_barrier, 0
	.set _ZN9rocsparseL19gebsrmvn_2xn_kernelILj128ELj14ELj8E21rocsparse_complex_numIdEEEvi20rocsparse_direction_NS_24const_host_device_scalarIT2_EEPKiS8_PKS5_SA_S6_PS5_21rocsparse_index_base_b.private_seg_size, 0
	.set _ZN9rocsparseL19gebsrmvn_2xn_kernelILj128ELj14ELj8E21rocsparse_complex_numIdEEEvi20rocsparse_direction_NS_24const_host_device_scalarIT2_EEPKiS8_PKS5_SA_S6_PS5_21rocsparse_index_base_b.uses_vcc, 1
	.set _ZN9rocsparseL19gebsrmvn_2xn_kernelILj128ELj14ELj8E21rocsparse_complex_numIdEEEvi20rocsparse_direction_NS_24const_host_device_scalarIT2_EEPKiS8_PKS5_SA_S6_PS5_21rocsparse_index_base_b.uses_flat_scratch, 0
	.set _ZN9rocsparseL19gebsrmvn_2xn_kernelILj128ELj14ELj8E21rocsparse_complex_numIdEEEvi20rocsparse_direction_NS_24const_host_device_scalarIT2_EEPKiS8_PKS5_SA_S6_PS5_21rocsparse_index_base_b.has_dyn_sized_stack, 0
	.set _ZN9rocsparseL19gebsrmvn_2xn_kernelILj128ELj14ELj8E21rocsparse_complex_numIdEEEvi20rocsparse_direction_NS_24const_host_device_scalarIT2_EEPKiS8_PKS5_SA_S6_PS5_21rocsparse_index_base_b.has_recursion, 0
	.set _ZN9rocsparseL19gebsrmvn_2xn_kernelILj128ELj14ELj8E21rocsparse_complex_numIdEEEvi20rocsparse_direction_NS_24const_host_device_scalarIT2_EEPKiS8_PKS5_SA_S6_PS5_21rocsparse_index_base_b.has_indirect_call, 0
	.section	.AMDGPU.csdata,"",@progbits
; Kernel info:
; codeLenInByte = 1792
; TotalNumSgprs: 16
; NumVgprs: 50
; ScratchSize: 0
; MemoryBound: 0
; FloatMode: 240
; IeeeMode: 1
; LDSByteSize: 0 bytes/workgroup (compile time only)
; SGPRBlocks: 0
; VGPRBlocks: 3
; NumSGPRsForWavesPerEU: 16
; NumVGPRsForWavesPerEU: 50
; NamedBarCnt: 0
; Occupancy: 16
; WaveLimiterHint : 1
; COMPUTE_PGM_RSRC2:SCRATCH_EN: 0
; COMPUTE_PGM_RSRC2:USER_SGPR: 2
; COMPUTE_PGM_RSRC2:TRAP_HANDLER: 0
; COMPUTE_PGM_RSRC2:TGID_X_EN: 1
; COMPUTE_PGM_RSRC2:TGID_Y_EN: 0
; COMPUTE_PGM_RSRC2:TGID_Z_EN: 0
; COMPUTE_PGM_RSRC2:TIDIG_COMP_CNT: 0
	.section	.text._ZN9rocsparseL19gebsrmvn_2xn_kernelILj128ELj14ELj16E21rocsparse_complex_numIdEEEvi20rocsparse_direction_NS_24const_host_device_scalarIT2_EEPKiS8_PKS5_SA_S6_PS5_21rocsparse_index_base_b,"axG",@progbits,_ZN9rocsparseL19gebsrmvn_2xn_kernelILj128ELj14ELj16E21rocsparse_complex_numIdEEEvi20rocsparse_direction_NS_24const_host_device_scalarIT2_EEPKiS8_PKS5_SA_S6_PS5_21rocsparse_index_base_b,comdat
	.globl	_ZN9rocsparseL19gebsrmvn_2xn_kernelILj128ELj14ELj16E21rocsparse_complex_numIdEEEvi20rocsparse_direction_NS_24const_host_device_scalarIT2_EEPKiS8_PKS5_SA_S6_PS5_21rocsparse_index_base_b ; -- Begin function _ZN9rocsparseL19gebsrmvn_2xn_kernelILj128ELj14ELj16E21rocsparse_complex_numIdEEEvi20rocsparse_direction_NS_24const_host_device_scalarIT2_EEPKiS8_PKS5_SA_S6_PS5_21rocsparse_index_base_b
	.p2align	8
	.type	_ZN9rocsparseL19gebsrmvn_2xn_kernelILj128ELj14ELj16E21rocsparse_complex_numIdEEEvi20rocsparse_direction_NS_24const_host_device_scalarIT2_EEPKiS8_PKS5_SA_S6_PS5_21rocsparse_index_base_b,@function
_ZN9rocsparseL19gebsrmvn_2xn_kernelILj128ELj14ELj16E21rocsparse_complex_numIdEEEvi20rocsparse_direction_NS_24const_host_device_scalarIT2_EEPKiS8_PKS5_SA_S6_PS5_21rocsparse_index_base_b: ; @_ZN9rocsparseL19gebsrmvn_2xn_kernelILj128ELj14ELj16E21rocsparse_complex_numIdEEEvi20rocsparse_direction_NS_24const_host_device_scalarIT2_EEPKiS8_PKS5_SA_S6_PS5_21rocsparse_index_base_b
; %bb.0:
	s_clause 0x1
	s_load_b64 s[12:13], s[0:1], 0x50
	s_load_b64 s[2:3], s[0:1], 0x8
	v_mov_b32_e32 v1, 0
	s_add_nc_u64 s[4:5], s[0:1], 8
	s_load_b64 s[6:7], s[0:1], 0x38
	s_wait_kmcnt 0x0
	s_bitcmp1_b32 s13, 0
	s_cselect_b32 s3, s5, s3
	s_cselect_b32 s2, s4, s2
	flat_load_b128 v[2:5], v1, s[2:3]
	s_wait_xcnt 0x0
	s_add_nc_u64 s[2:3], s[0:1], 56
	s_delay_alu instid0(SALU_CYCLE_1)
	s_cselect_b32 s3, s3, s7
	s_cselect_b32 s2, s2, s6
	flat_load_b128 v[6:9], v1, s[2:3]
	s_wait_loadcnt_dscnt 0x101
	v_cmp_eq_f64_e32 vcc_lo, 0, v[2:3]
	s_wait_xcnt 0x0
	v_cmp_eq_f64_e64 s2, 0, v[4:5]
	s_and_b32 s4, vcc_lo, s2
	s_mov_b32 s2, -1
	s_and_saveexec_b32 s3, s4
	s_cbranch_execz .LBB290_2
; %bb.1:
	s_wait_loadcnt_dscnt 0x0
	v_cmp_neq_f64_e32 vcc_lo, 1.0, v[6:7]
	v_cmp_neq_f64_e64 s2, 0, v[8:9]
	s_or_b32 s2, vcc_lo, s2
	s_delay_alu instid0(SALU_CYCLE_1)
	s_or_not1_b32 s2, s2, exec_lo
.LBB290_2:
	s_or_b32 exec_lo, exec_lo, s3
	s_and_saveexec_b32 s3, s2
	s_cbranch_execz .LBB290_25
; %bb.3:
	s_load_b64 s[2:3], s[0:1], 0x0
	s_bfe_u32 s4, ttmp6, 0x4000c
	s_and_b32 s5, ttmp6, 15
	s_add_co_i32 s4, s4, 1
	s_getreg_b32 s6, hwreg(HW_REG_IB_STS2, 6, 4)
	s_mul_i32 s4, ttmp9, s4
	v_lshrrev_b32_e32 v1, 4, v0
	s_add_co_i32 s5, s5, s4
	s_cmp_eq_u32 s6, 0
	s_cselect_b32 s4, ttmp9, s5
	s_delay_alu instid0(VALU_DEP_1) | instid1(SALU_CYCLE_1)
	v_lshl_or_b32 v10, s4, 3, v1
	s_wait_kmcnt 0x0
	s_delay_alu instid0(VALU_DEP_1)
	v_cmp_gt_i32_e32 vcc_lo, s2, v10
	s_and_b32 exec_lo, exec_lo, vcc_lo
	s_cbranch_execz .LBB290_25
; %bb.4:
	s_load_b256 s[4:11], s[0:1], 0x18
	v_ashrrev_i32_e32 v11, 31, v10
	s_cmp_lg_u32 s3, 0
	s_wait_kmcnt 0x0
	s_delay_alu instid0(VALU_DEP_1)
	v_lshl_add_u64 v[12:13], v[10:11], 2, s[4:5]
	v_and_b32_e32 v11, 15, v0
	global_load_b64 v[18:19], v[12:13], off
	s_wait_loadcnt 0x0
	v_subrev_nc_u32_e32 v0, s12, v18
	v_subrev_nc_u32_e32 v19, s12, v19
	s_delay_alu instid0(VALU_DEP_2) | instskip(NEXT) | instid1(VALU_DEP_1)
	v_add_nc_u32_e32 v20, v0, v11
	v_cmp_lt_i32_e64 s2, v20, v19
	s_cbranch_scc0 .LBB290_12
; %bb.5:
	v_mov_b64_e32 v[0:1], 0
	v_mov_b64_e32 v[14:15], 0
	v_mov_b64_e32 v[16:17], 0
	v_mov_b64_e32 v[12:13], 0
	s_and_saveexec_b32 s3, s2
	s_cbranch_execz .LBB290_11
; %bb.6:
	v_mul_lo_u32 v21, v20, 28
	v_mov_b64_e32 v[0:1], 0
	v_mov_b64_e32 v[14:15], 0
	;; [unrolled: 1-line block ×4, first 2 shown]
	v_mov_b32_e32 v22, v20
	s_mov_b32 s4, 0
.LBB290_7:                              ; =>This Loop Header: Depth=1
                                        ;     Child Loop BB290_8 Depth 2
	global_load_b32 v23, v22, s[6:7] scale_offset
	v_mov_b32_e32 v24, v21
	s_mov_b32 s5, 0
	s_wait_loadcnt 0x0
	v_subrev_nc_u32_e32 v23, s12, v23
	s_delay_alu instid0(VALU_DEP_1)
	v_mul_lo_u32 v23, v23, 14
.LBB290_8:                              ;   Parent Loop BB290_7 Depth=1
                                        ; =>  This Inner Loop Header: Depth=2
	s_delay_alu instid0(VALU_DEP_1)
	v_add_nc_u32_e32 v25, s5, v23
	s_add_co_i32 s5, s5, 2
	s_clause 0x1
	global_load_b128 v[26:29], v24, s[8:9] offset:16 scale_offset
	global_load_b128 v[30:33], v24, s[8:9] scale_offset
	s_clause 0x1
	global_load_b128 v[34:37], v25, s[10:11] scale_offset
	global_load_b128 v[38:41], v25, s[10:11] offset:16 scale_offset
	s_clause 0x1
	global_load_b128 v[42:45], v24, s[8:9] offset:32 scale_offset
	global_load_b128 v[46:49], v24, s[8:9] offset:48 scale_offset
	s_wait_xcnt 0x0
	v_add_nc_u32_e32 v24, 4, v24
	s_cmp_eq_u32 s5, 14
	s_wait_loadcnt 0x3
	v_fmac_f64_e32 v[14:15], v[30:31], v[34:35]
	v_fmac_f64_e32 v[0:1], v[32:33], v[34:35]
	;; [unrolled: 1-line block ×4, first 2 shown]
	s_delay_alu instid0(VALU_DEP_4) | instskip(NEXT) | instid1(VALU_DEP_4)
	v_fma_f64 v[14:15], -v[32:33], v[36:37], v[14:15]
	v_fmac_f64_e32 v[0:1], v[30:31], v[36:37]
	s_delay_alu instid0(VALU_DEP_4) | instskip(NEXT) | instid1(VALU_DEP_4)
	v_fma_f64 v[16:17], -v[28:29], v[36:37], v[16:17]
	v_fmac_f64_e32 v[12:13], v[26:27], v[36:37]
	s_wait_loadcnt 0x1
	s_delay_alu instid0(VALU_DEP_4) | instskip(NEXT) | instid1(VALU_DEP_4)
	v_fmac_f64_e32 v[14:15], v[42:43], v[38:39]
	v_fmac_f64_e32 v[0:1], v[44:45], v[38:39]
	s_wait_loadcnt 0x0
	s_delay_alu instid0(VALU_DEP_4) | instskip(NEXT) | instid1(VALU_DEP_4)
	v_fmac_f64_e32 v[16:17], v[46:47], v[38:39]
	v_fmac_f64_e32 v[12:13], v[48:49], v[38:39]
	s_delay_alu instid0(VALU_DEP_4) | instskip(NEXT) | instid1(VALU_DEP_4)
	v_fma_f64 v[14:15], -v[44:45], v[40:41], v[14:15]
	v_fmac_f64_e32 v[0:1], v[42:43], v[40:41]
	s_delay_alu instid0(VALU_DEP_4) | instskip(NEXT) | instid1(VALU_DEP_4)
	v_fma_f64 v[16:17], -v[48:49], v[40:41], v[16:17]
	v_fmac_f64_e32 v[12:13], v[46:47], v[40:41]
	s_cbranch_scc0 .LBB290_8
; %bb.9:                                ;   in Loop: Header=BB290_7 Depth=1
	v_add_nc_u32_e32 v22, 16, v22
	v_add_nc_u32_e32 v21, 0x1c0, v21
	s_delay_alu instid0(VALU_DEP_2) | instskip(SKIP_1) | instid1(SALU_CYCLE_1)
	v_cmp_ge_i32_e32 vcc_lo, v22, v19
	s_or_b32 s4, vcc_lo, s4
	s_and_not1_b32 exec_lo, exec_lo, s4
	s_cbranch_execnz .LBB290_7
; %bb.10:
	s_or_b32 exec_lo, exec_lo, s4
.LBB290_11:
	s_delay_alu instid0(SALU_CYCLE_1)
	s_or_b32 exec_lo, exec_lo, s3
	s_cbranch_execz .LBB290_13
	s_branch .LBB290_20
.LBB290_12:
                                        ; implicit-def: $vgpr0_vgpr1
                                        ; implicit-def: $vgpr14_vgpr15
                                        ; implicit-def: $vgpr16_vgpr17
                                        ; implicit-def: $vgpr12_vgpr13
.LBB290_13:
	v_mov_b64_e32 v[0:1], 0
	v_mov_b64_e32 v[14:15], 0
	;; [unrolled: 1-line block ×4, first 2 shown]
	s_and_saveexec_b32 s3, s2
	s_cbranch_execz .LBB290_19
; %bb.14:
	v_mul_u32_u24_e32 v0, 28, v11
	s_mul_i32 s2, s12, 28
	v_mov_b64_e32 v[14:15], 0
	v_mov_b64_e32 v[16:17], 0
	;; [unrolled: 1-line block ×3, first 2 shown]
	v_mad_u32 v21, v18, 28, v0
	v_mul_lo_u32 v18, v20, 28
	v_mov_b64_e32 v[0:1], 0
	s_delay_alu instid0(VALU_DEP_3)
	v_subrev_nc_u32_e32 v21, s2, v21
	s_mov_b32 s2, 0
.LBB290_15:                             ; =>This Loop Header: Depth=1
                                        ;     Child Loop BB290_16 Depth 2
	global_load_b32 v22, v20, s[6:7] scale_offset
	s_mov_b32 s4, 0
	s_wait_loadcnt 0x0
	v_subrev_nc_u32_e32 v22, s12, v22
	s_delay_alu instid0(VALU_DEP_1)
	v_mul_lo_u32 v22, v22, 14
.LBB290_16:                             ;   Parent Loop BB290_15 Depth=1
                                        ; =>  This Inner Loop Header: Depth=2
	s_delay_alu instid0(VALU_DEP_1)
	v_dual_add_nc_u32 v23, s4, v21 :: v_dual_add_nc_u32 v48, s4, v22
	v_add3_u32 v49, v18, s4, 14
	s_add_co_i32 s4, s4, 2
	global_load_b128 v[24:27], v23, s[8:9] scale_offset
	global_load_b128 v[28:31], v48, s[10:11] scale_offset
	s_clause 0x1
	global_load_b128 v[32:35], v49, s[8:9] scale_offset
	global_load_b128 v[36:39], v23, s[8:9] offset:16 scale_offset
	global_load_b128 v[40:43], v48, s[10:11] offset:16 scale_offset
	;; [unrolled: 1-line block ×3, first 2 shown]
	s_cmp_eq_u32 s4, 14
	s_wait_loadcnt 0x4
	v_fmac_f64_e32 v[14:15], v[24:25], v[28:29]
	v_fmac_f64_e32 v[0:1], v[26:27], v[28:29]
	s_wait_loadcnt 0x3
	v_fmac_f64_e32 v[16:17], v[32:33], v[28:29]
	v_fmac_f64_e32 v[12:13], v[34:35], v[28:29]
	s_delay_alu instid0(VALU_DEP_4) | instskip(NEXT) | instid1(VALU_DEP_4)
	v_fma_f64 v[14:15], -v[26:27], v[30:31], v[14:15]
	v_fmac_f64_e32 v[0:1], v[24:25], v[30:31]
	s_delay_alu instid0(VALU_DEP_4) | instskip(NEXT) | instid1(VALU_DEP_4)
	v_fma_f64 v[16:17], -v[34:35], v[30:31], v[16:17]
	v_fmac_f64_e32 v[12:13], v[32:33], v[30:31]
	s_wait_loadcnt 0x1
	s_delay_alu instid0(VALU_DEP_4) | instskip(NEXT) | instid1(VALU_DEP_4)
	v_fmac_f64_e32 v[14:15], v[36:37], v[40:41]
	v_fmac_f64_e32 v[0:1], v[38:39], v[40:41]
	s_wait_loadcnt 0x0
	s_delay_alu instid0(VALU_DEP_4) | instskip(NEXT) | instid1(VALU_DEP_4)
	v_fmac_f64_e32 v[16:17], v[44:45], v[40:41]
	v_fmac_f64_e32 v[12:13], v[46:47], v[40:41]
	s_delay_alu instid0(VALU_DEP_4) | instskip(NEXT) | instid1(VALU_DEP_4)
	v_fma_f64 v[14:15], -v[38:39], v[42:43], v[14:15]
	v_fmac_f64_e32 v[0:1], v[36:37], v[42:43]
	s_delay_alu instid0(VALU_DEP_4) | instskip(NEXT) | instid1(VALU_DEP_4)
	v_fma_f64 v[16:17], -v[46:47], v[42:43], v[16:17]
	v_fmac_f64_e32 v[12:13], v[44:45], v[42:43]
	s_cbranch_scc0 .LBB290_16
; %bb.17:                               ;   in Loop: Header=BB290_15 Depth=1
	v_add_nc_u32_e32 v20, 16, v20
	v_add_nc_u32_e32 v18, 0x1c0, v18
	;; [unrolled: 1-line block ×3, first 2 shown]
	s_delay_alu instid0(VALU_DEP_3) | instskip(SKIP_1) | instid1(SALU_CYCLE_1)
	v_cmp_ge_i32_e32 vcc_lo, v20, v19
	s_or_b32 s2, vcc_lo, s2
	s_and_not1_b32 exec_lo, exec_lo, s2
	s_cbranch_execnz .LBB290_15
; %bb.18:
	s_or_b32 exec_lo, exec_lo, s2
.LBB290_19:
	s_delay_alu instid0(SALU_CYCLE_1)
	s_or_b32 exec_lo, exec_lo, s3
.LBB290_20:
	v_mbcnt_lo_u32_b32 v28, -1, 0
	s_delay_alu instid0(VALU_DEP_1) | instskip(NEXT) | instid1(VALU_DEP_1)
	v_xor_b32_e32 v18, 8, v28
	v_cmp_gt_i32_e32 vcc_lo, 32, v18
	v_cndmask_b32_e32 v18, v28, v18, vcc_lo
	s_delay_alu instid0(VALU_DEP_1)
	v_lshlrev_b32_e32 v25, 2, v18
	ds_bpermute_b32 v20, v25, v0
	ds_bpermute_b32 v21, v25, v1
	s_wait_dscnt 0x0
	v_add_f64_e32 v[0:1], v[0:1], v[20:21]
	ds_bpermute_b32 v18, v25, v14
	ds_bpermute_b32 v19, v25, v15
	;; [unrolled: 1-line block ×6, first 2 shown]
	s_wait_dscnt 0x4
	v_dual_add_f64 v[14:15], v[14:15], v[18:19] :: v_dual_bitop2_b32 v18, 4, v28 bitop3:0x14
	s_wait_dscnt 0x2
	v_add_f64_e32 v[16:17], v[16:17], v[22:23]
	s_delay_alu instid0(VALU_DEP_2) | instskip(SKIP_2) | instid1(VALU_DEP_1)
	v_cmp_gt_i32_e32 vcc_lo, 32, v18
	v_cndmask_b32_e32 v18, v28, v18, vcc_lo
	s_wait_dscnt 0x0
	v_dual_add_f64 v[12:13], v[12:13], v[24:25] :: v_dual_lshlrev_b32 v25, 2, v18
	ds_bpermute_b32 v20, v25, v0
	ds_bpermute_b32 v21, v25, v1
	ds_bpermute_b32 v18, v25, v14
	ds_bpermute_b32 v19, v25, v15
	ds_bpermute_b32 v22, v25, v16
	ds_bpermute_b32 v23, v25, v17
	ds_bpermute_b32 v24, v25, v12
	ds_bpermute_b32 v25, v25, v13
	s_wait_dscnt 0x4
	v_add_f64_e32 v[14:15], v[14:15], v[18:19]
	v_add_f64_e32 v[18:19], v[0:1], v[20:21]
	s_wait_dscnt 0x2
	v_dual_add_f64 v[20:21], v[16:17], v[22:23] :: v_dual_bitop2_b32 v0, 2, v28 bitop3:0x14
	s_delay_alu instid0(VALU_DEP_1) | instskip(SKIP_3) | instid1(VALU_DEP_1)
	v_cmp_gt_i32_e32 vcc_lo, 32, v0
	s_wait_dscnt 0x0
	v_add_f64_e32 v[22:23], v[12:13], v[24:25]
	v_cndmask_b32_e32 v0, v28, v0, vcc_lo
	v_lshlrev_b32_e32 v16, 2, v0
	ds_bpermute_b32 v0, v16, v14
	ds_bpermute_b32 v12, v16, v18
	;; [unrolled: 1-line block ×8, first 2 shown]
	s_wait_dscnt 0x5
	v_add_f64_e32 v[16:17], v[18:19], v[12:13]
	v_xor_b32_e32 v18, 1, v28
	s_wait_dscnt 0x2
	v_add_f64_e32 v[12:13], v[20:21], v[24:25]
	s_delay_alu instid0(VALU_DEP_2) | instskip(SKIP_2) | instid1(VALU_DEP_2)
	v_cmp_gt_i32_e32 vcc_lo, 32, v18
	v_dual_add_f64 v[0:1], v[14:15], v[0:1] :: v_dual_cndmask_b32 v18, v28, v18, vcc_lo
	v_cmp_eq_u32_e32 vcc_lo, 15, v11
	v_lshlrev_b32_e32 v21, 2, v18
	s_wait_dscnt 0x0
	v_add_f64_e32 v[14:15], v[22:23], v[26:27]
	ds_bpermute_b32 v22, v21, v16
	ds_bpermute_b32 v23, v21, v17
	ds_bpermute_b32 v18, v21, v12
	ds_bpermute_b32 v19, v21, v13
	ds_bpermute_b32 v24, v21, v0
	ds_bpermute_b32 v25, v21, v1
	ds_bpermute_b32 v20, v21, v14
	ds_bpermute_b32 v21, v21, v15
	s_and_b32 exec_lo, exec_lo, vcc_lo
	s_cbranch_execz .LBB290_25
; %bb.21:
	v_cmp_eq_f64_e32 vcc_lo, 0, v[6:7]
	v_cmp_eq_f64_e64 s2, 0, v[8:9]
	s_wait_dscnt 0x2
	v_add_f64_e32 v[0:1], v[0:1], v[24:25]
	v_add_f64_e32 v[16:17], v[16:17], v[22:23]
	;; [unrolled: 1-line block ×3, first 2 shown]
	s_wait_dscnt 0x0
	v_add_f64_e32 v[14:15], v[14:15], v[20:21]
	s_load_b64 s[0:1], s[0:1], 0x48
	s_and_b32 s2, vcc_lo, s2
	s_delay_alu instid0(SALU_CYCLE_1) | instskip(NEXT) | instid1(SALU_CYCLE_1)
	s_and_saveexec_b32 s3, s2
	s_xor_b32 s2, exec_lo, s3
	s_cbranch_execz .LBB290_23
; %bb.22:
	s_delay_alu instid0(VALU_DEP_3) | instskip(SKIP_1) | instid1(VALU_DEP_3)
	v_mul_f64_e64 v[6:7], v[16:17], -v[4:5]
	v_mul_f64_e32 v[8:9], v[2:3], v[16:17]
	v_mul_f64_e64 v[16:17], v[14:15], -v[4:5]
	v_mul_f64_e32 v[18:19], v[2:3], v[14:15]
                                        ; implicit-def: $vgpr14_vgpr15
	s_delay_alu instid0(VALU_DEP_4) | instskip(NEXT) | instid1(VALU_DEP_4)
	v_fmac_f64_e32 v[6:7], v[2:3], v[0:1]
	v_fmac_f64_e32 v[8:9], v[4:5], v[0:1]
	s_delay_alu instid0(VALU_DEP_4) | instskip(NEXT) | instid1(VALU_DEP_4)
	v_fmac_f64_e32 v[16:17], v[2:3], v[12:13]
	v_fmac_f64_e32 v[18:19], v[4:5], v[12:13]
	v_lshlrev_b32_e32 v0, 1, v10
                                        ; implicit-def: $vgpr10
                                        ; implicit-def: $vgpr12_vgpr13
                                        ; implicit-def: $vgpr4_vgpr5
	s_wait_kmcnt 0x0
	s_clause 0x1
	global_store_b128 v0, v[6:9], s[0:1] scale_offset
	global_store_b128 v0, v[16:19], s[0:1] offset:16 scale_offset
                                        ; implicit-def: $vgpr0_vgpr1
                                        ; implicit-def: $vgpr16_vgpr17
                                        ; implicit-def: $vgpr8_vgpr9
.LBB290_23:
	s_wait_xcnt 0x0
	s_and_not1_saveexec_b32 s2, s2
	s_cbranch_execz .LBB290_25
; %bb.24:
	s_delay_alu instid0(VALU_DEP_3) | instskip(SKIP_1) | instid1(VALU_DEP_3)
	v_dual_mul_f64 v[26:27], v[16:17], -v[4:5] :: v_dual_lshlrev_b32 v30, 1, v10
	v_mul_f64_e32 v[16:17], v[2:3], v[16:17]
	v_mul_f64_e64 v[28:29], v[14:15], -v[4:5]
	v_mul_f64_e32 v[10:11], v[2:3], v[14:15]
	s_wait_kmcnt 0x0
	s_clause 0x1
	global_load_b128 v[18:21], v30, s[0:1] scale_offset
	global_load_b128 v[22:25], v30, s[0:1] offset:16 scale_offset
	v_fmac_f64_e32 v[26:27], v[2:3], v[0:1]
	v_fmac_f64_e32 v[16:17], v[4:5], v[0:1]
	;; [unrolled: 1-line block ×4, first 2 shown]
	s_wait_loadcnt 0x1
	s_delay_alu instid0(VALU_DEP_4) | instskip(NEXT) | instid1(VALU_DEP_4)
	v_fmac_f64_e32 v[26:27], v[6:7], v[18:19]
	v_fmac_f64_e32 v[16:17], v[8:9], v[18:19]
	s_wait_loadcnt 0x0
	s_delay_alu instid0(VALU_DEP_4) | instskip(NEXT) | instid1(VALU_DEP_4)
	v_fmac_f64_e32 v[28:29], v[6:7], v[22:23]
	v_fmac_f64_e32 v[10:11], v[8:9], v[22:23]
	s_delay_alu instid0(VALU_DEP_4) | instskip(NEXT) | instid1(VALU_DEP_4)
	v_fma_f64 v[14:15], -v[8:9], v[20:21], v[26:27]
	v_fmac_f64_e32 v[16:17], v[6:7], v[20:21]
	s_delay_alu instid0(VALU_DEP_4) | instskip(NEXT) | instid1(VALU_DEP_4)
	v_fma_f64 v[8:9], -v[8:9], v[24:25], v[28:29]
	v_fmac_f64_e32 v[10:11], v[6:7], v[24:25]
	s_clause 0x1
	global_store_b128 v30, v[14:17], s[0:1] scale_offset
	global_store_b128 v30, v[8:11], s[0:1] offset:16 scale_offset
.LBB290_25:
	s_endpgm
	.section	.rodata,"a",@progbits
	.p2align	6, 0x0
	.amdhsa_kernel _ZN9rocsparseL19gebsrmvn_2xn_kernelILj128ELj14ELj16E21rocsparse_complex_numIdEEEvi20rocsparse_direction_NS_24const_host_device_scalarIT2_EEPKiS8_PKS5_SA_S6_PS5_21rocsparse_index_base_b
		.amdhsa_group_segment_fixed_size 0
		.amdhsa_private_segment_fixed_size 0
		.amdhsa_kernarg_size 88
		.amdhsa_user_sgpr_count 2
		.amdhsa_user_sgpr_dispatch_ptr 0
		.amdhsa_user_sgpr_queue_ptr 0
		.amdhsa_user_sgpr_kernarg_segment_ptr 1
		.amdhsa_user_sgpr_dispatch_id 0
		.amdhsa_user_sgpr_kernarg_preload_length 0
		.amdhsa_user_sgpr_kernarg_preload_offset 0
		.amdhsa_user_sgpr_private_segment_size 0
		.amdhsa_wavefront_size32 1
		.amdhsa_uses_dynamic_stack 0
		.amdhsa_enable_private_segment 0
		.amdhsa_system_sgpr_workgroup_id_x 1
		.amdhsa_system_sgpr_workgroup_id_y 0
		.amdhsa_system_sgpr_workgroup_id_z 0
		.amdhsa_system_sgpr_workgroup_info 0
		.amdhsa_system_vgpr_workitem_id 0
		.amdhsa_next_free_vgpr 50
		.amdhsa_next_free_sgpr 14
		.amdhsa_named_barrier_count 0
		.amdhsa_reserve_vcc 1
		.amdhsa_float_round_mode_32 0
		.amdhsa_float_round_mode_16_64 0
		.amdhsa_float_denorm_mode_32 3
		.amdhsa_float_denorm_mode_16_64 3
		.amdhsa_fp16_overflow 0
		.amdhsa_memory_ordered 1
		.amdhsa_forward_progress 1
		.amdhsa_inst_pref_size 15
		.amdhsa_round_robin_scheduling 0
		.amdhsa_exception_fp_ieee_invalid_op 0
		.amdhsa_exception_fp_denorm_src 0
		.amdhsa_exception_fp_ieee_div_zero 0
		.amdhsa_exception_fp_ieee_overflow 0
		.amdhsa_exception_fp_ieee_underflow 0
		.amdhsa_exception_fp_ieee_inexact 0
		.amdhsa_exception_int_div_zero 0
	.end_amdhsa_kernel
	.section	.text._ZN9rocsparseL19gebsrmvn_2xn_kernelILj128ELj14ELj16E21rocsparse_complex_numIdEEEvi20rocsparse_direction_NS_24const_host_device_scalarIT2_EEPKiS8_PKS5_SA_S6_PS5_21rocsparse_index_base_b,"axG",@progbits,_ZN9rocsparseL19gebsrmvn_2xn_kernelILj128ELj14ELj16E21rocsparse_complex_numIdEEEvi20rocsparse_direction_NS_24const_host_device_scalarIT2_EEPKiS8_PKS5_SA_S6_PS5_21rocsparse_index_base_b,comdat
.Lfunc_end290:
	.size	_ZN9rocsparseL19gebsrmvn_2xn_kernelILj128ELj14ELj16E21rocsparse_complex_numIdEEEvi20rocsparse_direction_NS_24const_host_device_scalarIT2_EEPKiS8_PKS5_SA_S6_PS5_21rocsparse_index_base_b, .Lfunc_end290-_ZN9rocsparseL19gebsrmvn_2xn_kernelILj128ELj14ELj16E21rocsparse_complex_numIdEEEvi20rocsparse_direction_NS_24const_host_device_scalarIT2_EEPKiS8_PKS5_SA_S6_PS5_21rocsparse_index_base_b
                                        ; -- End function
	.set _ZN9rocsparseL19gebsrmvn_2xn_kernelILj128ELj14ELj16E21rocsparse_complex_numIdEEEvi20rocsparse_direction_NS_24const_host_device_scalarIT2_EEPKiS8_PKS5_SA_S6_PS5_21rocsparse_index_base_b.num_vgpr, 50
	.set _ZN9rocsparseL19gebsrmvn_2xn_kernelILj128ELj14ELj16E21rocsparse_complex_numIdEEEvi20rocsparse_direction_NS_24const_host_device_scalarIT2_EEPKiS8_PKS5_SA_S6_PS5_21rocsparse_index_base_b.num_agpr, 0
	.set _ZN9rocsparseL19gebsrmvn_2xn_kernelILj128ELj14ELj16E21rocsparse_complex_numIdEEEvi20rocsparse_direction_NS_24const_host_device_scalarIT2_EEPKiS8_PKS5_SA_S6_PS5_21rocsparse_index_base_b.numbered_sgpr, 14
	.set _ZN9rocsparseL19gebsrmvn_2xn_kernelILj128ELj14ELj16E21rocsparse_complex_numIdEEEvi20rocsparse_direction_NS_24const_host_device_scalarIT2_EEPKiS8_PKS5_SA_S6_PS5_21rocsparse_index_base_b.num_named_barrier, 0
	.set _ZN9rocsparseL19gebsrmvn_2xn_kernelILj128ELj14ELj16E21rocsparse_complex_numIdEEEvi20rocsparse_direction_NS_24const_host_device_scalarIT2_EEPKiS8_PKS5_SA_S6_PS5_21rocsparse_index_base_b.private_seg_size, 0
	.set _ZN9rocsparseL19gebsrmvn_2xn_kernelILj128ELj14ELj16E21rocsparse_complex_numIdEEEvi20rocsparse_direction_NS_24const_host_device_scalarIT2_EEPKiS8_PKS5_SA_S6_PS5_21rocsparse_index_base_b.uses_vcc, 1
	.set _ZN9rocsparseL19gebsrmvn_2xn_kernelILj128ELj14ELj16E21rocsparse_complex_numIdEEEvi20rocsparse_direction_NS_24const_host_device_scalarIT2_EEPKiS8_PKS5_SA_S6_PS5_21rocsparse_index_base_b.uses_flat_scratch, 0
	.set _ZN9rocsparseL19gebsrmvn_2xn_kernelILj128ELj14ELj16E21rocsparse_complex_numIdEEEvi20rocsparse_direction_NS_24const_host_device_scalarIT2_EEPKiS8_PKS5_SA_S6_PS5_21rocsparse_index_base_b.has_dyn_sized_stack, 0
	.set _ZN9rocsparseL19gebsrmvn_2xn_kernelILj128ELj14ELj16E21rocsparse_complex_numIdEEEvi20rocsparse_direction_NS_24const_host_device_scalarIT2_EEPKiS8_PKS5_SA_S6_PS5_21rocsparse_index_base_b.has_recursion, 0
	.set _ZN9rocsparseL19gebsrmvn_2xn_kernelILj128ELj14ELj16E21rocsparse_complex_numIdEEEvi20rocsparse_direction_NS_24const_host_device_scalarIT2_EEPKiS8_PKS5_SA_S6_PS5_21rocsparse_index_base_b.has_indirect_call, 0
	.section	.AMDGPU.csdata,"",@progbits
; Kernel info:
; codeLenInByte = 1908
; TotalNumSgprs: 16
; NumVgprs: 50
; ScratchSize: 0
; MemoryBound: 0
; FloatMode: 240
; IeeeMode: 1
; LDSByteSize: 0 bytes/workgroup (compile time only)
; SGPRBlocks: 0
; VGPRBlocks: 3
; NumSGPRsForWavesPerEU: 16
; NumVGPRsForWavesPerEU: 50
; NamedBarCnt: 0
; Occupancy: 16
; WaveLimiterHint : 1
; COMPUTE_PGM_RSRC2:SCRATCH_EN: 0
; COMPUTE_PGM_RSRC2:USER_SGPR: 2
; COMPUTE_PGM_RSRC2:TRAP_HANDLER: 0
; COMPUTE_PGM_RSRC2:TGID_X_EN: 1
; COMPUTE_PGM_RSRC2:TGID_Y_EN: 0
; COMPUTE_PGM_RSRC2:TGID_Z_EN: 0
; COMPUTE_PGM_RSRC2:TIDIG_COMP_CNT: 0
	.section	.text._ZN9rocsparseL19gebsrmvn_2xn_kernelILj128ELj14ELj32E21rocsparse_complex_numIdEEEvi20rocsparse_direction_NS_24const_host_device_scalarIT2_EEPKiS8_PKS5_SA_S6_PS5_21rocsparse_index_base_b,"axG",@progbits,_ZN9rocsparseL19gebsrmvn_2xn_kernelILj128ELj14ELj32E21rocsparse_complex_numIdEEEvi20rocsparse_direction_NS_24const_host_device_scalarIT2_EEPKiS8_PKS5_SA_S6_PS5_21rocsparse_index_base_b,comdat
	.globl	_ZN9rocsparseL19gebsrmvn_2xn_kernelILj128ELj14ELj32E21rocsparse_complex_numIdEEEvi20rocsparse_direction_NS_24const_host_device_scalarIT2_EEPKiS8_PKS5_SA_S6_PS5_21rocsparse_index_base_b ; -- Begin function _ZN9rocsparseL19gebsrmvn_2xn_kernelILj128ELj14ELj32E21rocsparse_complex_numIdEEEvi20rocsparse_direction_NS_24const_host_device_scalarIT2_EEPKiS8_PKS5_SA_S6_PS5_21rocsparse_index_base_b
	.p2align	8
	.type	_ZN9rocsparseL19gebsrmvn_2xn_kernelILj128ELj14ELj32E21rocsparse_complex_numIdEEEvi20rocsparse_direction_NS_24const_host_device_scalarIT2_EEPKiS8_PKS5_SA_S6_PS5_21rocsparse_index_base_b,@function
_ZN9rocsparseL19gebsrmvn_2xn_kernelILj128ELj14ELj32E21rocsparse_complex_numIdEEEvi20rocsparse_direction_NS_24const_host_device_scalarIT2_EEPKiS8_PKS5_SA_S6_PS5_21rocsparse_index_base_b: ; @_ZN9rocsparseL19gebsrmvn_2xn_kernelILj128ELj14ELj32E21rocsparse_complex_numIdEEEvi20rocsparse_direction_NS_24const_host_device_scalarIT2_EEPKiS8_PKS5_SA_S6_PS5_21rocsparse_index_base_b
; %bb.0:
	s_clause 0x1
	s_load_b64 s[12:13], s[0:1], 0x50
	s_load_b64 s[2:3], s[0:1], 0x8
	v_mov_b32_e32 v1, 0
	s_add_nc_u64 s[4:5], s[0:1], 8
	s_load_b64 s[6:7], s[0:1], 0x38
	s_wait_kmcnt 0x0
	s_bitcmp1_b32 s13, 0
	s_cselect_b32 s3, s5, s3
	s_cselect_b32 s2, s4, s2
	flat_load_b128 v[2:5], v1, s[2:3]
	s_wait_xcnt 0x0
	s_add_nc_u64 s[2:3], s[0:1], 56
	s_delay_alu instid0(SALU_CYCLE_1)
	s_cselect_b32 s3, s3, s7
	s_cselect_b32 s2, s2, s6
	flat_load_b128 v[6:9], v1, s[2:3]
	s_wait_loadcnt_dscnt 0x101
	v_cmp_eq_f64_e32 vcc_lo, 0, v[2:3]
	s_wait_xcnt 0x0
	v_cmp_eq_f64_e64 s2, 0, v[4:5]
	s_and_b32 s4, vcc_lo, s2
	s_mov_b32 s2, -1
	s_and_saveexec_b32 s3, s4
	s_cbranch_execz .LBB291_2
; %bb.1:
	s_wait_loadcnt_dscnt 0x0
	v_cmp_neq_f64_e32 vcc_lo, 1.0, v[6:7]
	v_cmp_neq_f64_e64 s2, 0, v[8:9]
	s_or_b32 s2, vcc_lo, s2
	s_delay_alu instid0(SALU_CYCLE_1)
	s_or_not1_b32 s2, s2, exec_lo
.LBB291_2:
	s_or_b32 exec_lo, exec_lo, s3
	s_and_saveexec_b32 s3, s2
	s_cbranch_execz .LBB291_25
; %bb.3:
	s_load_b64 s[2:3], s[0:1], 0x0
	s_bfe_u32 s4, ttmp6, 0x4000c
	s_and_b32 s5, ttmp6, 15
	s_add_co_i32 s4, s4, 1
	s_getreg_b32 s6, hwreg(HW_REG_IB_STS2, 6, 4)
	s_mul_i32 s4, ttmp9, s4
	v_lshrrev_b32_e32 v1, 5, v0
	s_add_co_i32 s5, s5, s4
	s_cmp_eq_u32 s6, 0
	s_cselect_b32 s4, ttmp9, s5
	s_delay_alu instid0(VALU_DEP_1) | instid1(SALU_CYCLE_1)
	v_lshl_or_b32 v10, s4, 2, v1
	s_wait_kmcnt 0x0
	s_delay_alu instid0(VALU_DEP_1)
	v_cmp_gt_i32_e32 vcc_lo, s2, v10
	s_and_b32 exec_lo, exec_lo, vcc_lo
	s_cbranch_execz .LBB291_25
; %bb.4:
	s_load_b256 s[4:11], s[0:1], 0x18
	v_ashrrev_i32_e32 v11, 31, v10
	s_cmp_lg_u32 s3, 0
	s_wait_kmcnt 0x0
	s_delay_alu instid0(VALU_DEP_1)
	v_lshl_add_u64 v[12:13], v[10:11], 2, s[4:5]
	v_and_b32_e32 v11, 31, v0
	global_load_b64 v[18:19], v[12:13], off
	s_wait_loadcnt 0x0
	v_subrev_nc_u32_e32 v0, s12, v18
	v_subrev_nc_u32_e32 v19, s12, v19
	s_delay_alu instid0(VALU_DEP_2) | instskip(NEXT) | instid1(VALU_DEP_1)
	v_add_nc_u32_e32 v20, v0, v11
	v_cmp_lt_i32_e64 s2, v20, v19
	s_cbranch_scc0 .LBB291_12
; %bb.5:
	v_mov_b64_e32 v[0:1], 0
	v_mov_b64_e32 v[14:15], 0
	;; [unrolled: 1-line block ×4, first 2 shown]
	s_and_saveexec_b32 s3, s2
	s_cbranch_execz .LBB291_11
; %bb.6:
	v_mul_lo_u32 v21, v20, 28
	v_mov_b64_e32 v[0:1], 0
	v_mov_b64_e32 v[14:15], 0
	;; [unrolled: 1-line block ×4, first 2 shown]
	v_mov_b32_e32 v22, v20
	s_mov_b32 s4, 0
.LBB291_7:                              ; =>This Loop Header: Depth=1
                                        ;     Child Loop BB291_8 Depth 2
	global_load_b32 v23, v22, s[6:7] scale_offset
	v_mov_b32_e32 v24, v21
	s_mov_b32 s5, 0
	s_wait_loadcnt 0x0
	v_subrev_nc_u32_e32 v23, s12, v23
	s_delay_alu instid0(VALU_DEP_1)
	v_mul_lo_u32 v23, v23, 14
.LBB291_8:                              ;   Parent Loop BB291_7 Depth=1
                                        ; =>  This Inner Loop Header: Depth=2
	s_delay_alu instid0(VALU_DEP_1)
	v_add_nc_u32_e32 v25, s5, v23
	s_add_co_i32 s5, s5, 2
	s_clause 0x1
	global_load_b128 v[26:29], v24, s[8:9] offset:16 scale_offset
	global_load_b128 v[30:33], v24, s[8:9] scale_offset
	s_clause 0x1
	global_load_b128 v[34:37], v25, s[10:11] scale_offset
	global_load_b128 v[38:41], v25, s[10:11] offset:16 scale_offset
	s_clause 0x1
	global_load_b128 v[42:45], v24, s[8:9] offset:32 scale_offset
	global_load_b128 v[46:49], v24, s[8:9] offset:48 scale_offset
	s_wait_xcnt 0x0
	v_add_nc_u32_e32 v24, 4, v24
	s_cmp_eq_u32 s5, 14
	s_wait_loadcnt 0x3
	v_fmac_f64_e32 v[14:15], v[30:31], v[34:35]
	v_fmac_f64_e32 v[0:1], v[32:33], v[34:35]
	;; [unrolled: 1-line block ×4, first 2 shown]
	s_delay_alu instid0(VALU_DEP_4) | instskip(NEXT) | instid1(VALU_DEP_4)
	v_fma_f64 v[14:15], -v[32:33], v[36:37], v[14:15]
	v_fmac_f64_e32 v[0:1], v[30:31], v[36:37]
	s_delay_alu instid0(VALU_DEP_4) | instskip(NEXT) | instid1(VALU_DEP_4)
	v_fma_f64 v[16:17], -v[28:29], v[36:37], v[16:17]
	v_fmac_f64_e32 v[12:13], v[26:27], v[36:37]
	s_wait_loadcnt 0x1
	s_delay_alu instid0(VALU_DEP_4) | instskip(NEXT) | instid1(VALU_DEP_4)
	v_fmac_f64_e32 v[14:15], v[42:43], v[38:39]
	v_fmac_f64_e32 v[0:1], v[44:45], v[38:39]
	s_wait_loadcnt 0x0
	s_delay_alu instid0(VALU_DEP_4) | instskip(NEXT) | instid1(VALU_DEP_4)
	v_fmac_f64_e32 v[16:17], v[46:47], v[38:39]
	v_fmac_f64_e32 v[12:13], v[48:49], v[38:39]
	s_delay_alu instid0(VALU_DEP_4) | instskip(NEXT) | instid1(VALU_DEP_4)
	v_fma_f64 v[14:15], -v[44:45], v[40:41], v[14:15]
	v_fmac_f64_e32 v[0:1], v[42:43], v[40:41]
	s_delay_alu instid0(VALU_DEP_4) | instskip(NEXT) | instid1(VALU_DEP_4)
	v_fma_f64 v[16:17], -v[48:49], v[40:41], v[16:17]
	v_fmac_f64_e32 v[12:13], v[46:47], v[40:41]
	s_cbranch_scc0 .LBB291_8
; %bb.9:                                ;   in Loop: Header=BB291_7 Depth=1
	v_add_nc_u32_e32 v22, 32, v22
	v_add_nc_u32_e32 v21, 0x380, v21
	s_delay_alu instid0(VALU_DEP_2) | instskip(SKIP_1) | instid1(SALU_CYCLE_1)
	v_cmp_ge_i32_e32 vcc_lo, v22, v19
	s_or_b32 s4, vcc_lo, s4
	s_and_not1_b32 exec_lo, exec_lo, s4
	s_cbranch_execnz .LBB291_7
; %bb.10:
	s_or_b32 exec_lo, exec_lo, s4
.LBB291_11:
	s_delay_alu instid0(SALU_CYCLE_1)
	s_or_b32 exec_lo, exec_lo, s3
	s_cbranch_execz .LBB291_13
	s_branch .LBB291_20
.LBB291_12:
                                        ; implicit-def: $vgpr0_vgpr1
                                        ; implicit-def: $vgpr14_vgpr15
                                        ; implicit-def: $vgpr16_vgpr17
                                        ; implicit-def: $vgpr12_vgpr13
.LBB291_13:
	v_mov_b64_e32 v[0:1], 0
	v_mov_b64_e32 v[14:15], 0
	;; [unrolled: 1-line block ×4, first 2 shown]
	s_and_saveexec_b32 s3, s2
	s_cbranch_execz .LBB291_19
; %bb.14:
	v_mul_u32_u24_e32 v0, 28, v11
	s_mul_i32 s2, s12, 28
	v_mov_b64_e32 v[14:15], 0
	v_mov_b64_e32 v[16:17], 0
	;; [unrolled: 1-line block ×3, first 2 shown]
	v_mad_u32 v21, v18, 28, v0
	v_mul_lo_u32 v18, v20, 28
	v_mov_b64_e32 v[0:1], 0
	s_delay_alu instid0(VALU_DEP_3)
	v_subrev_nc_u32_e32 v21, s2, v21
	s_mov_b32 s2, 0
.LBB291_15:                             ; =>This Loop Header: Depth=1
                                        ;     Child Loop BB291_16 Depth 2
	global_load_b32 v22, v20, s[6:7] scale_offset
	s_mov_b32 s4, 0
	s_wait_loadcnt 0x0
	v_subrev_nc_u32_e32 v22, s12, v22
	s_delay_alu instid0(VALU_DEP_1)
	v_mul_lo_u32 v22, v22, 14
.LBB291_16:                             ;   Parent Loop BB291_15 Depth=1
                                        ; =>  This Inner Loop Header: Depth=2
	s_delay_alu instid0(VALU_DEP_1)
	v_dual_add_nc_u32 v23, s4, v21 :: v_dual_add_nc_u32 v48, s4, v22
	v_add3_u32 v49, v18, s4, 14
	s_add_co_i32 s4, s4, 2
	global_load_b128 v[24:27], v23, s[8:9] scale_offset
	global_load_b128 v[28:31], v48, s[10:11] scale_offset
	s_clause 0x1
	global_load_b128 v[32:35], v49, s[8:9] scale_offset
	global_load_b128 v[36:39], v23, s[8:9] offset:16 scale_offset
	global_load_b128 v[40:43], v48, s[10:11] offset:16 scale_offset
	global_load_b128 v[44:47], v49, s[8:9] offset:16 scale_offset
	s_cmp_eq_u32 s4, 14
	s_wait_loadcnt 0x4
	v_fmac_f64_e32 v[14:15], v[24:25], v[28:29]
	v_fmac_f64_e32 v[0:1], v[26:27], v[28:29]
	s_wait_loadcnt 0x3
	v_fmac_f64_e32 v[16:17], v[32:33], v[28:29]
	v_fmac_f64_e32 v[12:13], v[34:35], v[28:29]
	s_delay_alu instid0(VALU_DEP_4) | instskip(NEXT) | instid1(VALU_DEP_4)
	v_fma_f64 v[14:15], -v[26:27], v[30:31], v[14:15]
	v_fmac_f64_e32 v[0:1], v[24:25], v[30:31]
	s_delay_alu instid0(VALU_DEP_4) | instskip(NEXT) | instid1(VALU_DEP_4)
	v_fma_f64 v[16:17], -v[34:35], v[30:31], v[16:17]
	v_fmac_f64_e32 v[12:13], v[32:33], v[30:31]
	s_wait_loadcnt 0x1
	s_delay_alu instid0(VALU_DEP_4) | instskip(NEXT) | instid1(VALU_DEP_4)
	v_fmac_f64_e32 v[14:15], v[36:37], v[40:41]
	v_fmac_f64_e32 v[0:1], v[38:39], v[40:41]
	s_wait_loadcnt 0x0
	s_delay_alu instid0(VALU_DEP_4) | instskip(NEXT) | instid1(VALU_DEP_4)
	v_fmac_f64_e32 v[16:17], v[44:45], v[40:41]
	v_fmac_f64_e32 v[12:13], v[46:47], v[40:41]
	s_delay_alu instid0(VALU_DEP_4) | instskip(NEXT) | instid1(VALU_DEP_4)
	v_fma_f64 v[14:15], -v[38:39], v[42:43], v[14:15]
	v_fmac_f64_e32 v[0:1], v[36:37], v[42:43]
	s_delay_alu instid0(VALU_DEP_4) | instskip(NEXT) | instid1(VALU_DEP_4)
	v_fma_f64 v[16:17], -v[46:47], v[42:43], v[16:17]
	v_fmac_f64_e32 v[12:13], v[44:45], v[42:43]
	s_cbranch_scc0 .LBB291_16
; %bb.17:                               ;   in Loop: Header=BB291_15 Depth=1
	v_add_nc_u32_e32 v20, 32, v20
	v_add_nc_u32_e32 v18, 0x380, v18
	;; [unrolled: 1-line block ×3, first 2 shown]
	s_delay_alu instid0(VALU_DEP_3) | instskip(SKIP_1) | instid1(SALU_CYCLE_1)
	v_cmp_ge_i32_e32 vcc_lo, v20, v19
	s_or_b32 s2, vcc_lo, s2
	s_and_not1_b32 exec_lo, exec_lo, s2
	s_cbranch_execnz .LBB291_15
; %bb.18:
	s_or_b32 exec_lo, exec_lo, s2
.LBB291_19:
	s_delay_alu instid0(SALU_CYCLE_1)
	s_or_b32 exec_lo, exec_lo, s3
.LBB291_20:
	v_mbcnt_lo_u32_b32 v28, -1, 0
	s_delay_alu instid0(VALU_DEP_1) | instskip(NEXT) | instid1(VALU_DEP_1)
	v_xor_b32_e32 v18, 16, v28
	v_cmp_gt_i32_e32 vcc_lo, 32, v18
	v_cndmask_b32_e32 v18, v28, v18, vcc_lo
	s_delay_alu instid0(VALU_DEP_1)
	v_lshlrev_b32_e32 v25, 2, v18
	ds_bpermute_b32 v20, v25, v0
	ds_bpermute_b32 v21, v25, v1
	s_wait_dscnt 0x0
	v_add_f64_e32 v[0:1], v[0:1], v[20:21]
	ds_bpermute_b32 v18, v25, v14
	ds_bpermute_b32 v19, v25, v15
	;; [unrolled: 1-line block ×6, first 2 shown]
	s_wait_dscnt 0x4
	v_dual_add_f64 v[14:15], v[14:15], v[18:19] :: v_dual_bitop2_b32 v18, 8, v28 bitop3:0x14
	s_wait_dscnt 0x2
	v_add_f64_e32 v[16:17], v[16:17], v[22:23]
	s_delay_alu instid0(VALU_DEP_2) | instskip(SKIP_2) | instid1(VALU_DEP_1)
	v_cmp_gt_i32_e32 vcc_lo, 32, v18
	v_cndmask_b32_e32 v18, v28, v18, vcc_lo
	s_wait_dscnt 0x0
	v_dual_add_f64 v[12:13], v[12:13], v[24:25] :: v_dual_lshlrev_b32 v25, 2, v18
	ds_bpermute_b32 v20, v25, v0
	ds_bpermute_b32 v21, v25, v1
	;; [unrolled: 1-line block ×8, first 2 shown]
	s_wait_dscnt 0x4
	v_dual_add_f64 v[14:15], v[14:15], v[18:19] :: v_dual_bitop2_b32 v18, 4, v28 bitop3:0x14
	s_wait_dscnt 0x2
	v_add_f64_e32 v[16:17], v[16:17], v[22:23]
	s_delay_alu instid0(VALU_DEP_2) | instskip(SKIP_3) | instid1(VALU_DEP_2)
	v_cmp_gt_i32_e32 vcc_lo, 32, v18
	v_cndmask_b32_e32 v18, v28, v18, vcc_lo
	v_add_f64_e32 v[0:1], v[0:1], v[20:21]
	s_wait_dscnt 0x0
	v_dual_add_f64 v[12:13], v[12:13], v[24:25] :: v_dual_lshlrev_b32 v25, 2, v18
	ds_bpermute_b32 v18, v25, v14
	ds_bpermute_b32 v19, v25, v15
	;; [unrolled: 1-line block ×8, first 2 shown]
	s_wait_dscnt 0x6
	v_add_f64_e32 v[14:15], v[14:15], v[18:19]
	s_wait_dscnt 0x2
	v_add_f64_e32 v[18:19], v[0:1], v[20:21]
	v_add_f64_e32 v[20:21], v[16:17], v[22:23]
	s_wait_dscnt 0x0
	v_add_f64_e32 v[22:23], v[12:13], v[24:25]
	v_xor_b32_e32 v0, 2, v28
	s_delay_alu instid0(VALU_DEP_1) | instskip(SKIP_1) | instid1(VALU_DEP_1)
	v_cmp_gt_i32_e32 vcc_lo, 32, v0
	v_cndmask_b32_e32 v0, v28, v0, vcc_lo
	v_lshlrev_b32_e32 v16, 2, v0
	ds_bpermute_b32 v0, v16, v14
	ds_bpermute_b32 v1, v16, v15
	;; [unrolled: 1-line block ×8, first 2 shown]
	s_wait_dscnt 0x4
	v_add_f64_e32 v[16:17], v[18:19], v[12:13]
	v_xor_b32_e32 v18, 1, v28
	s_wait_dscnt 0x2
	v_add_f64_e32 v[12:13], v[20:21], v[24:25]
	s_delay_alu instid0(VALU_DEP_2)
	v_cmp_gt_i32_e32 vcc_lo, 32, v18
	v_add_f64_e32 v[0:1], v[14:15], v[0:1]
	s_wait_dscnt 0x0
	v_add_f64_e32 v[14:15], v[22:23], v[26:27]
	v_cndmask_b32_e32 v18, v28, v18, vcc_lo
	v_cmp_eq_u32_e32 vcc_lo, 31, v11
	s_delay_alu instid0(VALU_DEP_2)
	v_lshlrev_b32_e32 v21, 2, v18
	ds_bpermute_b32 v22, v21, v16
	ds_bpermute_b32 v23, v21, v17
	;; [unrolled: 1-line block ×8, first 2 shown]
	s_and_b32 exec_lo, exec_lo, vcc_lo
	s_cbranch_execz .LBB291_25
; %bb.21:
	v_cmp_eq_f64_e32 vcc_lo, 0, v[6:7]
	v_cmp_eq_f64_e64 s2, 0, v[8:9]
	s_wait_dscnt 0x2
	v_add_f64_e32 v[0:1], v[0:1], v[24:25]
	v_add_f64_e32 v[16:17], v[16:17], v[22:23]
	v_add_f64_e32 v[12:13], v[12:13], v[18:19]
	s_wait_dscnt 0x0
	v_add_f64_e32 v[14:15], v[14:15], v[20:21]
	s_load_b64 s[0:1], s[0:1], 0x48
	s_and_b32 s2, vcc_lo, s2
	s_delay_alu instid0(SALU_CYCLE_1) | instskip(NEXT) | instid1(SALU_CYCLE_1)
	s_and_saveexec_b32 s3, s2
	s_xor_b32 s2, exec_lo, s3
	s_cbranch_execz .LBB291_23
; %bb.22:
	s_delay_alu instid0(VALU_DEP_3) | instskip(SKIP_1) | instid1(VALU_DEP_3)
	v_mul_f64_e64 v[6:7], v[16:17], -v[4:5]
	v_mul_f64_e32 v[8:9], v[2:3], v[16:17]
	v_mul_f64_e64 v[16:17], v[14:15], -v[4:5]
	v_mul_f64_e32 v[18:19], v[2:3], v[14:15]
                                        ; implicit-def: $vgpr14_vgpr15
	s_delay_alu instid0(VALU_DEP_4) | instskip(NEXT) | instid1(VALU_DEP_4)
	v_fmac_f64_e32 v[6:7], v[2:3], v[0:1]
	v_fmac_f64_e32 v[8:9], v[4:5], v[0:1]
	s_delay_alu instid0(VALU_DEP_4) | instskip(NEXT) | instid1(VALU_DEP_4)
	v_fmac_f64_e32 v[16:17], v[2:3], v[12:13]
	v_fmac_f64_e32 v[18:19], v[4:5], v[12:13]
	v_lshlrev_b32_e32 v0, 1, v10
                                        ; implicit-def: $vgpr10
                                        ; implicit-def: $vgpr12_vgpr13
                                        ; implicit-def: $vgpr4_vgpr5
	s_wait_kmcnt 0x0
	s_clause 0x1
	global_store_b128 v0, v[6:9], s[0:1] scale_offset
	global_store_b128 v0, v[16:19], s[0:1] offset:16 scale_offset
                                        ; implicit-def: $vgpr0_vgpr1
                                        ; implicit-def: $vgpr16_vgpr17
                                        ; implicit-def: $vgpr8_vgpr9
.LBB291_23:
	s_wait_xcnt 0x0
	s_and_not1_saveexec_b32 s2, s2
	s_cbranch_execz .LBB291_25
; %bb.24:
	s_delay_alu instid0(VALU_DEP_3) | instskip(SKIP_1) | instid1(VALU_DEP_3)
	v_dual_mul_f64 v[26:27], v[16:17], -v[4:5] :: v_dual_lshlrev_b32 v30, 1, v10
	v_mul_f64_e32 v[16:17], v[2:3], v[16:17]
	v_mul_f64_e64 v[28:29], v[14:15], -v[4:5]
	v_mul_f64_e32 v[10:11], v[2:3], v[14:15]
	s_wait_kmcnt 0x0
	s_clause 0x1
	global_load_b128 v[18:21], v30, s[0:1] scale_offset
	global_load_b128 v[22:25], v30, s[0:1] offset:16 scale_offset
	v_fmac_f64_e32 v[26:27], v[2:3], v[0:1]
	v_fmac_f64_e32 v[16:17], v[4:5], v[0:1]
	;; [unrolled: 1-line block ×4, first 2 shown]
	s_wait_loadcnt 0x1
	s_delay_alu instid0(VALU_DEP_4) | instskip(NEXT) | instid1(VALU_DEP_4)
	v_fmac_f64_e32 v[26:27], v[6:7], v[18:19]
	v_fmac_f64_e32 v[16:17], v[8:9], v[18:19]
	s_wait_loadcnt 0x0
	s_delay_alu instid0(VALU_DEP_4) | instskip(NEXT) | instid1(VALU_DEP_4)
	v_fmac_f64_e32 v[28:29], v[6:7], v[22:23]
	v_fmac_f64_e32 v[10:11], v[8:9], v[22:23]
	s_delay_alu instid0(VALU_DEP_4) | instskip(NEXT) | instid1(VALU_DEP_4)
	v_fma_f64 v[14:15], -v[8:9], v[20:21], v[26:27]
	v_fmac_f64_e32 v[16:17], v[6:7], v[20:21]
	s_delay_alu instid0(VALU_DEP_4) | instskip(NEXT) | instid1(VALU_DEP_4)
	v_fma_f64 v[8:9], -v[8:9], v[24:25], v[28:29]
	v_fmac_f64_e32 v[10:11], v[6:7], v[24:25]
	s_clause 0x1
	global_store_b128 v30, v[14:17], s[0:1] scale_offset
	global_store_b128 v30, v[8:11], s[0:1] offset:16 scale_offset
.LBB291_25:
	s_endpgm
	.section	.rodata,"a",@progbits
	.p2align	6, 0x0
	.amdhsa_kernel _ZN9rocsparseL19gebsrmvn_2xn_kernelILj128ELj14ELj32E21rocsparse_complex_numIdEEEvi20rocsparse_direction_NS_24const_host_device_scalarIT2_EEPKiS8_PKS5_SA_S6_PS5_21rocsparse_index_base_b
		.amdhsa_group_segment_fixed_size 0
		.amdhsa_private_segment_fixed_size 0
		.amdhsa_kernarg_size 88
		.amdhsa_user_sgpr_count 2
		.amdhsa_user_sgpr_dispatch_ptr 0
		.amdhsa_user_sgpr_queue_ptr 0
		.amdhsa_user_sgpr_kernarg_segment_ptr 1
		.amdhsa_user_sgpr_dispatch_id 0
		.amdhsa_user_sgpr_kernarg_preload_length 0
		.amdhsa_user_sgpr_kernarg_preload_offset 0
		.amdhsa_user_sgpr_private_segment_size 0
		.amdhsa_wavefront_size32 1
		.amdhsa_uses_dynamic_stack 0
		.amdhsa_enable_private_segment 0
		.amdhsa_system_sgpr_workgroup_id_x 1
		.amdhsa_system_sgpr_workgroup_id_y 0
		.amdhsa_system_sgpr_workgroup_id_z 0
		.amdhsa_system_sgpr_workgroup_info 0
		.amdhsa_system_vgpr_workitem_id 0
		.amdhsa_next_free_vgpr 50
		.amdhsa_next_free_sgpr 14
		.amdhsa_named_barrier_count 0
		.amdhsa_reserve_vcc 1
		.amdhsa_float_round_mode_32 0
		.amdhsa_float_round_mode_16_64 0
		.amdhsa_float_denorm_mode_32 3
		.amdhsa_float_denorm_mode_16_64 3
		.amdhsa_fp16_overflow 0
		.amdhsa_memory_ordered 1
		.amdhsa_forward_progress 1
		.amdhsa_inst_pref_size 16
		.amdhsa_round_robin_scheduling 0
		.amdhsa_exception_fp_ieee_invalid_op 0
		.amdhsa_exception_fp_denorm_src 0
		.amdhsa_exception_fp_ieee_div_zero 0
		.amdhsa_exception_fp_ieee_overflow 0
		.amdhsa_exception_fp_ieee_underflow 0
		.amdhsa_exception_fp_ieee_inexact 0
		.amdhsa_exception_int_div_zero 0
	.end_amdhsa_kernel
	.section	.text._ZN9rocsparseL19gebsrmvn_2xn_kernelILj128ELj14ELj32E21rocsparse_complex_numIdEEEvi20rocsparse_direction_NS_24const_host_device_scalarIT2_EEPKiS8_PKS5_SA_S6_PS5_21rocsparse_index_base_b,"axG",@progbits,_ZN9rocsparseL19gebsrmvn_2xn_kernelILj128ELj14ELj32E21rocsparse_complex_numIdEEEvi20rocsparse_direction_NS_24const_host_device_scalarIT2_EEPKiS8_PKS5_SA_S6_PS5_21rocsparse_index_base_b,comdat
.Lfunc_end291:
	.size	_ZN9rocsparseL19gebsrmvn_2xn_kernelILj128ELj14ELj32E21rocsparse_complex_numIdEEEvi20rocsparse_direction_NS_24const_host_device_scalarIT2_EEPKiS8_PKS5_SA_S6_PS5_21rocsparse_index_base_b, .Lfunc_end291-_ZN9rocsparseL19gebsrmvn_2xn_kernelILj128ELj14ELj32E21rocsparse_complex_numIdEEEvi20rocsparse_direction_NS_24const_host_device_scalarIT2_EEPKiS8_PKS5_SA_S6_PS5_21rocsparse_index_base_b
                                        ; -- End function
	.set _ZN9rocsparseL19gebsrmvn_2xn_kernelILj128ELj14ELj32E21rocsparse_complex_numIdEEEvi20rocsparse_direction_NS_24const_host_device_scalarIT2_EEPKiS8_PKS5_SA_S6_PS5_21rocsparse_index_base_b.num_vgpr, 50
	.set _ZN9rocsparseL19gebsrmvn_2xn_kernelILj128ELj14ELj32E21rocsparse_complex_numIdEEEvi20rocsparse_direction_NS_24const_host_device_scalarIT2_EEPKiS8_PKS5_SA_S6_PS5_21rocsparse_index_base_b.num_agpr, 0
	.set _ZN9rocsparseL19gebsrmvn_2xn_kernelILj128ELj14ELj32E21rocsparse_complex_numIdEEEvi20rocsparse_direction_NS_24const_host_device_scalarIT2_EEPKiS8_PKS5_SA_S6_PS5_21rocsparse_index_base_b.numbered_sgpr, 14
	.set _ZN9rocsparseL19gebsrmvn_2xn_kernelILj128ELj14ELj32E21rocsparse_complex_numIdEEEvi20rocsparse_direction_NS_24const_host_device_scalarIT2_EEPKiS8_PKS5_SA_S6_PS5_21rocsparse_index_base_b.num_named_barrier, 0
	.set _ZN9rocsparseL19gebsrmvn_2xn_kernelILj128ELj14ELj32E21rocsparse_complex_numIdEEEvi20rocsparse_direction_NS_24const_host_device_scalarIT2_EEPKiS8_PKS5_SA_S6_PS5_21rocsparse_index_base_b.private_seg_size, 0
	.set _ZN9rocsparseL19gebsrmvn_2xn_kernelILj128ELj14ELj32E21rocsparse_complex_numIdEEEvi20rocsparse_direction_NS_24const_host_device_scalarIT2_EEPKiS8_PKS5_SA_S6_PS5_21rocsparse_index_base_b.uses_vcc, 1
	.set _ZN9rocsparseL19gebsrmvn_2xn_kernelILj128ELj14ELj32E21rocsparse_complex_numIdEEEvi20rocsparse_direction_NS_24const_host_device_scalarIT2_EEPKiS8_PKS5_SA_S6_PS5_21rocsparse_index_base_b.uses_flat_scratch, 0
	.set _ZN9rocsparseL19gebsrmvn_2xn_kernelILj128ELj14ELj32E21rocsparse_complex_numIdEEEvi20rocsparse_direction_NS_24const_host_device_scalarIT2_EEPKiS8_PKS5_SA_S6_PS5_21rocsparse_index_base_b.has_dyn_sized_stack, 0
	.set _ZN9rocsparseL19gebsrmvn_2xn_kernelILj128ELj14ELj32E21rocsparse_complex_numIdEEEvi20rocsparse_direction_NS_24const_host_device_scalarIT2_EEPKiS8_PKS5_SA_S6_PS5_21rocsparse_index_base_b.has_recursion, 0
	.set _ZN9rocsparseL19gebsrmvn_2xn_kernelILj128ELj14ELj32E21rocsparse_complex_numIdEEEvi20rocsparse_direction_NS_24const_host_device_scalarIT2_EEPKiS8_PKS5_SA_S6_PS5_21rocsparse_index_base_b.has_indirect_call, 0
	.section	.AMDGPU.csdata,"",@progbits
; Kernel info:
; codeLenInByte = 2024
; TotalNumSgprs: 16
; NumVgprs: 50
; ScratchSize: 0
; MemoryBound: 0
; FloatMode: 240
; IeeeMode: 1
; LDSByteSize: 0 bytes/workgroup (compile time only)
; SGPRBlocks: 0
; VGPRBlocks: 3
; NumSGPRsForWavesPerEU: 16
; NumVGPRsForWavesPerEU: 50
; NamedBarCnt: 0
; Occupancy: 16
; WaveLimiterHint : 1
; COMPUTE_PGM_RSRC2:SCRATCH_EN: 0
; COMPUTE_PGM_RSRC2:USER_SGPR: 2
; COMPUTE_PGM_RSRC2:TRAP_HANDLER: 0
; COMPUTE_PGM_RSRC2:TGID_X_EN: 1
; COMPUTE_PGM_RSRC2:TGID_Y_EN: 0
; COMPUTE_PGM_RSRC2:TGID_Z_EN: 0
; COMPUTE_PGM_RSRC2:TIDIG_COMP_CNT: 0
	.section	.text._ZN9rocsparseL19gebsrmvn_2xn_kernelILj128ELj14ELj64E21rocsparse_complex_numIdEEEvi20rocsparse_direction_NS_24const_host_device_scalarIT2_EEPKiS8_PKS5_SA_S6_PS5_21rocsparse_index_base_b,"axG",@progbits,_ZN9rocsparseL19gebsrmvn_2xn_kernelILj128ELj14ELj64E21rocsparse_complex_numIdEEEvi20rocsparse_direction_NS_24const_host_device_scalarIT2_EEPKiS8_PKS5_SA_S6_PS5_21rocsparse_index_base_b,comdat
	.globl	_ZN9rocsparseL19gebsrmvn_2xn_kernelILj128ELj14ELj64E21rocsparse_complex_numIdEEEvi20rocsparse_direction_NS_24const_host_device_scalarIT2_EEPKiS8_PKS5_SA_S6_PS5_21rocsparse_index_base_b ; -- Begin function _ZN9rocsparseL19gebsrmvn_2xn_kernelILj128ELj14ELj64E21rocsparse_complex_numIdEEEvi20rocsparse_direction_NS_24const_host_device_scalarIT2_EEPKiS8_PKS5_SA_S6_PS5_21rocsparse_index_base_b
	.p2align	8
	.type	_ZN9rocsparseL19gebsrmvn_2xn_kernelILj128ELj14ELj64E21rocsparse_complex_numIdEEEvi20rocsparse_direction_NS_24const_host_device_scalarIT2_EEPKiS8_PKS5_SA_S6_PS5_21rocsparse_index_base_b,@function
_ZN9rocsparseL19gebsrmvn_2xn_kernelILj128ELj14ELj64E21rocsparse_complex_numIdEEEvi20rocsparse_direction_NS_24const_host_device_scalarIT2_EEPKiS8_PKS5_SA_S6_PS5_21rocsparse_index_base_b: ; @_ZN9rocsparseL19gebsrmvn_2xn_kernelILj128ELj14ELj64E21rocsparse_complex_numIdEEEvi20rocsparse_direction_NS_24const_host_device_scalarIT2_EEPKiS8_PKS5_SA_S6_PS5_21rocsparse_index_base_b
; %bb.0:
	s_clause 0x1
	s_load_b64 s[12:13], s[0:1], 0x50
	s_load_b64 s[2:3], s[0:1], 0x8
	v_mov_b32_e32 v1, 0
	s_add_nc_u64 s[4:5], s[0:1], 8
	s_load_b64 s[6:7], s[0:1], 0x38
	s_wait_kmcnt 0x0
	s_bitcmp1_b32 s13, 0
	s_cselect_b32 s3, s5, s3
	s_cselect_b32 s2, s4, s2
	flat_load_b128 v[2:5], v1, s[2:3]
	s_wait_xcnt 0x0
	s_add_nc_u64 s[2:3], s[0:1], 56
	s_delay_alu instid0(SALU_CYCLE_1)
	s_cselect_b32 s3, s3, s7
	s_cselect_b32 s2, s2, s6
	flat_load_b128 v[6:9], v1, s[2:3]
	s_wait_loadcnt_dscnt 0x101
	v_cmp_eq_f64_e32 vcc_lo, 0, v[2:3]
	s_wait_xcnt 0x0
	v_cmp_eq_f64_e64 s2, 0, v[4:5]
	s_and_b32 s4, vcc_lo, s2
	s_mov_b32 s2, -1
	s_and_saveexec_b32 s3, s4
	s_cbranch_execz .LBB292_2
; %bb.1:
	s_wait_loadcnt_dscnt 0x0
	v_cmp_neq_f64_e32 vcc_lo, 1.0, v[6:7]
	v_cmp_neq_f64_e64 s2, 0, v[8:9]
	s_or_b32 s2, vcc_lo, s2
	s_delay_alu instid0(SALU_CYCLE_1)
	s_or_not1_b32 s2, s2, exec_lo
.LBB292_2:
	s_or_b32 exec_lo, exec_lo, s3
	s_and_saveexec_b32 s3, s2
	s_cbranch_execz .LBB292_25
; %bb.3:
	s_load_b64 s[2:3], s[0:1], 0x0
	s_bfe_u32 s4, ttmp6, 0x4000c
	s_and_b32 s5, ttmp6, 15
	s_add_co_i32 s4, s4, 1
	s_getreg_b32 s6, hwreg(HW_REG_IB_STS2, 6, 4)
	s_mul_i32 s4, ttmp9, s4
	v_lshrrev_b32_e32 v1, 6, v0
	s_add_co_i32 s5, s5, s4
	s_cmp_eq_u32 s6, 0
	s_cselect_b32 s4, ttmp9, s5
	s_delay_alu instid0(VALU_DEP_1) | instid1(SALU_CYCLE_1)
	v_lshl_or_b32 v10, s4, 1, v1
	s_wait_kmcnt 0x0
	s_delay_alu instid0(VALU_DEP_1)
	v_cmp_gt_i32_e32 vcc_lo, s2, v10
	s_and_b32 exec_lo, exec_lo, vcc_lo
	s_cbranch_execz .LBB292_25
; %bb.4:
	s_load_b256 s[4:11], s[0:1], 0x18
	v_ashrrev_i32_e32 v11, 31, v10
	s_cmp_lg_u32 s3, 0
	s_wait_kmcnt 0x0
	s_delay_alu instid0(VALU_DEP_1)
	v_lshl_add_u64 v[12:13], v[10:11], 2, s[4:5]
	v_and_b32_e32 v11, 63, v0
	global_load_b64 v[18:19], v[12:13], off
	s_wait_loadcnt 0x0
	v_subrev_nc_u32_e32 v0, s12, v18
	v_subrev_nc_u32_e32 v19, s12, v19
	s_delay_alu instid0(VALU_DEP_2) | instskip(NEXT) | instid1(VALU_DEP_1)
	v_add_nc_u32_e32 v20, v0, v11
	v_cmp_lt_i32_e64 s2, v20, v19
	s_cbranch_scc0 .LBB292_12
; %bb.5:
	v_mov_b64_e32 v[0:1], 0
	v_mov_b64_e32 v[14:15], 0
	;; [unrolled: 1-line block ×4, first 2 shown]
	s_and_saveexec_b32 s3, s2
	s_cbranch_execz .LBB292_11
; %bb.6:
	v_mul_lo_u32 v21, v20, 28
	v_mov_b64_e32 v[0:1], 0
	v_mov_b64_e32 v[14:15], 0
	;; [unrolled: 1-line block ×4, first 2 shown]
	v_mov_b32_e32 v22, v20
	s_mov_b32 s4, 0
.LBB292_7:                              ; =>This Loop Header: Depth=1
                                        ;     Child Loop BB292_8 Depth 2
	global_load_b32 v23, v22, s[6:7] scale_offset
	v_mov_b32_e32 v24, v21
	s_mov_b32 s5, 0
	s_wait_loadcnt 0x0
	v_subrev_nc_u32_e32 v23, s12, v23
	s_delay_alu instid0(VALU_DEP_1)
	v_mul_lo_u32 v23, v23, 14
.LBB292_8:                              ;   Parent Loop BB292_7 Depth=1
                                        ; =>  This Inner Loop Header: Depth=2
	s_delay_alu instid0(VALU_DEP_1)
	v_add_nc_u32_e32 v25, s5, v23
	s_add_co_i32 s5, s5, 2
	s_clause 0x1
	global_load_b128 v[26:29], v24, s[8:9] offset:16 scale_offset
	global_load_b128 v[30:33], v24, s[8:9] scale_offset
	s_clause 0x1
	global_load_b128 v[34:37], v25, s[10:11] scale_offset
	global_load_b128 v[38:41], v25, s[10:11] offset:16 scale_offset
	s_clause 0x1
	global_load_b128 v[42:45], v24, s[8:9] offset:32 scale_offset
	global_load_b128 v[46:49], v24, s[8:9] offset:48 scale_offset
	s_wait_xcnt 0x0
	v_add_nc_u32_e32 v24, 4, v24
	s_cmp_eq_u32 s5, 14
	s_wait_loadcnt 0x3
	v_fmac_f64_e32 v[14:15], v[30:31], v[34:35]
	v_fmac_f64_e32 v[0:1], v[32:33], v[34:35]
	;; [unrolled: 1-line block ×4, first 2 shown]
	s_delay_alu instid0(VALU_DEP_4) | instskip(NEXT) | instid1(VALU_DEP_4)
	v_fma_f64 v[14:15], -v[32:33], v[36:37], v[14:15]
	v_fmac_f64_e32 v[0:1], v[30:31], v[36:37]
	s_delay_alu instid0(VALU_DEP_4) | instskip(NEXT) | instid1(VALU_DEP_4)
	v_fma_f64 v[16:17], -v[28:29], v[36:37], v[16:17]
	v_fmac_f64_e32 v[12:13], v[26:27], v[36:37]
	s_wait_loadcnt 0x1
	s_delay_alu instid0(VALU_DEP_4) | instskip(NEXT) | instid1(VALU_DEP_4)
	v_fmac_f64_e32 v[14:15], v[42:43], v[38:39]
	v_fmac_f64_e32 v[0:1], v[44:45], v[38:39]
	s_wait_loadcnt 0x0
	s_delay_alu instid0(VALU_DEP_4) | instskip(NEXT) | instid1(VALU_DEP_4)
	v_fmac_f64_e32 v[16:17], v[46:47], v[38:39]
	v_fmac_f64_e32 v[12:13], v[48:49], v[38:39]
	s_delay_alu instid0(VALU_DEP_4) | instskip(NEXT) | instid1(VALU_DEP_4)
	v_fma_f64 v[14:15], -v[44:45], v[40:41], v[14:15]
	v_fmac_f64_e32 v[0:1], v[42:43], v[40:41]
	s_delay_alu instid0(VALU_DEP_4) | instskip(NEXT) | instid1(VALU_DEP_4)
	v_fma_f64 v[16:17], -v[48:49], v[40:41], v[16:17]
	v_fmac_f64_e32 v[12:13], v[46:47], v[40:41]
	s_cbranch_scc0 .LBB292_8
; %bb.9:                                ;   in Loop: Header=BB292_7 Depth=1
	v_add_nc_u32_e32 v22, 64, v22
	v_add_nc_u32_e32 v21, 0x700, v21
	s_delay_alu instid0(VALU_DEP_2) | instskip(SKIP_1) | instid1(SALU_CYCLE_1)
	v_cmp_ge_i32_e32 vcc_lo, v22, v19
	s_or_b32 s4, vcc_lo, s4
	s_and_not1_b32 exec_lo, exec_lo, s4
	s_cbranch_execnz .LBB292_7
; %bb.10:
	s_or_b32 exec_lo, exec_lo, s4
.LBB292_11:
	s_delay_alu instid0(SALU_CYCLE_1)
	s_or_b32 exec_lo, exec_lo, s3
	s_cbranch_execz .LBB292_13
	s_branch .LBB292_20
.LBB292_12:
                                        ; implicit-def: $vgpr0_vgpr1
                                        ; implicit-def: $vgpr14_vgpr15
                                        ; implicit-def: $vgpr16_vgpr17
                                        ; implicit-def: $vgpr12_vgpr13
.LBB292_13:
	v_mov_b64_e32 v[0:1], 0
	v_mov_b64_e32 v[14:15], 0
	;; [unrolled: 1-line block ×4, first 2 shown]
	s_and_saveexec_b32 s3, s2
	s_cbranch_execz .LBB292_19
; %bb.14:
	v_mul_u32_u24_e32 v0, 28, v11
	s_mul_i32 s2, s12, 28
	v_mov_b64_e32 v[14:15], 0
	v_mov_b64_e32 v[16:17], 0
	;; [unrolled: 1-line block ×3, first 2 shown]
	v_mad_u32 v21, v18, 28, v0
	v_mul_lo_u32 v18, v20, 28
	v_mov_b64_e32 v[0:1], 0
	s_delay_alu instid0(VALU_DEP_3)
	v_subrev_nc_u32_e32 v21, s2, v21
	s_mov_b32 s2, 0
.LBB292_15:                             ; =>This Loop Header: Depth=1
                                        ;     Child Loop BB292_16 Depth 2
	global_load_b32 v22, v20, s[6:7] scale_offset
	s_mov_b32 s4, 0
	s_wait_loadcnt 0x0
	v_subrev_nc_u32_e32 v22, s12, v22
	s_delay_alu instid0(VALU_DEP_1)
	v_mul_lo_u32 v22, v22, 14
.LBB292_16:                             ;   Parent Loop BB292_15 Depth=1
                                        ; =>  This Inner Loop Header: Depth=2
	s_delay_alu instid0(VALU_DEP_1)
	v_dual_add_nc_u32 v23, s4, v21 :: v_dual_add_nc_u32 v48, s4, v22
	v_add3_u32 v49, v18, s4, 14
	s_add_co_i32 s4, s4, 2
	global_load_b128 v[24:27], v23, s[8:9] scale_offset
	global_load_b128 v[28:31], v48, s[10:11] scale_offset
	s_clause 0x1
	global_load_b128 v[32:35], v49, s[8:9] scale_offset
	global_load_b128 v[36:39], v23, s[8:9] offset:16 scale_offset
	global_load_b128 v[40:43], v48, s[10:11] offset:16 scale_offset
	;; [unrolled: 1-line block ×3, first 2 shown]
	s_cmp_eq_u32 s4, 14
	s_wait_loadcnt 0x4
	v_fmac_f64_e32 v[14:15], v[24:25], v[28:29]
	v_fmac_f64_e32 v[0:1], v[26:27], v[28:29]
	s_wait_loadcnt 0x3
	v_fmac_f64_e32 v[16:17], v[32:33], v[28:29]
	v_fmac_f64_e32 v[12:13], v[34:35], v[28:29]
	s_delay_alu instid0(VALU_DEP_4) | instskip(NEXT) | instid1(VALU_DEP_4)
	v_fma_f64 v[14:15], -v[26:27], v[30:31], v[14:15]
	v_fmac_f64_e32 v[0:1], v[24:25], v[30:31]
	s_delay_alu instid0(VALU_DEP_4) | instskip(NEXT) | instid1(VALU_DEP_4)
	v_fma_f64 v[16:17], -v[34:35], v[30:31], v[16:17]
	v_fmac_f64_e32 v[12:13], v[32:33], v[30:31]
	s_wait_loadcnt 0x1
	s_delay_alu instid0(VALU_DEP_4) | instskip(NEXT) | instid1(VALU_DEP_4)
	v_fmac_f64_e32 v[14:15], v[36:37], v[40:41]
	v_fmac_f64_e32 v[0:1], v[38:39], v[40:41]
	s_wait_loadcnt 0x0
	s_delay_alu instid0(VALU_DEP_4) | instskip(NEXT) | instid1(VALU_DEP_4)
	v_fmac_f64_e32 v[16:17], v[44:45], v[40:41]
	v_fmac_f64_e32 v[12:13], v[46:47], v[40:41]
	s_delay_alu instid0(VALU_DEP_4) | instskip(NEXT) | instid1(VALU_DEP_4)
	v_fma_f64 v[14:15], -v[38:39], v[42:43], v[14:15]
	v_fmac_f64_e32 v[0:1], v[36:37], v[42:43]
	s_delay_alu instid0(VALU_DEP_4) | instskip(NEXT) | instid1(VALU_DEP_4)
	v_fma_f64 v[16:17], -v[46:47], v[42:43], v[16:17]
	v_fmac_f64_e32 v[12:13], v[44:45], v[42:43]
	s_cbranch_scc0 .LBB292_16
; %bb.17:                               ;   in Loop: Header=BB292_15 Depth=1
	v_add_nc_u32_e32 v20, 64, v20
	v_add_nc_u32_e32 v18, 0x700, v18
	;; [unrolled: 1-line block ×3, first 2 shown]
	s_delay_alu instid0(VALU_DEP_3) | instskip(SKIP_1) | instid1(SALU_CYCLE_1)
	v_cmp_ge_i32_e32 vcc_lo, v20, v19
	s_or_b32 s2, vcc_lo, s2
	s_and_not1_b32 exec_lo, exec_lo, s2
	s_cbranch_execnz .LBB292_15
; %bb.18:
	s_or_b32 exec_lo, exec_lo, s2
.LBB292_19:
	s_delay_alu instid0(SALU_CYCLE_1)
	s_or_b32 exec_lo, exec_lo, s3
.LBB292_20:
	v_mbcnt_lo_u32_b32 v28, -1, 0
	s_delay_alu instid0(VALU_DEP_1) | instskip(NEXT) | instid1(VALU_DEP_1)
	v_or_b32_e32 v18, 32, v28
	v_cmp_gt_i32_e32 vcc_lo, 32, v18
	v_cndmask_b32_e32 v18, v28, v18, vcc_lo
	s_delay_alu instid0(VALU_DEP_1)
	v_lshlrev_b32_e32 v25, 2, v18
	ds_bpermute_b32 v20, v25, v0
	ds_bpermute_b32 v21, v25, v1
	s_wait_dscnt 0x0
	v_add_f64_e32 v[0:1], v[0:1], v[20:21]
	ds_bpermute_b32 v18, v25, v14
	ds_bpermute_b32 v19, v25, v15
	;; [unrolled: 1-line block ×6, first 2 shown]
	s_wait_dscnt 0x4
	v_dual_add_f64 v[14:15], v[14:15], v[18:19] :: v_dual_bitop2_b32 v18, 16, v28 bitop3:0x14
	s_wait_dscnt 0x2
	v_add_f64_e32 v[16:17], v[16:17], v[22:23]
	s_delay_alu instid0(VALU_DEP_2) | instskip(SKIP_2) | instid1(VALU_DEP_1)
	v_cmp_gt_i32_e32 vcc_lo, 32, v18
	v_cndmask_b32_e32 v18, v28, v18, vcc_lo
	s_wait_dscnt 0x0
	v_dual_add_f64 v[12:13], v[12:13], v[24:25] :: v_dual_lshlrev_b32 v25, 2, v18
	ds_bpermute_b32 v20, v25, v0
	ds_bpermute_b32 v21, v25, v1
	;; [unrolled: 1-line block ×8, first 2 shown]
	s_wait_dscnt 0x4
	v_dual_add_f64 v[14:15], v[14:15], v[18:19] :: v_dual_bitop2_b32 v18, 8, v28 bitop3:0x14
	s_wait_dscnt 0x2
	v_add_f64_e32 v[16:17], v[16:17], v[22:23]
	s_delay_alu instid0(VALU_DEP_2) | instskip(SKIP_3) | instid1(VALU_DEP_2)
	v_cmp_gt_i32_e32 vcc_lo, 32, v18
	v_cndmask_b32_e32 v18, v28, v18, vcc_lo
	v_add_f64_e32 v[0:1], v[0:1], v[20:21]
	s_wait_dscnt 0x0
	v_dual_add_f64 v[12:13], v[12:13], v[24:25] :: v_dual_lshlrev_b32 v25, 2, v18
	ds_bpermute_b32 v18, v25, v14
	ds_bpermute_b32 v19, v25, v15
	;; [unrolled: 1-line block ×5, first 2 shown]
	s_wait_dscnt 0x3
	v_dual_add_f64 v[14:15], v[14:15], v[18:19] :: v_dual_bitop2_b32 v18, 4, v28 bitop3:0x14
	ds_bpermute_b32 v22, v25, v16
	ds_bpermute_b32 v23, v25, v17
	;; [unrolled: 1-line block ×3, first 2 shown]
	v_cmp_gt_i32_e32 vcc_lo, 32, v18
	v_cndmask_b32_e32 v18, v28, v18, vcc_lo
	s_wait_dscnt 0x4
	v_add_f64_e32 v[0:1], v[0:1], v[20:21]
	s_wait_dscnt 0x1
	v_add_f64_e32 v[16:17], v[16:17], v[22:23]
	s_wait_dscnt 0x0
	v_dual_add_f64 v[12:13], v[12:13], v[24:25] :: v_dual_lshlrev_b32 v25, 2, v18
	ds_bpermute_b32 v18, v25, v14
	ds_bpermute_b32 v19, v25, v15
	;; [unrolled: 1-line block ×4, first 2 shown]
	s_wait_dscnt 0x2
	v_add_f64_e32 v[14:15], v[14:15], v[18:19]
	ds_bpermute_b32 v22, v25, v16
	ds_bpermute_b32 v23, v25, v17
	;; [unrolled: 1-line block ×4, first 2 shown]
	s_wait_dscnt 0x4
	v_add_f64_e32 v[18:19], v[0:1], v[20:21]
	v_xor_b32_e32 v0, 2, v28
	s_delay_alu instid0(VALU_DEP_1)
	v_cmp_gt_i32_e32 vcc_lo, 32, v0
	s_wait_dscnt 0x2
	v_add_f64_e32 v[20:21], v[16:17], v[22:23]
	v_cndmask_b32_e32 v0, v28, v0, vcc_lo
	s_wait_dscnt 0x0
	v_add_f64_e32 v[22:23], v[12:13], v[24:25]
	s_delay_alu instid0(VALU_DEP_2)
	v_lshlrev_b32_e32 v16, 2, v0
	ds_bpermute_b32 v0, v16, v14
	ds_bpermute_b32 v1, v16, v15
	;; [unrolled: 1-line block ×8, first 2 shown]
	s_wait_dscnt 0x6
	v_add_f64_e32 v[0:1], v[14:15], v[0:1]
	s_wait_dscnt 0x4
	v_add_f64_e32 v[16:17], v[18:19], v[12:13]
	v_xor_b32_e32 v18, 1, v28
	s_delay_alu instid0(VALU_DEP_1)
	v_cmp_gt_i32_e32 vcc_lo, 32, v18
	s_wait_dscnt 0x2
	v_add_f64_e32 v[12:13], v[20:21], v[24:25]
	v_cndmask_b32_e32 v18, v28, v18, vcc_lo
	s_wait_dscnt 0x0
	v_add_f64_e32 v[14:15], v[22:23], v[26:27]
	v_cmp_eq_u32_e32 vcc_lo, 63, v11
	s_delay_alu instid0(VALU_DEP_3)
	v_lshlrev_b32_e32 v21, 2, v18
	ds_bpermute_b32 v24, v21, v0
	ds_bpermute_b32 v25, v21, v1
	;; [unrolled: 1-line block ×8, first 2 shown]
	s_and_b32 exec_lo, exec_lo, vcc_lo
	s_cbranch_execz .LBB292_25
; %bb.21:
	v_cmp_eq_f64_e32 vcc_lo, 0, v[6:7]
	v_cmp_eq_f64_e64 s2, 0, v[8:9]
	s_wait_dscnt 0x6
	v_add_f64_e32 v[0:1], v[0:1], v[24:25]
	s_wait_dscnt 0x4
	v_add_f64_e32 v[16:17], v[16:17], v[22:23]
	;; [unrolled: 2-line block ×4, first 2 shown]
	s_load_b64 s[0:1], s[0:1], 0x48
	s_and_b32 s2, vcc_lo, s2
	s_delay_alu instid0(SALU_CYCLE_1) | instskip(NEXT) | instid1(SALU_CYCLE_1)
	s_and_saveexec_b32 s3, s2
	s_xor_b32 s2, exec_lo, s3
	s_cbranch_execz .LBB292_23
; %bb.22:
	s_delay_alu instid0(VALU_DEP_3) | instskip(SKIP_1) | instid1(VALU_DEP_3)
	v_mul_f64_e64 v[6:7], v[16:17], -v[4:5]
	v_mul_f64_e32 v[8:9], v[2:3], v[16:17]
	v_mul_f64_e64 v[16:17], v[14:15], -v[4:5]
	v_mul_f64_e32 v[18:19], v[2:3], v[14:15]
                                        ; implicit-def: $vgpr14_vgpr15
	s_delay_alu instid0(VALU_DEP_4) | instskip(NEXT) | instid1(VALU_DEP_4)
	v_fmac_f64_e32 v[6:7], v[2:3], v[0:1]
	v_fmac_f64_e32 v[8:9], v[4:5], v[0:1]
	s_delay_alu instid0(VALU_DEP_4) | instskip(NEXT) | instid1(VALU_DEP_4)
	v_fmac_f64_e32 v[16:17], v[2:3], v[12:13]
	v_fmac_f64_e32 v[18:19], v[4:5], v[12:13]
	v_lshlrev_b32_e32 v0, 1, v10
                                        ; implicit-def: $vgpr10
                                        ; implicit-def: $vgpr12_vgpr13
                                        ; implicit-def: $vgpr4_vgpr5
	s_wait_kmcnt 0x0
	s_clause 0x1
	global_store_b128 v0, v[6:9], s[0:1] scale_offset
	global_store_b128 v0, v[16:19], s[0:1] offset:16 scale_offset
                                        ; implicit-def: $vgpr0_vgpr1
                                        ; implicit-def: $vgpr16_vgpr17
                                        ; implicit-def: $vgpr8_vgpr9
.LBB292_23:
	s_wait_xcnt 0x0
	s_and_not1_saveexec_b32 s2, s2
	s_cbranch_execz .LBB292_25
; %bb.24:
	s_delay_alu instid0(VALU_DEP_3) | instskip(SKIP_1) | instid1(VALU_DEP_3)
	v_dual_mul_f64 v[26:27], v[16:17], -v[4:5] :: v_dual_lshlrev_b32 v30, 1, v10
	v_mul_f64_e32 v[16:17], v[2:3], v[16:17]
	v_mul_f64_e64 v[28:29], v[14:15], -v[4:5]
	v_mul_f64_e32 v[10:11], v[2:3], v[14:15]
	s_wait_kmcnt 0x0
	s_clause 0x1
	global_load_b128 v[18:21], v30, s[0:1] scale_offset
	global_load_b128 v[22:25], v30, s[0:1] offset:16 scale_offset
	v_fmac_f64_e32 v[26:27], v[2:3], v[0:1]
	v_fmac_f64_e32 v[16:17], v[4:5], v[0:1]
	;; [unrolled: 1-line block ×4, first 2 shown]
	s_wait_loadcnt 0x1
	s_delay_alu instid0(VALU_DEP_4) | instskip(NEXT) | instid1(VALU_DEP_4)
	v_fmac_f64_e32 v[26:27], v[6:7], v[18:19]
	v_fmac_f64_e32 v[16:17], v[8:9], v[18:19]
	s_wait_loadcnt 0x0
	s_delay_alu instid0(VALU_DEP_4) | instskip(NEXT) | instid1(VALU_DEP_4)
	v_fmac_f64_e32 v[28:29], v[6:7], v[22:23]
	v_fmac_f64_e32 v[10:11], v[8:9], v[22:23]
	s_delay_alu instid0(VALU_DEP_4) | instskip(NEXT) | instid1(VALU_DEP_4)
	v_fma_f64 v[14:15], -v[8:9], v[20:21], v[26:27]
	v_fmac_f64_e32 v[16:17], v[6:7], v[20:21]
	s_delay_alu instid0(VALU_DEP_4) | instskip(NEXT) | instid1(VALU_DEP_4)
	v_fma_f64 v[8:9], -v[8:9], v[24:25], v[28:29]
	v_fmac_f64_e32 v[10:11], v[6:7], v[24:25]
	s_clause 0x1
	global_store_b128 v30, v[14:17], s[0:1] scale_offset
	global_store_b128 v30, v[8:11], s[0:1] offset:16 scale_offset
.LBB292_25:
	s_endpgm
	.section	.rodata,"a",@progbits
	.p2align	6, 0x0
	.amdhsa_kernel _ZN9rocsparseL19gebsrmvn_2xn_kernelILj128ELj14ELj64E21rocsparse_complex_numIdEEEvi20rocsparse_direction_NS_24const_host_device_scalarIT2_EEPKiS8_PKS5_SA_S6_PS5_21rocsparse_index_base_b
		.amdhsa_group_segment_fixed_size 0
		.amdhsa_private_segment_fixed_size 0
		.amdhsa_kernarg_size 88
		.amdhsa_user_sgpr_count 2
		.amdhsa_user_sgpr_dispatch_ptr 0
		.amdhsa_user_sgpr_queue_ptr 0
		.amdhsa_user_sgpr_kernarg_segment_ptr 1
		.amdhsa_user_sgpr_dispatch_id 0
		.amdhsa_user_sgpr_kernarg_preload_length 0
		.amdhsa_user_sgpr_kernarg_preload_offset 0
		.amdhsa_user_sgpr_private_segment_size 0
		.amdhsa_wavefront_size32 1
		.amdhsa_uses_dynamic_stack 0
		.amdhsa_enable_private_segment 0
		.amdhsa_system_sgpr_workgroup_id_x 1
		.amdhsa_system_sgpr_workgroup_id_y 0
		.amdhsa_system_sgpr_workgroup_id_z 0
		.amdhsa_system_sgpr_workgroup_info 0
		.amdhsa_system_vgpr_workitem_id 0
		.amdhsa_next_free_vgpr 50
		.amdhsa_next_free_sgpr 14
		.amdhsa_named_barrier_count 0
		.amdhsa_reserve_vcc 1
		.amdhsa_float_round_mode_32 0
		.amdhsa_float_round_mode_16_64 0
		.amdhsa_float_denorm_mode_32 3
		.amdhsa_float_denorm_mode_16_64 3
		.amdhsa_fp16_overflow 0
		.amdhsa_memory_ordered 1
		.amdhsa_forward_progress 1
		.amdhsa_inst_pref_size 17
		.amdhsa_round_robin_scheduling 0
		.amdhsa_exception_fp_ieee_invalid_op 0
		.amdhsa_exception_fp_denorm_src 0
		.amdhsa_exception_fp_ieee_div_zero 0
		.amdhsa_exception_fp_ieee_overflow 0
		.amdhsa_exception_fp_ieee_underflow 0
		.amdhsa_exception_fp_ieee_inexact 0
		.amdhsa_exception_int_div_zero 0
	.end_amdhsa_kernel
	.section	.text._ZN9rocsparseL19gebsrmvn_2xn_kernelILj128ELj14ELj64E21rocsparse_complex_numIdEEEvi20rocsparse_direction_NS_24const_host_device_scalarIT2_EEPKiS8_PKS5_SA_S6_PS5_21rocsparse_index_base_b,"axG",@progbits,_ZN9rocsparseL19gebsrmvn_2xn_kernelILj128ELj14ELj64E21rocsparse_complex_numIdEEEvi20rocsparse_direction_NS_24const_host_device_scalarIT2_EEPKiS8_PKS5_SA_S6_PS5_21rocsparse_index_base_b,comdat
.Lfunc_end292:
	.size	_ZN9rocsparseL19gebsrmvn_2xn_kernelILj128ELj14ELj64E21rocsparse_complex_numIdEEEvi20rocsparse_direction_NS_24const_host_device_scalarIT2_EEPKiS8_PKS5_SA_S6_PS5_21rocsparse_index_base_b, .Lfunc_end292-_ZN9rocsparseL19gebsrmvn_2xn_kernelILj128ELj14ELj64E21rocsparse_complex_numIdEEEvi20rocsparse_direction_NS_24const_host_device_scalarIT2_EEPKiS8_PKS5_SA_S6_PS5_21rocsparse_index_base_b
                                        ; -- End function
	.set _ZN9rocsparseL19gebsrmvn_2xn_kernelILj128ELj14ELj64E21rocsparse_complex_numIdEEEvi20rocsparse_direction_NS_24const_host_device_scalarIT2_EEPKiS8_PKS5_SA_S6_PS5_21rocsparse_index_base_b.num_vgpr, 50
	.set _ZN9rocsparseL19gebsrmvn_2xn_kernelILj128ELj14ELj64E21rocsparse_complex_numIdEEEvi20rocsparse_direction_NS_24const_host_device_scalarIT2_EEPKiS8_PKS5_SA_S6_PS5_21rocsparse_index_base_b.num_agpr, 0
	.set _ZN9rocsparseL19gebsrmvn_2xn_kernelILj128ELj14ELj64E21rocsparse_complex_numIdEEEvi20rocsparse_direction_NS_24const_host_device_scalarIT2_EEPKiS8_PKS5_SA_S6_PS5_21rocsparse_index_base_b.numbered_sgpr, 14
	.set _ZN9rocsparseL19gebsrmvn_2xn_kernelILj128ELj14ELj64E21rocsparse_complex_numIdEEEvi20rocsparse_direction_NS_24const_host_device_scalarIT2_EEPKiS8_PKS5_SA_S6_PS5_21rocsparse_index_base_b.num_named_barrier, 0
	.set _ZN9rocsparseL19gebsrmvn_2xn_kernelILj128ELj14ELj64E21rocsparse_complex_numIdEEEvi20rocsparse_direction_NS_24const_host_device_scalarIT2_EEPKiS8_PKS5_SA_S6_PS5_21rocsparse_index_base_b.private_seg_size, 0
	.set _ZN9rocsparseL19gebsrmvn_2xn_kernelILj128ELj14ELj64E21rocsparse_complex_numIdEEEvi20rocsparse_direction_NS_24const_host_device_scalarIT2_EEPKiS8_PKS5_SA_S6_PS5_21rocsparse_index_base_b.uses_vcc, 1
	.set _ZN9rocsparseL19gebsrmvn_2xn_kernelILj128ELj14ELj64E21rocsparse_complex_numIdEEEvi20rocsparse_direction_NS_24const_host_device_scalarIT2_EEPKiS8_PKS5_SA_S6_PS5_21rocsparse_index_base_b.uses_flat_scratch, 0
	.set _ZN9rocsparseL19gebsrmvn_2xn_kernelILj128ELj14ELj64E21rocsparse_complex_numIdEEEvi20rocsparse_direction_NS_24const_host_device_scalarIT2_EEPKiS8_PKS5_SA_S6_PS5_21rocsparse_index_base_b.has_dyn_sized_stack, 0
	.set _ZN9rocsparseL19gebsrmvn_2xn_kernelILj128ELj14ELj64E21rocsparse_complex_numIdEEEvi20rocsparse_direction_NS_24const_host_device_scalarIT2_EEPKiS8_PKS5_SA_S6_PS5_21rocsparse_index_base_b.has_recursion, 0
	.set _ZN9rocsparseL19gebsrmvn_2xn_kernelILj128ELj14ELj64E21rocsparse_complex_numIdEEEvi20rocsparse_direction_NS_24const_host_device_scalarIT2_EEPKiS8_PKS5_SA_S6_PS5_21rocsparse_index_base_b.has_indirect_call, 0
	.section	.AMDGPU.csdata,"",@progbits
; Kernel info:
; codeLenInByte = 2164
; TotalNumSgprs: 16
; NumVgprs: 50
; ScratchSize: 0
; MemoryBound: 0
; FloatMode: 240
; IeeeMode: 1
; LDSByteSize: 0 bytes/workgroup (compile time only)
; SGPRBlocks: 0
; VGPRBlocks: 3
; NumSGPRsForWavesPerEU: 16
; NumVGPRsForWavesPerEU: 50
; NamedBarCnt: 0
; Occupancy: 16
; WaveLimiterHint : 1
; COMPUTE_PGM_RSRC2:SCRATCH_EN: 0
; COMPUTE_PGM_RSRC2:USER_SGPR: 2
; COMPUTE_PGM_RSRC2:TRAP_HANDLER: 0
; COMPUTE_PGM_RSRC2:TGID_X_EN: 1
; COMPUTE_PGM_RSRC2:TGID_Y_EN: 0
; COMPUTE_PGM_RSRC2:TGID_Z_EN: 0
; COMPUTE_PGM_RSRC2:TIDIG_COMP_CNT: 0
	.section	.text._ZN9rocsparseL19gebsrmvn_2xn_kernelILj128ELj15ELj4E21rocsparse_complex_numIdEEEvi20rocsparse_direction_NS_24const_host_device_scalarIT2_EEPKiS8_PKS5_SA_S6_PS5_21rocsparse_index_base_b,"axG",@progbits,_ZN9rocsparseL19gebsrmvn_2xn_kernelILj128ELj15ELj4E21rocsparse_complex_numIdEEEvi20rocsparse_direction_NS_24const_host_device_scalarIT2_EEPKiS8_PKS5_SA_S6_PS5_21rocsparse_index_base_b,comdat
	.globl	_ZN9rocsparseL19gebsrmvn_2xn_kernelILj128ELj15ELj4E21rocsparse_complex_numIdEEEvi20rocsparse_direction_NS_24const_host_device_scalarIT2_EEPKiS8_PKS5_SA_S6_PS5_21rocsparse_index_base_b ; -- Begin function _ZN9rocsparseL19gebsrmvn_2xn_kernelILj128ELj15ELj4E21rocsparse_complex_numIdEEEvi20rocsparse_direction_NS_24const_host_device_scalarIT2_EEPKiS8_PKS5_SA_S6_PS5_21rocsparse_index_base_b
	.p2align	8
	.type	_ZN9rocsparseL19gebsrmvn_2xn_kernelILj128ELj15ELj4E21rocsparse_complex_numIdEEEvi20rocsparse_direction_NS_24const_host_device_scalarIT2_EEPKiS8_PKS5_SA_S6_PS5_21rocsparse_index_base_b,@function
_ZN9rocsparseL19gebsrmvn_2xn_kernelILj128ELj15ELj4E21rocsparse_complex_numIdEEEvi20rocsparse_direction_NS_24const_host_device_scalarIT2_EEPKiS8_PKS5_SA_S6_PS5_21rocsparse_index_base_b: ; @_ZN9rocsparseL19gebsrmvn_2xn_kernelILj128ELj15ELj4E21rocsparse_complex_numIdEEEvi20rocsparse_direction_NS_24const_host_device_scalarIT2_EEPKiS8_PKS5_SA_S6_PS5_21rocsparse_index_base_b
; %bb.0:
	s_clause 0x1
	s_load_b64 s[12:13], s[0:1], 0x50
	s_load_b64 s[2:3], s[0:1], 0x8
	v_mov_b32_e32 v1, 0
	s_add_nc_u64 s[4:5], s[0:1], 8
	s_load_b64 s[6:7], s[0:1], 0x38
	s_wait_kmcnt 0x0
	s_bitcmp1_b32 s13, 0
	s_cselect_b32 s3, s5, s3
	s_cselect_b32 s2, s4, s2
	flat_load_b128 v[2:5], v1, s[2:3]
	s_wait_xcnt 0x0
	s_add_nc_u64 s[2:3], s[0:1], 56
	s_delay_alu instid0(SALU_CYCLE_1)
	s_cselect_b32 s3, s3, s7
	s_cselect_b32 s2, s2, s6
	flat_load_b128 v[6:9], v1, s[2:3]
	s_wait_loadcnt_dscnt 0x101
	v_cmp_eq_f64_e32 vcc_lo, 0, v[2:3]
	s_wait_xcnt 0x0
	v_cmp_eq_f64_e64 s2, 0, v[4:5]
	s_and_b32 s4, vcc_lo, s2
	s_mov_b32 s2, -1
	s_and_saveexec_b32 s3, s4
	s_cbranch_execz .LBB293_2
; %bb.1:
	s_wait_loadcnt_dscnt 0x0
	v_cmp_neq_f64_e32 vcc_lo, 1.0, v[6:7]
	v_cmp_neq_f64_e64 s2, 0, v[8:9]
	s_or_b32 s2, vcc_lo, s2
	s_delay_alu instid0(SALU_CYCLE_1)
	s_or_not1_b32 s2, s2, exec_lo
.LBB293_2:
	s_or_b32 exec_lo, exec_lo, s3
	s_and_saveexec_b32 s3, s2
	s_cbranch_execz .LBB293_25
; %bb.3:
	s_load_b64 s[2:3], s[0:1], 0x0
	s_bfe_u32 s4, ttmp6, 0x4000c
	s_and_b32 s5, ttmp6, 15
	s_add_co_i32 s4, s4, 1
	s_getreg_b32 s6, hwreg(HW_REG_IB_STS2, 6, 4)
	s_mul_i32 s4, ttmp9, s4
	v_lshrrev_b32_e32 v1, 2, v0
	s_add_co_i32 s5, s5, s4
	s_cmp_eq_u32 s6, 0
	s_cselect_b32 s4, ttmp9, s5
	s_delay_alu instid0(VALU_DEP_1) | instid1(SALU_CYCLE_1)
	v_lshl_or_b32 v10, s4, 5, v1
	s_wait_kmcnt 0x0
	s_delay_alu instid0(VALU_DEP_1)
	v_cmp_gt_i32_e32 vcc_lo, s2, v10
	s_and_b32 exec_lo, exec_lo, vcc_lo
	s_cbranch_execz .LBB293_25
; %bb.4:
	s_load_b256 s[4:11], s[0:1], 0x18
	v_ashrrev_i32_e32 v11, 31, v10
	s_cmp_lg_u32 s3, 0
	s_wait_kmcnt 0x0
	s_delay_alu instid0(VALU_DEP_1)
	v_lshl_add_u64 v[12:13], v[10:11], 2, s[4:5]
	v_and_b32_e32 v11, 3, v0
	global_load_b64 v[18:19], v[12:13], off
	s_wait_loadcnt 0x0
	v_subrev_nc_u32_e32 v0, s12, v18
	v_subrev_nc_u32_e32 v19, s12, v19
	s_delay_alu instid0(VALU_DEP_2) | instskip(NEXT) | instid1(VALU_DEP_1)
	v_add_nc_u32_e32 v20, v0, v11
	v_cmp_lt_i32_e64 s2, v20, v19
	s_cbranch_scc0 .LBB293_12
; %bb.5:
	v_mov_b64_e32 v[0:1], 0
	v_mov_b64_e32 v[14:15], 0
	;; [unrolled: 1-line block ×4, first 2 shown]
	s_and_saveexec_b32 s3, s2
	s_cbranch_execz .LBB293_11
; %bb.6:
	v_mul_lo_u32 v21, v20, 30
	v_mov_b64_e32 v[0:1], 0
	v_mov_b64_e32 v[14:15], 0
	v_mov_b64_e32 v[16:17], 0
	v_mov_b64_e32 v[12:13], 0
	v_mov_b32_e32 v22, v20
	s_mov_b32 s4, 0
.LBB293_7:                              ; =>This Loop Header: Depth=1
                                        ;     Child Loop BB293_8 Depth 2
	global_load_b32 v23, v22, s[6:7] scale_offset
	v_mov_b32_e32 v24, v21
	s_mov_b32 s5, 0
	s_wait_loadcnt 0x0
	v_subrev_nc_u32_e32 v23, s12, v23
	s_delay_alu instid0(VALU_DEP_1)
	v_mul_lo_u32 v23, v23, 15
.LBB293_8:                              ;   Parent Loop BB293_7 Depth=1
                                        ; =>  This Inner Loop Header: Depth=2
	s_delay_alu instid0(VALU_DEP_1)
	v_dual_add_nc_u32 v25, s5, v23 :: v_dual_add_nc_u32 v50, 2, v24
	s_add_co_i32 s5, s5, 3
	s_clause 0x1
	global_load_b128 v[26:29], v24, s[8:9] offset:16 scale_offset
	global_load_b128 v[30:33], v24, s[8:9] scale_offset
	global_load_b128 v[34:37], v25, s[10:11] scale_offset
	s_cmp_eq_u32 s5, 15
	v_dual_add_nc_u32 v51, 1, v25 :: v_dual_add_nc_u32 v62, 4, v24
	s_wait_xcnt 0x0
	v_dual_add_nc_u32 v25, 2, v25 :: v_dual_add_nc_u32 v24, 6, v24
	s_clause 0x1
	global_load_b128 v[38:41], v50, s[8:9] offset:16 scale_offset
	global_load_b128 v[42:45], v50, s[8:9] scale_offset
	global_load_b128 v[46:49], v51, s[10:11] scale_offset
	s_clause 0x1
	global_load_b128 v[50:53], v62, s[8:9] offset:16 scale_offset
	global_load_b128 v[54:57], v62, s[8:9] scale_offset
	global_load_b128 v[58:61], v25, s[10:11] scale_offset
	s_wait_loadcnt 0x6
	v_fmac_f64_e32 v[14:15], v[30:31], v[34:35]
	v_fmac_f64_e32 v[0:1], v[32:33], v[34:35]
	;; [unrolled: 1-line block ×4, first 2 shown]
	s_delay_alu instid0(VALU_DEP_4) | instskip(NEXT) | instid1(VALU_DEP_4)
	v_fma_f64 v[14:15], -v[32:33], v[36:37], v[14:15]
	v_fmac_f64_e32 v[0:1], v[30:31], v[36:37]
	s_delay_alu instid0(VALU_DEP_4) | instskip(NEXT) | instid1(VALU_DEP_4)
	v_fma_f64 v[16:17], -v[28:29], v[36:37], v[16:17]
	v_fmac_f64_e32 v[12:13], v[26:27], v[36:37]
	s_wait_loadcnt 0x3
	s_delay_alu instid0(VALU_DEP_4) | instskip(NEXT) | instid1(VALU_DEP_4)
	v_fmac_f64_e32 v[14:15], v[42:43], v[46:47]
	v_fmac_f64_e32 v[0:1], v[44:45], v[46:47]
	s_delay_alu instid0(VALU_DEP_4) | instskip(NEXT) | instid1(VALU_DEP_4)
	v_fmac_f64_e32 v[16:17], v[38:39], v[46:47]
	v_fmac_f64_e32 v[12:13], v[40:41], v[46:47]
	s_delay_alu instid0(VALU_DEP_4) | instskip(NEXT) | instid1(VALU_DEP_4)
	v_fma_f64 v[14:15], -v[44:45], v[48:49], v[14:15]
	v_fmac_f64_e32 v[0:1], v[42:43], v[48:49]
	s_delay_alu instid0(VALU_DEP_4) | instskip(NEXT) | instid1(VALU_DEP_4)
	v_fma_f64 v[16:17], -v[40:41], v[48:49], v[16:17]
	v_fmac_f64_e32 v[12:13], v[38:39], v[48:49]
	s_wait_loadcnt 0x0
	s_delay_alu instid0(VALU_DEP_4) | instskip(NEXT) | instid1(VALU_DEP_4)
	v_fmac_f64_e32 v[14:15], v[54:55], v[58:59]
	v_fmac_f64_e32 v[0:1], v[56:57], v[58:59]
	s_delay_alu instid0(VALU_DEP_4) | instskip(NEXT) | instid1(VALU_DEP_4)
	v_fmac_f64_e32 v[16:17], v[50:51], v[58:59]
	v_fmac_f64_e32 v[12:13], v[52:53], v[58:59]
	s_delay_alu instid0(VALU_DEP_4) | instskip(NEXT) | instid1(VALU_DEP_4)
	v_fma_f64 v[14:15], -v[56:57], v[60:61], v[14:15]
	v_fmac_f64_e32 v[0:1], v[54:55], v[60:61]
	s_delay_alu instid0(VALU_DEP_4) | instskip(NEXT) | instid1(VALU_DEP_4)
	v_fma_f64 v[16:17], -v[52:53], v[60:61], v[16:17]
	v_fmac_f64_e32 v[12:13], v[50:51], v[60:61]
	s_cbranch_scc0 .LBB293_8
; %bb.9:                                ;   in Loop: Header=BB293_7 Depth=1
	v_add_nc_u32_e32 v22, 4, v22
	v_add_nc_u32_e32 v21, 0x78, v21
	s_delay_alu instid0(VALU_DEP_2) | instskip(SKIP_1) | instid1(SALU_CYCLE_1)
	v_cmp_ge_i32_e32 vcc_lo, v22, v19
	s_or_b32 s4, vcc_lo, s4
	s_and_not1_b32 exec_lo, exec_lo, s4
	s_cbranch_execnz .LBB293_7
; %bb.10:
	s_or_b32 exec_lo, exec_lo, s4
.LBB293_11:
	s_delay_alu instid0(SALU_CYCLE_1)
	s_or_b32 exec_lo, exec_lo, s3
	s_cbranch_execz .LBB293_13
	s_branch .LBB293_20
.LBB293_12:
                                        ; implicit-def: $vgpr0_vgpr1
                                        ; implicit-def: $vgpr14_vgpr15
                                        ; implicit-def: $vgpr16_vgpr17
                                        ; implicit-def: $vgpr12_vgpr13
.LBB293_13:
	v_mov_b64_e32 v[0:1], 0
	v_mov_b64_e32 v[14:15], 0
	;; [unrolled: 1-line block ×4, first 2 shown]
	s_and_saveexec_b32 s3, s2
	s_cbranch_execz .LBB293_19
; %bb.14:
	v_mul_u32_u24_e32 v0, 30, v11
	s_mul_i32 s2, s12, 30
	v_mov_b64_e32 v[14:15], 0
	v_mov_b64_e32 v[16:17], 0
	;; [unrolled: 1-line block ×3, first 2 shown]
	v_mad_u32 v21, v18, 30, v0
	v_mul_lo_u32 v18, v20, 30
	v_mov_b64_e32 v[0:1], 0
	s_delay_alu instid0(VALU_DEP_3)
	v_subrev_nc_u32_e32 v21, s2, v21
	s_mov_b32 s2, 0
.LBB293_15:                             ; =>This Loop Header: Depth=1
                                        ;     Child Loop BB293_16 Depth 2
	global_load_b32 v22, v20, s[6:7] scale_offset
	s_mov_b32 s4, 0
	s_wait_loadcnt 0x0
	v_subrev_nc_u32_e32 v22, s12, v22
	s_delay_alu instid0(VALU_DEP_1)
	v_mul_lo_u32 v22, v22, 15
.LBB293_16:                             ;   Parent Loop BB293_15 Depth=1
                                        ; =>  This Inner Loop Header: Depth=2
	v_dual_add_nc_u32 v23, s4, v18 :: v_dual_add_nc_u32 v36, s4, v21
	s_delay_alu instid0(VALU_DEP_2) | instskip(SKIP_1) | instid1(SALU_CYCLE_1)
	v_add_nc_u32_e32 v48, s4, v22
	s_add_co_i32 s4, s4, 3
	s_cmp_eq_u32 s4, 15
	s_delay_alu instid0(VALU_DEP_2) | instskip(NEXT) | instid1(VALU_DEP_2)
	v_dual_add_nc_u32 v37, 15, v23 :: v_dual_add_nc_u32 v49, 1, v23
	v_add_nc_u32_e32 v50, 1, v48
	global_load_b128 v[24:27], v36, s[8:9] scale_offset
	global_load_b128 v[28:31], v48, s[10:11] scale_offset
	global_load_b128 v[32:35], v37, s[8:9] scale_offset
	v_dual_add_nc_u32 v51, 16, v23 :: v_dual_add_nc_u32 v60, 2, v23
	global_load_b128 v[36:39], v49, s[8:9] scale_offset
	global_load_b128 v[40:43], v50, s[10:11] scale_offset
	;; [unrolled: 1-line block ×3, first 2 shown]
	v_dual_add_nc_u32 v61, 2, v48 :: v_dual_add_nc_u32 v23, 17, v23
	global_load_b128 v[48:51], v60, s[8:9] scale_offset
	global_load_b128 v[52:55], v61, s[10:11] scale_offset
	;; [unrolled: 1-line block ×3, first 2 shown]
	s_wait_loadcnt 0x7
	v_fmac_f64_e32 v[14:15], v[24:25], v[28:29]
	v_fmac_f64_e32 v[0:1], v[26:27], v[28:29]
	s_wait_loadcnt 0x6
	v_fmac_f64_e32 v[16:17], v[32:33], v[28:29]
	v_fmac_f64_e32 v[12:13], v[34:35], v[28:29]
	s_delay_alu instid0(VALU_DEP_4) | instskip(NEXT) | instid1(VALU_DEP_4)
	v_fma_f64 v[14:15], -v[26:27], v[30:31], v[14:15]
	v_fmac_f64_e32 v[0:1], v[24:25], v[30:31]
	s_delay_alu instid0(VALU_DEP_4) | instskip(NEXT) | instid1(VALU_DEP_4)
	v_fma_f64 v[16:17], -v[34:35], v[30:31], v[16:17]
	v_fmac_f64_e32 v[12:13], v[32:33], v[30:31]
	s_wait_loadcnt 0x4
	s_delay_alu instid0(VALU_DEP_4) | instskip(NEXT) | instid1(VALU_DEP_4)
	v_fmac_f64_e32 v[14:15], v[36:37], v[40:41]
	v_fmac_f64_e32 v[0:1], v[38:39], v[40:41]
	s_wait_loadcnt 0x3
	s_delay_alu instid0(VALU_DEP_4) | instskip(NEXT) | instid1(VALU_DEP_4)
	v_fmac_f64_e32 v[16:17], v[44:45], v[40:41]
	v_fmac_f64_e32 v[12:13], v[46:47], v[40:41]
	s_delay_alu instid0(VALU_DEP_4) | instskip(NEXT) | instid1(VALU_DEP_4)
	v_fma_f64 v[14:15], -v[38:39], v[42:43], v[14:15]
	v_fmac_f64_e32 v[0:1], v[36:37], v[42:43]
	s_delay_alu instid0(VALU_DEP_4) | instskip(NEXT) | instid1(VALU_DEP_4)
	v_fma_f64 v[16:17], -v[46:47], v[42:43], v[16:17]
	v_fmac_f64_e32 v[12:13], v[44:45], v[42:43]
	s_wait_loadcnt 0x1
	s_delay_alu instid0(VALU_DEP_4) | instskip(NEXT) | instid1(VALU_DEP_4)
	v_fmac_f64_e32 v[14:15], v[48:49], v[52:53]
	v_fmac_f64_e32 v[0:1], v[50:51], v[52:53]
	s_wait_loadcnt 0x0
	s_delay_alu instid0(VALU_DEP_4) | instskip(NEXT) | instid1(VALU_DEP_4)
	v_fmac_f64_e32 v[16:17], v[56:57], v[52:53]
	v_fmac_f64_e32 v[12:13], v[58:59], v[52:53]
	s_delay_alu instid0(VALU_DEP_4) | instskip(NEXT) | instid1(VALU_DEP_4)
	v_fma_f64 v[14:15], -v[50:51], v[54:55], v[14:15]
	v_fmac_f64_e32 v[0:1], v[48:49], v[54:55]
	s_delay_alu instid0(VALU_DEP_4) | instskip(NEXT) | instid1(VALU_DEP_4)
	v_fma_f64 v[16:17], -v[58:59], v[54:55], v[16:17]
	v_fmac_f64_e32 v[12:13], v[56:57], v[54:55]
	s_cbranch_scc0 .LBB293_16
; %bb.17:                               ;   in Loop: Header=BB293_15 Depth=1
	v_add_nc_u32_e32 v20, 4, v20
	v_add_nc_u32_e32 v18, 0x78, v18
	v_add_nc_u32_e32 v21, 0x78, v21
	s_delay_alu instid0(VALU_DEP_3) | instskip(SKIP_1) | instid1(SALU_CYCLE_1)
	v_cmp_ge_i32_e32 vcc_lo, v20, v19
	s_or_b32 s2, vcc_lo, s2
	s_and_not1_b32 exec_lo, exec_lo, s2
	s_cbranch_execnz .LBB293_15
; %bb.18:
	s_or_b32 exec_lo, exec_lo, s2
.LBB293_19:
	s_delay_alu instid0(SALU_CYCLE_1)
	s_or_b32 exec_lo, exec_lo, s3
.LBB293_20:
	v_mbcnt_lo_u32_b32 v28, -1, 0
	s_delay_alu instid0(VALU_DEP_1) | instskip(NEXT) | instid1(VALU_DEP_1)
	v_xor_b32_e32 v18, 2, v28
	v_cmp_gt_i32_e32 vcc_lo, 32, v18
	v_cndmask_b32_e32 v18, v28, v18, vcc_lo
	s_delay_alu instid0(VALU_DEP_1)
	v_lshlrev_b32_e32 v22, 2, v18
	ds_bpermute_b32 v20, v22, v0
	ds_bpermute_b32 v21, v22, v1
	s_wait_dscnt 0x0
	v_add_f64_e32 v[20:21], v[0:1], v[20:21]
	ds_bpermute_b32 v18, v22, v14
	ds_bpermute_b32 v19, v22, v15
	;; [unrolled: 1-line block ×6, first 2 shown]
	v_xor_b32_e32 v0, 1, v28
	s_delay_alu instid0(VALU_DEP_1)
	v_cmp_gt_i32_e32 vcc_lo, 32, v0
	v_cndmask_b32_e32 v0, v28, v0, vcc_lo
	v_cmp_eq_u32_e32 vcc_lo, 3, v11
	s_wait_dscnt 0x4
	v_add_f64_e32 v[22:23], v[14:15], v[18:19]
	s_wait_dscnt 0x2
	v_add_f64_e32 v[14:15], v[16:17], v[24:25]
	s_wait_dscnt 0x0
	v_dual_add_f64 v[18:19], v[12:13], v[26:27] :: v_dual_lshlrev_b32 v25, 2, v0
	ds_bpermute_b32 v16, v25, v20
	ds_bpermute_b32 v17, v25, v21
	;; [unrolled: 1-line block ×8, first 2 shown]
	s_and_b32 exec_lo, exec_lo, vcc_lo
	s_cbranch_execz .LBB293_25
; %bb.21:
	v_cmp_eq_f64_e32 vcc_lo, 0, v[6:7]
	v_cmp_eq_f64_e64 s2, 0, v[8:9]
	s_wait_dscnt 0x4
	v_add_f64_e32 v[0:1], v[22:23], v[0:1]
	v_add_f64_e32 v[16:17], v[20:21], v[16:17]
	s_wait_dscnt 0x2
	v_add_f64_e32 v[12:13], v[14:15], v[12:13]
	s_wait_dscnt 0x0
	v_add_f64_e32 v[14:15], v[18:19], v[24:25]
	s_load_b64 s[0:1], s[0:1], 0x48
	s_and_b32 s2, vcc_lo, s2
	s_delay_alu instid0(SALU_CYCLE_1) | instskip(NEXT) | instid1(SALU_CYCLE_1)
	s_and_saveexec_b32 s3, s2
	s_xor_b32 s2, exec_lo, s3
	s_cbranch_execz .LBB293_23
; %bb.22:
	s_delay_alu instid0(VALU_DEP_3) | instskip(SKIP_1) | instid1(VALU_DEP_3)
	v_mul_f64_e64 v[6:7], v[16:17], -v[4:5]
	v_mul_f64_e32 v[8:9], v[2:3], v[16:17]
	v_mul_f64_e64 v[16:17], v[14:15], -v[4:5]
	v_mul_f64_e32 v[18:19], v[2:3], v[14:15]
                                        ; implicit-def: $vgpr14_vgpr15
	s_delay_alu instid0(VALU_DEP_4) | instskip(NEXT) | instid1(VALU_DEP_4)
	v_fmac_f64_e32 v[6:7], v[2:3], v[0:1]
	v_fmac_f64_e32 v[8:9], v[4:5], v[0:1]
	s_delay_alu instid0(VALU_DEP_4) | instskip(NEXT) | instid1(VALU_DEP_4)
	v_fmac_f64_e32 v[16:17], v[2:3], v[12:13]
	v_fmac_f64_e32 v[18:19], v[4:5], v[12:13]
	v_lshlrev_b32_e32 v0, 1, v10
                                        ; implicit-def: $vgpr10
                                        ; implicit-def: $vgpr12_vgpr13
                                        ; implicit-def: $vgpr4_vgpr5
	s_wait_kmcnt 0x0
	s_clause 0x1
	global_store_b128 v0, v[6:9], s[0:1] scale_offset
	global_store_b128 v0, v[16:19], s[0:1] offset:16 scale_offset
                                        ; implicit-def: $vgpr0_vgpr1
                                        ; implicit-def: $vgpr16_vgpr17
                                        ; implicit-def: $vgpr8_vgpr9
.LBB293_23:
	s_wait_xcnt 0x0
	s_and_not1_saveexec_b32 s2, s2
	s_cbranch_execz .LBB293_25
; %bb.24:
	s_delay_alu instid0(VALU_DEP_3) | instskip(SKIP_1) | instid1(VALU_DEP_3)
	v_dual_mul_f64 v[26:27], v[16:17], -v[4:5] :: v_dual_lshlrev_b32 v30, 1, v10
	v_mul_f64_e32 v[16:17], v[2:3], v[16:17]
	v_mul_f64_e64 v[28:29], v[14:15], -v[4:5]
	v_mul_f64_e32 v[10:11], v[2:3], v[14:15]
	s_wait_kmcnt 0x0
	s_clause 0x1
	global_load_b128 v[18:21], v30, s[0:1] scale_offset
	global_load_b128 v[22:25], v30, s[0:1] offset:16 scale_offset
	v_fmac_f64_e32 v[26:27], v[2:3], v[0:1]
	v_fmac_f64_e32 v[16:17], v[4:5], v[0:1]
	;; [unrolled: 1-line block ×4, first 2 shown]
	s_wait_loadcnt 0x1
	s_delay_alu instid0(VALU_DEP_4) | instskip(NEXT) | instid1(VALU_DEP_4)
	v_fmac_f64_e32 v[26:27], v[6:7], v[18:19]
	v_fmac_f64_e32 v[16:17], v[8:9], v[18:19]
	s_wait_loadcnt 0x0
	s_delay_alu instid0(VALU_DEP_4) | instskip(NEXT) | instid1(VALU_DEP_4)
	v_fmac_f64_e32 v[28:29], v[6:7], v[22:23]
	v_fmac_f64_e32 v[10:11], v[8:9], v[22:23]
	s_delay_alu instid0(VALU_DEP_4) | instskip(NEXT) | instid1(VALU_DEP_4)
	v_fma_f64 v[14:15], -v[8:9], v[20:21], v[26:27]
	v_fmac_f64_e32 v[16:17], v[6:7], v[20:21]
	s_delay_alu instid0(VALU_DEP_4) | instskip(NEXT) | instid1(VALU_DEP_4)
	v_fma_f64 v[8:9], -v[8:9], v[24:25], v[28:29]
	v_fmac_f64_e32 v[10:11], v[6:7], v[24:25]
	s_clause 0x1
	global_store_b128 v30, v[14:17], s[0:1] scale_offset
	global_store_b128 v30, v[8:11], s[0:1] offset:16 scale_offset
.LBB293_25:
	s_endpgm
	.section	.rodata,"a",@progbits
	.p2align	6, 0x0
	.amdhsa_kernel _ZN9rocsparseL19gebsrmvn_2xn_kernelILj128ELj15ELj4E21rocsparse_complex_numIdEEEvi20rocsparse_direction_NS_24const_host_device_scalarIT2_EEPKiS8_PKS5_SA_S6_PS5_21rocsparse_index_base_b
		.amdhsa_group_segment_fixed_size 0
		.amdhsa_private_segment_fixed_size 0
		.amdhsa_kernarg_size 88
		.amdhsa_user_sgpr_count 2
		.amdhsa_user_sgpr_dispatch_ptr 0
		.amdhsa_user_sgpr_queue_ptr 0
		.amdhsa_user_sgpr_kernarg_segment_ptr 1
		.amdhsa_user_sgpr_dispatch_id 0
		.amdhsa_user_sgpr_kernarg_preload_length 0
		.amdhsa_user_sgpr_kernarg_preload_offset 0
		.amdhsa_user_sgpr_private_segment_size 0
		.amdhsa_wavefront_size32 1
		.amdhsa_uses_dynamic_stack 0
		.amdhsa_enable_private_segment 0
		.amdhsa_system_sgpr_workgroup_id_x 1
		.amdhsa_system_sgpr_workgroup_id_y 0
		.amdhsa_system_sgpr_workgroup_id_z 0
		.amdhsa_system_sgpr_workgroup_info 0
		.amdhsa_system_vgpr_workitem_id 0
		.amdhsa_next_free_vgpr 63
		.amdhsa_next_free_sgpr 14
		.amdhsa_named_barrier_count 0
		.amdhsa_reserve_vcc 1
		.amdhsa_float_round_mode_32 0
		.amdhsa_float_round_mode_16_64 0
		.amdhsa_float_denorm_mode_32 3
		.amdhsa_float_denorm_mode_16_64 3
		.amdhsa_fp16_overflow 0
		.amdhsa_memory_ordered 1
		.amdhsa_forward_progress 1
		.amdhsa_inst_pref_size 16
		.amdhsa_round_robin_scheduling 0
		.amdhsa_exception_fp_ieee_invalid_op 0
		.amdhsa_exception_fp_denorm_src 0
		.amdhsa_exception_fp_ieee_div_zero 0
		.amdhsa_exception_fp_ieee_overflow 0
		.amdhsa_exception_fp_ieee_underflow 0
		.amdhsa_exception_fp_ieee_inexact 0
		.amdhsa_exception_int_div_zero 0
	.end_amdhsa_kernel
	.section	.text._ZN9rocsparseL19gebsrmvn_2xn_kernelILj128ELj15ELj4E21rocsparse_complex_numIdEEEvi20rocsparse_direction_NS_24const_host_device_scalarIT2_EEPKiS8_PKS5_SA_S6_PS5_21rocsparse_index_base_b,"axG",@progbits,_ZN9rocsparseL19gebsrmvn_2xn_kernelILj128ELj15ELj4E21rocsparse_complex_numIdEEEvi20rocsparse_direction_NS_24const_host_device_scalarIT2_EEPKiS8_PKS5_SA_S6_PS5_21rocsparse_index_base_b,comdat
.Lfunc_end293:
	.size	_ZN9rocsparseL19gebsrmvn_2xn_kernelILj128ELj15ELj4E21rocsparse_complex_numIdEEEvi20rocsparse_direction_NS_24const_host_device_scalarIT2_EEPKiS8_PKS5_SA_S6_PS5_21rocsparse_index_base_b, .Lfunc_end293-_ZN9rocsparseL19gebsrmvn_2xn_kernelILj128ELj15ELj4E21rocsparse_complex_numIdEEEvi20rocsparse_direction_NS_24const_host_device_scalarIT2_EEPKiS8_PKS5_SA_S6_PS5_21rocsparse_index_base_b
                                        ; -- End function
	.set _ZN9rocsparseL19gebsrmvn_2xn_kernelILj128ELj15ELj4E21rocsparse_complex_numIdEEEvi20rocsparse_direction_NS_24const_host_device_scalarIT2_EEPKiS8_PKS5_SA_S6_PS5_21rocsparse_index_base_b.num_vgpr, 63
	.set _ZN9rocsparseL19gebsrmvn_2xn_kernelILj128ELj15ELj4E21rocsparse_complex_numIdEEEvi20rocsparse_direction_NS_24const_host_device_scalarIT2_EEPKiS8_PKS5_SA_S6_PS5_21rocsparse_index_base_b.num_agpr, 0
	.set _ZN9rocsparseL19gebsrmvn_2xn_kernelILj128ELj15ELj4E21rocsparse_complex_numIdEEEvi20rocsparse_direction_NS_24const_host_device_scalarIT2_EEPKiS8_PKS5_SA_S6_PS5_21rocsparse_index_base_b.numbered_sgpr, 14
	.set _ZN9rocsparseL19gebsrmvn_2xn_kernelILj128ELj15ELj4E21rocsparse_complex_numIdEEEvi20rocsparse_direction_NS_24const_host_device_scalarIT2_EEPKiS8_PKS5_SA_S6_PS5_21rocsparse_index_base_b.num_named_barrier, 0
	.set _ZN9rocsparseL19gebsrmvn_2xn_kernelILj128ELj15ELj4E21rocsparse_complex_numIdEEEvi20rocsparse_direction_NS_24const_host_device_scalarIT2_EEPKiS8_PKS5_SA_S6_PS5_21rocsparse_index_base_b.private_seg_size, 0
	.set _ZN9rocsparseL19gebsrmvn_2xn_kernelILj128ELj15ELj4E21rocsparse_complex_numIdEEEvi20rocsparse_direction_NS_24const_host_device_scalarIT2_EEPKiS8_PKS5_SA_S6_PS5_21rocsparse_index_base_b.uses_vcc, 1
	.set _ZN9rocsparseL19gebsrmvn_2xn_kernelILj128ELj15ELj4E21rocsparse_complex_numIdEEEvi20rocsparse_direction_NS_24const_host_device_scalarIT2_EEPKiS8_PKS5_SA_S6_PS5_21rocsparse_index_base_b.uses_flat_scratch, 0
	.set _ZN9rocsparseL19gebsrmvn_2xn_kernelILj128ELj15ELj4E21rocsparse_complex_numIdEEEvi20rocsparse_direction_NS_24const_host_device_scalarIT2_EEPKiS8_PKS5_SA_S6_PS5_21rocsparse_index_base_b.has_dyn_sized_stack, 0
	.set _ZN9rocsparseL19gebsrmvn_2xn_kernelILj128ELj15ELj4E21rocsparse_complex_numIdEEEvi20rocsparse_direction_NS_24const_host_device_scalarIT2_EEPKiS8_PKS5_SA_S6_PS5_21rocsparse_index_base_b.has_recursion, 0
	.set _ZN9rocsparseL19gebsrmvn_2xn_kernelILj128ELj15ELj4E21rocsparse_complex_numIdEEEvi20rocsparse_direction_NS_24const_host_device_scalarIT2_EEPKiS8_PKS5_SA_S6_PS5_21rocsparse_index_base_b.has_indirect_call, 0
	.section	.AMDGPU.csdata,"",@progbits
; Kernel info:
; codeLenInByte = 1932
; TotalNumSgprs: 16
; NumVgprs: 63
; ScratchSize: 0
; MemoryBound: 0
; FloatMode: 240
; IeeeMode: 1
; LDSByteSize: 0 bytes/workgroup (compile time only)
; SGPRBlocks: 0
; VGPRBlocks: 3
; NumSGPRsForWavesPerEU: 16
; NumVGPRsForWavesPerEU: 63
; NamedBarCnt: 0
; Occupancy: 16
; WaveLimiterHint : 1
; COMPUTE_PGM_RSRC2:SCRATCH_EN: 0
; COMPUTE_PGM_RSRC2:USER_SGPR: 2
; COMPUTE_PGM_RSRC2:TRAP_HANDLER: 0
; COMPUTE_PGM_RSRC2:TGID_X_EN: 1
; COMPUTE_PGM_RSRC2:TGID_Y_EN: 0
; COMPUTE_PGM_RSRC2:TGID_Z_EN: 0
; COMPUTE_PGM_RSRC2:TIDIG_COMP_CNT: 0
	.section	.text._ZN9rocsparseL19gebsrmvn_2xn_kernelILj128ELj15ELj8E21rocsparse_complex_numIdEEEvi20rocsparse_direction_NS_24const_host_device_scalarIT2_EEPKiS8_PKS5_SA_S6_PS5_21rocsparse_index_base_b,"axG",@progbits,_ZN9rocsparseL19gebsrmvn_2xn_kernelILj128ELj15ELj8E21rocsparse_complex_numIdEEEvi20rocsparse_direction_NS_24const_host_device_scalarIT2_EEPKiS8_PKS5_SA_S6_PS5_21rocsparse_index_base_b,comdat
	.globl	_ZN9rocsparseL19gebsrmvn_2xn_kernelILj128ELj15ELj8E21rocsparse_complex_numIdEEEvi20rocsparse_direction_NS_24const_host_device_scalarIT2_EEPKiS8_PKS5_SA_S6_PS5_21rocsparse_index_base_b ; -- Begin function _ZN9rocsparseL19gebsrmvn_2xn_kernelILj128ELj15ELj8E21rocsparse_complex_numIdEEEvi20rocsparse_direction_NS_24const_host_device_scalarIT2_EEPKiS8_PKS5_SA_S6_PS5_21rocsparse_index_base_b
	.p2align	8
	.type	_ZN9rocsparseL19gebsrmvn_2xn_kernelILj128ELj15ELj8E21rocsparse_complex_numIdEEEvi20rocsparse_direction_NS_24const_host_device_scalarIT2_EEPKiS8_PKS5_SA_S6_PS5_21rocsparse_index_base_b,@function
_ZN9rocsparseL19gebsrmvn_2xn_kernelILj128ELj15ELj8E21rocsparse_complex_numIdEEEvi20rocsparse_direction_NS_24const_host_device_scalarIT2_EEPKiS8_PKS5_SA_S6_PS5_21rocsparse_index_base_b: ; @_ZN9rocsparseL19gebsrmvn_2xn_kernelILj128ELj15ELj8E21rocsparse_complex_numIdEEEvi20rocsparse_direction_NS_24const_host_device_scalarIT2_EEPKiS8_PKS5_SA_S6_PS5_21rocsparse_index_base_b
; %bb.0:
	s_clause 0x1
	s_load_b64 s[12:13], s[0:1], 0x50
	s_load_b64 s[2:3], s[0:1], 0x8
	v_mov_b32_e32 v1, 0
	s_add_nc_u64 s[4:5], s[0:1], 8
	s_load_b64 s[6:7], s[0:1], 0x38
	s_wait_kmcnt 0x0
	s_bitcmp1_b32 s13, 0
	s_cselect_b32 s3, s5, s3
	s_cselect_b32 s2, s4, s2
	flat_load_b128 v[2:5], v1, s[2:3]
	s_wait_xcnt 0x0
	s_add_nc_u64 s[2:3], s[0:1], 56
	s_delay_alu instid0(SALU_CYCLE_1)
	s_cselect_b32 s3, s3, s7
	s_cselect_b32 s2, s2, s6
	flat_load_b128 v[6:9], v1, s[2:3]
	s_wait_loadcnt_dscnt 0x101
	v_cmp_eq_f64_e32 vcc_lo, 0, v[2:3]
	s_wait_xcnt 0x0
	v_cmp_eq_f64_e64 s2, 0, v[4:5]
	s_and_b32 s4, vcc_lo, s2
	s_mov_b32 s2, -1
	s_and_saveexec_b32 s3, s4
	s_cbranch_execz .LBB294_2
; %bb.1:
	s_wait_loadcnt_dscnt 0x0
	v_cmp_neq_f64_e32 vcc_lo, 1.0, v[6:7]
	v_cmp_neq_f64_e64 s2, 0, v[8:9]
	s_or_b32 s2, vcc_lo, s2
	s_delay_alu instid0(SALU_CYCLE_1)
	s_or_not1_b32 s2, s2, exec_lo
.LBB294_2:
	s_or_b32 exec_lo, exec_lo, s3
	s_and_saveexec_b32 s3, s2
	s_cbranch_execz .LBB294_25
; %bb.3:
	s_load_b64 s[2:3], s[0:1], 0x0
	s_bfe_u32 s4, ttmp6, 0x4000c
	s_and_b32 s5, ttmp6, 15
	s_add_co_i32 s4, s4, 1
	s_getreg_b32 s6, hwreg(HW_REG_IB_STS2, 6, 4)
	s_mul_i32 s4, ttmp9, s4
	v_lshrrev_b32_e32 v1, 3, v0
	s_add_co_i32 s5, s5, s4
	s_cmp_eq_u32 s6, 0
	s_cselect_b32 s4, ttmp9, s5
	s_delay_alu instid0(VALU_DEP_1) | instid1(SALU_CYCLE_1)
	v_lshl_or_b32 v10, s4, 4, v1
	s_wait_kmcnt 0x0
	s_delay_alu instid0(VALU_DEP_1)
	v_cmp_gt_i32_e32 vcc_lo, s2, v10
	s_and_b32 exec_lo, exec_lo, vcc_lo
	s_cbranch_execz .LBB294_25
; %bb.4:
	s_load_b256 s[4:11], s[0:1], 0x18
	v_ashrrev_i32_e32 v11, 31, v10
	s_cmp_lg_u32 s3, 0
	s_wait_kmcnt 0x0
	s_delay_alu instid0(VALU_DEP_1)
	v_lshl_add_u64 v[12:13], v[10:11], 2, s[4:5]
	v_and_b32_e32 v11, 7, v0
	global_load_b64 v[18:19], v[12:13], off
	s_wait_loadcnt 0x0
	v_subrev_nc_u32_e32 v0, s12, v18
	v_subrev_nc_u32_e32 v19, s12, v19
	s_delay_alu instid0(VALU_DEP_2) | instskip(NEXT) | instid1(VALU_DEP_1)
	v_add_nc_u32_e32 v20, v0, v11
	v_cmp_lt_i32_e64 s2, v20, v19
	s_cbranch_scc0 .LBB294_12
; %bb.5:
	v_mov_b64_e32 v[0:1], 0
	v_mov_b64_e32 v[14:15], 0
	;; [unrolled: 1-line block ×4, first 2 shown]
	s_and_saveexec_b32 s3, s2
	s_cbranch_execz .LBB294_11
; %bb.6:
	v_mul_lo_u32 v21, v20, 30
	v_mov_b64_e32 v[0:1], 0
	v_mov_b64_e32 v[14:15], 0
	;; [unrolled: 1-line block ×4, first 2 shown]
	v_mov_b32_e32 v22, v20
	s_mov_b32 s4, 0
.LBB294_7:                              ; =>This Loop Header: Depth=1
                                        ;     Child Loop BB294_8 Depth 2
	global_load_b32 v23, v22, s[6:7] scale_offset
	v_mov_b32_e32 v24, v21
	s_mov_b32 s5, 0
	s_wait_loadcnt 0x0
	v_subrev_nc_u32_e32 v23, s12, v23
	s_delay_alu instid0(VALU_DEP_1)
	v_mul_lo_u32 v23, v23, 15
.LBB294_8:                              ;   Parent Loop BB294_7 Depth=1
                                        ; =>  This Inner Loop Header: Depth=2
	s_delay_alu instid0(VALU_DEP_1)
	v_dual_add_nc_u32 v25, s5, v23 :: v_dual_add_nc_u32 v50, 2, v24
	s_add_co_i32 s5, s5, 3
	s_clause 0x1
	global_load_b128 v[26:29], v24, s[8:9] offset:16 scale_offset
	global_load_b128 v[30:33], v24, s[8:9] scale_offset
	global_load_b128 v[34:37], v25, s[10:11] scale_offset
	s_cmp_eq_u32 s5, 15
	v_dual_add_nc_u32 v51, 1, v25 :: v_dual_add_nc_u32 v62, 4, v24
	s_wait_xcnt 0x0
	v_dual_add_nc_u32 v25, 2, v25 :: v_dual_add_nc_u32 v24, 6, v24
	s_clause 0x1
	global_load_b128 v[38:41], v50, s[8:9] offset:16 scale_offset
	global_load_b128 v[42:45], v50, s[8:9] scale_offset
	global_load_b128 v[46:49], v51, s[10:11] scale_offset
	s_clause 0x1
	global_load_b128 v[50:53], v62, s[8:9] offset:16 scale_offset
	global_load_b128 v[54:57], v62, s[8:9] scale_offset
	global_load_b128 v[58:61], v25, s[10:11] scale_offset
	s_wait_loadcnt 0x6
	v_fmac_f64_e32 v[14:15], v[30:31], v[34:35]
	v_fmac_f64_e32 v[0:1], v[32:33], v[34:35]
	;; [unrolled: 1-line block ×4, first 2 shown]
	s_delay_alu instid0(VALU_DEP_4) | instskip(NEXT) | instid1(VALU_DEP_4)
	v_fma_f64 v[14:15], -v[32:33], v[36:37], v[14:15]
	v_fmac_f64_e32 v[0:1], v[30:31], v[36:37]
	s_delay_alu instid0(VALU_DEP_4) | instskip(NEXT) | instid1(VALU_DEP_4)
	v_fma_f64 v[16:17], -v[28:29], v[36:37], v[16:17]
	v_fmac_f64_e32 v[12:13], v[26:27], v[36:37]
	s_wait_loadcnt 0x3
	s_delay_alu instid0(VALU_DEP_4) | instskip(NEXT) | instid1(VALU_DEP_4)
	v_fmac_f64_e32 v[14:15], v[42:43], v[46:47]
	v_fmac_f64_e32 v[0:1], v[44:45], v[46:47]
	s_delay_alu instid0(VALU_DEP_4) | instskip(NEXT) | instid1(VALU_DEP_4)
	v_fmac_f64_e32 v[16:17], v[38:39], v[46:47]
	v_fmac_f64_e32 v[12:13], v[40:41], v[46:47]
	s_delay_alu instid0(VALU_DEP_4) | instskip(NEXT) | instid1(VALU_DEP_4)
	v_fma_f64 v[14:15], -v[44:45], v[48:49], v[14:15]
	v_fmac_f64_e32 v[0:1], v[42:43], v[48:49]
	s_delay_alu instid0(VALU_DEP_4) | instskip(NEXT) | instid1(VALU_DEP_4)
	v_fma_f64 v[16:17], -v[40:41], v[48:49], v[16:17]
	v_fmac_f64_e32 v[12:13], v[38:39], v[48:49]
	s_wait_loadcnt 0x0
	s_delay_alu instid0(VALU_DEP_4) | instskip(NEXT) | instid1(VALU_DEP_4)
	v_fmac_f64_e32 v[14:15], v[54:55], v[58:59]
	v_fmac_f64_e32 v[0:1], v[56:57], v[58:59]
	s_delay_alu instid0(VALU_DEP_4) | instskip(NEXT) | instid1(VALU_DEP_4)
	v_fmac_f64_e32 v[16:17], v[50:51], v[58:59]
	v_fmac_f64_e32 v[12:13], v[52:53], v[58:59]
	s_delay_alu instid0(VALU_DEP_4) | instskip(NEXT) | instid1(VALU_DEP_4)
	v_fma_f64 v[14:15], -v[56:57], v[60:61], v[14:15]
	v_fmac_f64_e32 v[0:1], v[54:55], v[60:61]
	s_delay_alu instid0(VALU_DEP_4) | instskip(NEXT) | instid1(VALU_DEP_4)
	v_fma_f64 v[16:17], -v[52:53], v[60:61], v[16:17]
	v_fmac_f64_e32 v[12:13], v[50:51], v[60:61]
	s_cbranch_scc0 .LBB294_8
; %bb.9:                                ;   in Loop: Header=BB294_7 Depth=1
	v_add_nc_u32_e32 v22, 8, v22
	v_add_nc_u32_e32 v21, 0xf0, v21
	s_delay_alu instid0(VALU_DEP_2) | instskip(SKIP_1) | instid1(SALU_CYCLE_1)
	v_cmp_ge_i32_e32 vcc_lo, v22, v19
	s_or_b32 s4, vcc_lo, s4
	s_and_not1_b32 exec_lo, exec_lo, s4
	s_cbranch_execnz .LBB294_7
; %bb.10:
	s_or_b32 exec_lo, exec_lo, s4
.LBB294_11:
	s_delay_alu instid0(SALU_CYCLE_1)
	s_or_b32 exec_lo, exec_lo, s3
	s_cbranch_execz .LBB294_13
	s_branch .LBB294_20
.LBB294_12:
                                        ; implicit-def: $vgpr0_vgpr1
                                        ; implicit-def: $vgpr14_vgpr15
                                        ; implicit-def: $vgpr16_vgpr17
                                        ; implicit-def: $vgpr12_vgpr13
.LBB294_13:
	v_mov_b64_e32 v[0:1], 0
	v_mov_b64_e32 v[14:15], 0
	;; [unrolled: 1-line block ×4, first 2 shown]
	s_and_saveexec_b32 s3, s2
	s_cbranch_execz .LBB294_19
; %bb.14:
	v_mul_u32_u24_e32 v0, 30, v11
	s_mul_i32 s2, s12, 30
	v_mov_b64_e32 v[14:15], 0
	v_mov_b64_e32 v[16:17], 0
	;; [unrolled: 1-line block ×3, first 2 shown]
	v_mad_u32 v21, v18, 30, v0
	v_mul_lo_u32 v18, v20, 30
	v_mov_b64_e32 v[0:1], 0
	s_delay_alu instid0(VALU_DEP_3)
	v_subrev_nc_u32_e32 v21, s2, v21
	s_mov_b32 s2, 0
.LBB294_15:                             ; =>This Loop Header: Depth=1
                                        ;     Child Loop BB294_16 Depth 2
	global_load_b32 v22, v20, s[6:7] scale_offset
	s_mov_b32 s4, 0
	s_wait_loadcnt 0x0
	v_subrev_nc_u32_e32 v22, s12, v22
	s_delay_alu instid0(VALU_DEP_1)
	v_mul_lo_u32 v22, v22, 15
.LBB294_16:                             ;   Parent Loop BB294_15 Depth=1
                                        ; =>  This Inner Loop Header: Depth=2
	v_dual_add_nc_u32 v23, s4, v18 :: v_dual_add_nc_u32 v36, s4, v21
	s_delay_alu instid0(VALU_DEP_2) | instskip(SKIP_1) | instid1(SALU_CYCLE_1)
	v_add_nc_u32_e32 v48, s4, v22
	s_add_co_i32 s4, s4, 3
	s_cmp_eq_u32 s4, 15
	s_delay_alu instid0(VALU_DEP_2) | instskip(NEXT) | instid1(VALU_DEP_2)
	v_dual_add_nc_u32 v37, 15, v23 :: v_dual_add_nc_u32 v49, 1, v23
	v_add_nc_u32_e32 v50, 1, v48
	global_load_b128 v[24:27], v36, s[8:9] scale_offset
	global_load_b128 v[28:31], v48, s[10:11] scale_offset
	;; [unrolled: 1-line block ×3, first 2 shown]
	v_dual_add_nc_u32 v51, 16, v23 :: v_dual_add_nc_u32 v60, 2, v23
	global_load_b128 v[36:39], v49, s[8:9] scale_offset
	global_load_b128 v[40:43], v50, s[10:11] scale_offset
	;; [unrolled: 1-line block ×3, first 2 shown]
	v_dual_add_nc_u32 v61, 2, v48 :: v_dual_add_nc_u32 v23, 17, v23
	global_load_b128 v[48:51], v60, s[8:9] scale_offset
	global_load_b128 v[52:55], v61, s[10:11] scale_offset
	;; [unrolled: 1-line block ×3, first 2 shown]
	s_wait_loadcnt 0x7
	v_fmac_f64_e32 v[14:15], v[24:25], v[28:29]
	v_fmac_f64_e32 v[0:1], v[26:27], v[28:29]
	s_wait_loadcnt 0x6
	v_fmac_f64_e32 v[16:17], v[32:33], v[28:29]
	v_fmac_f64_e32 v[12:13], v[34:35], v[28:29]
	s_delay_alu instid0(VALU_DEP_4) | instskip(NEXT) | instid1(VALU_DEP_4)
	v_fma_f64 v[14:15], -v[26:27], v[30:31], v[14:15]
	v_fmac_f64_e32 v[0:1], v[24:25], v[30:31]
	s_delay_alu instid0(VALU_DEP_4) | instskip(NEXT) | instid1(VALU_DEP_4)
	v_fma_f64 v[16:17], -v[34:35], v[30:31], v[16:17]
	v_fmac_f64_e32 v[12:13], v[32:33], v[30:31]
	s_wait_loadcnt 0x4
	s_delay_alu instid0(VALU_DEP_4) | instskip(NEXT) | instid1(VALU_DEP_4)
	v_fmac_f64_e32 v[14:15], v[36:37], v[40:41]
	v_fmac_f64_e32 v[0:1], v[38:39], v[40:41]
	s_wait_loadcnt 0x3
	s_delay_alu instid0(VALU_DEP_4) | instskip(NEXT) | instid1(VALU_DEP_4)
	v_fmac_f64_e32 v[16:17], v[44:45], v[40:41]
	v_fmac_f64_e32 v[12:13], v[46:47], v[40:41]
	s_delay_alu instid0(VALU_DEP_4) | instskip(NEXT) | instid1(VALU_DEP_4)
	v_fma_f64 v[14:15], -v[38:39], v[42:43], v[14:15]
	v_fmac_f64_e32 v[0:1], v[36:37], v[42:43]
	s_delay_alu instid0(VALU_DEP_4) | instskip(NEXT) | instid1(VALU_DEP_4)
	v_fma_f64 v[16:17], -v[46:47], v[42:43], v[16:17]
	v_fmac_f64_e32 v[12:13], v[44:45], v[42:43]
	s_wait_loadcnt 0x1
	s_delay_alu instid0(VALU_DEP_4) | instskip(NEXT) | instid1(VALU_DEP_4)
	v_fmac_f64_e32 v[14:15], v[48:49], v[52:53]
	v_fmac_f64_e32 v[0:1], v[50:51], v[52:53]
	s_wait_loadcnt 0x0
	s_delay_alu instid0(VALU_DEP_4) | instskip(NEXT) | instid1(VALU_DEP_4)
	v_fmac_f64_e32 v[16:17], v[56:57], v[52:53]
	v_fmac_f64_e32 v[12:13], v[58:59], v[52:53]
	s_delay_alu instid0(VALU_DEP_4) | instskip(NEXT) | instid1(VALU_DEP_4)
	v_fma_f64 v[14:15], -v[50:51], v[54:55], v[14:15]
	v_fmac_f64_e32 v[0:1], v[48:49], v[54:55]
	s_delay_alu instid0(VALU_DEP_4) | instskip(NEXT) | instid1(VALU_DEP_4)
	v_fma_f64 v[16:17], -v[58:59], v[54:55], v[16:17]
	v_fmac_f64_e32 v[12:13], v[56:57], v[54:55]
	s_cbranch_scc0 .LBB294_16
; %bb.17:                               ;   in Loop: Header=BB294_15 Depth=1
	v_add_nc_u32_e32 v20, 8, v20
	v_add_nc_u32_e32 v18, 0xf0, v18
	;; [unrolled: 1-line block ×3, first 2 shown]
	s_delay_alu instid0(VALU_DEP_3) | instskip(SKIP_1) | instid1(SALU_CYCLE_1)
	v_cmp_ge_i32_e32 vcc_lo, v20, v19
	s_or_b32 s2, vcc_lo, s2
	s_and_not1_b32 exec_lo, exec_lo, s2
	s_cbranch_execnz .LBB294_15
; %bb.18:
	s_or_b32 exec_lo, exec_lo, s2
.LBB294_19:
	s_delay_alu instid0(SALU_CYCLE_1)
	s_or_b32 exec_lo, exec_lo, s3
.LBB294_20:
	v_mbcnt_lo_u32_b32 v28, -1, 0
	s_delay_alu instid0(VALU_DEP_1) | instskip(NEXT) | instid1(VALU_DEP_1)
	v_xor_b32_e32 v18, 4, v28
	v_cmp_gt_i32_e32 vcc_lo, 32, v18
	v_cndmask_b32_e32 v18, v28, v18, vcc_lo
	s_delay_alu instid0(VALU_DEP_1)
	v_lshlrev_b32_e32 v25, 2, v18
	ds_bpermute_b32 v18, v25, v14
	ds_bpermute_b32 v19, v25, v15
	;; [unrolled: 1-line block ×4, first 2 shown]
	s_wait_dscnt 0x2
	v_add_f64_e32 v[14:15], v[14:15], v[18:19]
	s_wait_dscnt 0x0
	v_add_f64_e32 v[18:19], v[0:1], v[20:21]
	ds_bpermute_b32 v22, v25, v16
	ds_bpermute_b32 v23, v25, v17
	;; [unrolled: 1-line block ×4, first 2 shown]
	v_xor_b32_e32 v0, 2, v28
	s_delay_alu instid0(VALU_DEP_1)
	v_cmp_gt_i32_e32 vcc_lo, 32, v0
	v_cndmask_b32_e32 v0, v28, v0, vcc_lo
	s_wait_dscnt 0x2
	v_add_f64_e32 v[20:21], v[16:17], v[22:23]
	s_wait_dscnt 0x0
	v_add_f64_e32 v[22:23], v[12:13], v[24:25]
	v_lshlrev_b32_e32 v16, 2, v0
	ds_bpermute_b32 v0, v16, v14
	ds_bpermute_b32 v1, v16, v15
	;; [unrolled: 1-line block ×8, first 2 shown]
	s_wait_dscnt 0x4
	v_add_f64_e32 v[16:17], v[18:19], v[12:13]
	v_xor_b32_e32 v18, 1, v28
	s_delay_alu instid0(VALU_DEP_1) | instskip(SKIP_3) | instid1(VALU_DEP_2)
	v_cmp_gt_i32_e32 vcc_lo, 32, v18
	v_dual_add_f64 v[0:1], v[14:15], v[0:1] :: v_dual_cndmask_b32 v18, v28, v18, vcc_lo
	v_cmp_eq_u32_e32 vcc_lo, 7, v11
	s_wait_dscnt 0x2
	v_dual_add_f64 v[12:13], v[20:21], v[24:25] :: v_dual_lshlrev_b32 v21, 2, v18
	s_wait_dscnt 0x0
	v_add_f64_e32 v[14:15], v[22:23], v[26:27]
	ds_bpermute_b32 v22, v21, v16
	ds_bpermute_b32 v23, v21, v17
	ds_bpermute_b32 v24, v21, v0
	ds_bpermute_b32 v25, v21, v1
	ds_bpermute_b32 v18, v21, v12
	ds_bpermute_b32 v19, v21, v13
	ds_bpermute_b32 v20, v21, v14
	ds_bpermute_b32 v21, v21, v15
	s_and_b32 exec_lo, exec_lo, vcc_lo
	s_cbranch_execz .LBB294_25
; %bb.21:
	v_cmp_eq_f64_e32 vcc_lo, 0, v[6:7]
	v_cmp_eq_f64_e64 s2, 0, v[8:9]
	s_wait_dscnt 0x4
	v_add_f64_e32 v[0:1], v[0:1], v[24:25]
	v_add_f64_e32 v[16:17], v[16:17], v[22:23]
	s_wait_dscnt 0x2
	v_add_f64_e32 v[12:13], v[12:13], v[18:19]
	s_wait_dscnt 0x0
	v_add_f64_e32 v[14:15], v[14:15], v[20:21]
	s_load_b64 s[0:1], s[0:1], 0x48
	s_and_b32 s2, vcc_lo, s2
	s_delay_alu instid0(SALU_CYCLE_1) | instskip(NEXT) | instid1(SALU_CYCLE_1)
	s_and_saveexec_b32 s3, s2
	s_xor_b32 s2, exec_lo, s3
	s_cbranch_execz .LBB294_23
; %bb.22:
	s_delay_alu instid0(VALU_DEP_3) | instskip(SKIP_1) | instid1(VALU_DEP_3)
	v_mul_f64_e64 v[6:7], v[16:17], -v[4:5]
	v_mul_f64_e32 v[8:9], v[2:3], v[16:17]
	v_mul_f64_e64 v[16:17], v[14:15], -v[4:5]
	v_mul_f64_e32 v[18:19], v[2:3], v[14:15]
                                        ; implicit-def: $vgpr14_vgpr15
	s_delay_alu instid0(VALU_DEP_4) | instskip(NEXT) | instid1(VALU_DEP_4)
	v_fmac_f64_e32 v[6:7], v[2:3], v[0:1]
	v_fmac_f64_e32 v[8:9], v[4:5], v[0:1]
	s_delay_alu instid0(VALU_DEP_4) | instskip(NEXT) | instid1(VALU_DEP_4)
	v_fmac_f64_e32 v[16:17], v[2:3], v[12:13]
	v_fmac_f64_e32 v[18:19], v[4:5], v[12:13]
	v_lshlrev_b32_e32 v0, 1, v10
                                        ; implicit-def: $vgpr10
                                        ; implicit-def: $vgpr12_vgpr13
                                        ; implicit-def: $vgpr4_vgpr5
	s_wait_kmcnt 0x0
	s_clause 0x1
	global_store_b128 v0, v[6:9], s[0:1] scale_offset
	global_store_b128 v0, v[16:19], s[0:1] offset:16 scale_offset
                                        ; implicit-def: $vgpr0_vgpr1
                                        ; implicit-def: $vgpr16_vgpr17
                                        ; implicit-def: $vgpr8_vgpr9
.LBB294_23:
	s_wait_xcnt 0x0
	s_and_not1_saveexec_b32 s2, s2
	s_cbranch_execz .LBB294_25
; %bb.24:
	s_delay_alu instid0(VALU_DEP_3) | instskip(SKIP_1) | instid1(VALU_DEP_3)
	v_dual_mul_f64 v[26:27], v[16:17], -v[4:5] :: v_dual_lshlrev_b32 v30, 1, v10
	v_mul_f64_e32 v[16:17], v[2:3], v[16:17]
	v_mul_f64_e64 v[28:29], v[14:15], -v[4:5]
	v_mul_f64_e32 v[10:11], v[2:3], v[14:15]
	s_wait_kmcnt 0x0
	s_clause 0x1
	global_load_b128 v[18:21], v30, s[0:1] scale_offset
	global_load_b128 v[22:25], v30, s[0:1] offset:16 scale_offset
	v_fmac_f64_e32 v[26:27], v[2:3], v[0:1]
	v_fmac_f64_e32 v[16:17], v[4:5], v[0:1]
	;; [unrolled: 1-line block ×4, first 2 shown]
	s_wait_loadcnt 0x1
	s_delay_alu instid0(VALU_DEP_4) | instskip(NEXT) | instid1(VALU_DEP_4)
	v_fmac_f64_e32 v[26:27], v[6:7], v[18:19]
	v_fmac_f64_e32 v[16:17], v[8:9], v[18:19]
	s_wait_loadcnt 0x0
	s_delay_alu instid0(VALU_DEP_4) | instskip(NEXT) | instid1(VALU_DEP_4)
	v_fmac_f64_e32 v[28:29], v[6:7], v[22:23]
	v_fmac_f64_e32 v[10:11], v[8:9], v[22:23]
	s_delay_alu instid0(VALU_DEP_4) | instskip(NEXT) | instid1(VALU_DEP_4)
	v_fma_f64 v[14:15], -v[8:9], v[20:21], v[26:27]
	v_fmac_f64_e32 v[16:17], v[6:7], v[20:21]
	s_delay_alu instid0(VALU_DEP_4) | instskip(NEXT) | instid1(VALU_DEP_4)
	v_fma_f64 v[8:9], -v[8:9], v[24:25], v[28:29]
	v_fmac_f64_e32 v[10:11], v[6:7], v[24:25]
	s_clause 0x1
	global_store_b128 v30, v[14:17], s[0:1] scale_offset
	global_store_b128 v30, v[8:11], s[0:1] offset:16 scale_offset
.LBB294_25:
	s_endpgm
	.section	.rodata,"a",@progbits
	.p2align	6, 0x0
	.amdhsa_kernel _ZN9rocsparseL19gebsrmvn_2xn_kernelILj128ELj15ELj8E21rocsparse_complex_numIdEEEvi20rocsparse_direction_NS_24const_host_device_scalarIT2_EEPKiS8_PKS5_SA_S6_PS5_21rocsparse_index_base_b
		.amdhsa_group_segment_fixed_size 0
		.amdhsa_private_segment_fixed_size 0
		.amdhsa_kernarg_size 88
		.amdhsa_user_sgpr_count 2
		.amdhsa_user_sgpr_dispatch_ptr 0
		.amdhsa_user_sgpr_queue_ptr 0
		.amdhsa_user_sgpr_kernarg_segment_ptr 1
		.amdhsa_user_sgpr_dispatch_id 0
		.amdhsa_user_sgpr_kernarg_preload_length 0
		.amdhsa_user_sgpr_kernarg_preload_offset 0
		.amdhsa_user_sgpr_private_segment_size 0
		.amdhsa_wavefront_size32 1
		.amdhsa_uses_dynamic_stack 0
		.amdhsa_enable_private_segment 0
		.amdhsa_system_sgpr_workgroup_id_x 1
		.amdhsa_system_sgpr_workgroup_id_y 0
		.amdhsa_system_sgpr_workgroup_id_z 0
		.amdhsa_system_sgpr_workgroup_info 0
		.amdhsa_system_vgpr_workitem_id 0
		.amdhsa_next_free_vgpr 63
		.amdhsa_next_free_sgpr 14
		.amdhsa_named_barrier_count 0
		.amdhsa_reserve_vcc 1
		.amdhsa_float_round_mode_32 0
		.amdhsa_float_round_mode_16_64 0
		.amdhsa_float_denorm_mode_32 3
		.amdhsa_float_denorm_mode_16_64 3
		.amdhsa_fp16_overflow 0
		.amdhsa_memory_ordered 1
		.amdhsa_forward_progress 1
		.amdhsa_inst_pref_size 16
		.amdhsa_round_robin_scheduling 0
		.amdhsa_exception_fp_ieee_invalid_op 0
		.amdhsa_exception_fp_denorm_src 0
		.amdhsa_exception_fp_ieee_div_zero 0
		.amdhsa_exception_fp_ieee_overflow 0
		.amdhsa_exception_fp_ieee_underflow 0
		.amdhsa_exception_fp_ieee_inexact 0
		.amdhsa_exception_int_div_zero 0
	.end_amdhsa_kernel
	.section	.text._ZN9rocsparseL19gebsrmvn_2xn_kernelILj128ELj15ELj8E21rocsparse_complex_numIdEEEvi20rocsparse_direction_NS_24const_host_device_scalarIT2_EEPKiS8_PKS5_SA_S6_PS5_21rocsparse_index_base_b,"axG",@progbits,_ZN9rocsparseL19gebsrmvn_2xn_kernelILj128ELj15ELj8E21rocsparse_complex_numIdEEEvi20rocsparse_direction_NS_24const_host_device_scalarIT2_EEPKiS8_PKS5_SA_S6_PS5_21rocsparse_index_base_b,comdat
.Lfunc_end294:
	.size	_ZN9rocsparseL19gebsrmvn_2xn_kernelILj128ELj15ELj8E21rocsparse_complex_numIdEEEvi20rocsparse_direction_NS_24const_host_device_scalarIT2_EEPKiS8_PKS5_SA_S6_PS5_21rocsparse_index_base_b, .Lfunc_end294-_ZN9rocsparseL19gebsrmvn_2xn_kernelILj128ELj15ELj8E21rocsparse_complex_numIdEEEvi20rocsparse_direction_NS_24const_host_device_scalarIT2_EEPKiS8_PKS5_SA_S6_PS5_21rocsparse_index_base_b
                                        ; -- End function
	.set _ZN9rocsparseL19gebsrmvn_2xn_kernelILj128ELj15ELj8E21rocsparse_complex_numIdEEEvi20rocsparse_direction_NS_24const_host_device_scalarIT2_EEPKiS8_PKS5_SA_S6_PS5_21rocsparse_index_base_b.num_vgpr, 63
	.set _ZN9rocsparseL19gebsrmvn_2xn_kernelILj128ELj15ELj8E21rocsparse_complex_numIdEEEvi20rocsparse_direction_NS_24const_host_device_scalarIT2_EEPKiS8_PKS5_SA_S6_PS5_21rocsparse_index_base_b.num_agpr, 0
	.set _ZN9rocsparseL19gebsrmvn_2xn_kernelILj128ELj15ELj8E21rocsparse_complex_numIdEEEvi20rocsparse_direction_NS_24const_host_device_scalarIT2_EEPKiS8_PKS5_SA_S6_PS5_21rocsparse_index_base_b.numbered_sgpr, 14
	.set _ZN9rocsparseL19gebsrmvn_2xn_kernelILj128ELj15ELj8E21rocsparse_complex_numIdEEEvi20rocsparse_direction_NS_24const_host_device_scalarIT2_EEPKiS8_PKS5_SA_S6_PS5_21rocsparse_index_base_b.num_named_barrier, 0
	.set _ZN9rocsparseL19gebsrmvn_2xn_kernelILj128ELj15ELj8E21rocsparse_complex_numIdEEEvi20rocsparse_direction_NS_24const_host_device_scalarIT2_EEPKiS8_PKS5_SA_S6_PS5_21rocsparse_index_base_b.private_seg_size, 0
	.set _ZN9rocsparseL19gebsrmvn_2xn_kernelILj128ELj15ELj8E21rocsparse_complex_numIdEEEvi20rocsparse_direction_NS_24const_host_device_scalarIT2_EEPKiS8_PKS5_SA_S6_PS5_21rocsparse_index_base_b.uses_vcc, 1
	.set _ZN9rocsparseL19gebsrmvn_2xn_kernelILj128ELj15ELj8E21rocsparse_complex_numIdEEEvi20rocsparse_direction_NS_24const_host_device_scalarIT2_EEPKiS8_PKS5_SA_S6_PS5_21rocsparse_index_base_b.uses_flat_scratch, 0
	.set _ZN9rocsparseL19gebsrmvn_2xn_kernelILj128ELj15ELj8E21rocsparse_complex_numIdEEEvi20rocsparse_direction_NS_24const_host_device_scalarIT2_EEPKiS8_PKS5_SA_S6_PS5_21rocsparse_index_base_b.has_dyn_sized_stack, 0
	.set _ZN9rocsparseL19gebsrmvn_2xn_kernelILj128ELj15ELj8E21rocsparse_complex_numIdEEEvi20rocsparse_direction_NS_24const_host_device_scalarIT2_EEPKiS8_PKS5_SA_S6_PS5_21rocsparse_index_base_b.has_recursion, 0
	.set _ZN9rocsparseL19gebsrmvn_2xn_kernelILj128ELj15ELj8E21rocsparse_complex_numIdEEEvi20rocsparse_direction_NS_24const_host_device_scalarIT2_EEPKiS8_PKS5_SA_S6_PS5_21rocsparse_index_base_b.has_indirect_call, 0
	.section	.AMDGPU.csdata,"",@progbits
; Kernel info:
; codeLenInByte = 2048
; TotalNumSgprs: 16
; NumVgprs: 63
; ScratchSize: 0
; MemoryBound: 0
; FloatMode: 240
; IeeeMode: 1
; LDSByteSize: 0 bytes/workgroup (compile time only)
; SGPRBlocks: 0
; VGPRBlocks: 3
; NumSGPRsForWavesPerEU: 16
; NumVGPRsForWavesPerEU: 63
; NamedBarCnt: 0
; Occupancy: 16
; WaveLimiterHint : 1
; COMPUTE_PGM_RSRC2:SCRATCH_EN: 0
; COMPUTE_PGM_RSRC2:USER_SGPR: 2
; COMPUTE_PGM_RSRC2:TRAP_HANDLER: 0
; COMPUTE_PGM_RSRC2:TGID_X_EN: 1
; COMPUTE_PGM_RSRC2:TGID_Y_EN: 0
; COMPUTE_PGM_RSRC2:TGID_Z_EN: 0
; COMPUTE_PGM_RSRC2:TIDIG_COMP_CNT: 0
	.section	.text._ZN9rocsparseL19gebsrmvn_2xn_kernelILj128ELj15ELj16E21rocsparse_complex_numIdEEEvi20rocsparse_direction_NS_24const_host_device_scalarIT2_EEPKiS8_PKS5_SA_S6_PS5_21rocsparse_index_base_b,"axG",@progbits,_ZN9rocsparseL19gebsrmvn_2xn_kernelILj128ELj15ELj16E21rocsparse_complex_numIdEEEvi20rocsparse_direction_NS_24const_host_device_scalarIT2_EEPKiS8_PKS5_SA_S6_PS5_21rocsparse_index_base_b,comdat
	.globl	_ZN9rocsparseL19gebsrmvn_2xn_kernelILj128ELj15ELj16E21rocsparse_complex_numIdEEEvi20rocsparse_direction_NS_24const_host_device_scalarIT2_EEPKiS8_PKS5_SA_S6_PS5_21rocsparse_index_base_b ; -- Begin function _ZN9rocsparseL19gebsrmvn_2xn_kernelILj128ELj15ELj16E21rocsparse_complex_numIdEEEvi20rocsparse_direction_NS_24const_host_device_scalarIT2_EEPKiS8_PKS5_SA_S6_PS5_21rocsparse_index_base_b
	.p2align	8
	.type	_ZN9rocsparseL19gebsrmvn_2xn_kernelILj128ELj15ELj16E21rocsparse_complex_numIdEEEvi20rocsparse_direction_NS_24const_host_device_scalarIT2_EEPKiS8_PKS5_SA_S6_PS5_21rocsparse_index_base_b,@function
_ZN9rocsparseL19gebsrmvn_2xn_kernelILj128ELj15ELj16E21rocsparse_complex_numIdEEEvi20rocsparse_direction_NS_24const_host_device_scalarIT2_EEPKiS8_PKS5_SA_S6_PS5_21rocsparse_index_base_b: ; @_ZN9rocsparseL19gebsrmvn_2xn_kernelILj128ELj15ELj16E21rocsparse_complex_numIdEEEvi20rocsparse_direction_NS_24const_host_device_scalarIT2_EEPKiS8_PKS5_SA_S6_PS5_21rocsparse_index_base_b
; %bb.0:
	s_clause 0x1
	s_load_b64 s[12:13], s[0:1], 0x50
	s_load_b64 s[2:3], s[0:1], 0x8
	v_mov_b32_e32 v1, 0
	s_add_nc_u64 s[4:5], s[0:1], 8
	s_load_b64 s[6:7], s[0:1], 0x38
	s_wait_kmcnt 0x0
	s_bitcmp1_b32 s13, 0
	s_cselect_b32 s3, s5, s3
	s_cselect_b32 s2, s4, s2
	flat_load_b128 v[2:5], v1, s[2:3]
	s_wait_xcnt 0x0
	s_add_nc_u64 s[2:3], s[0:1], 56
	s_delay_alu instid0(SALU_CYCLE_1)
	s_cselect_b32 s3, s3, s7
	s_cselect_b32 s2, s2, s6
	flat_load_b128 v[6:9], v1, s[2:3]
	s_wait_loadcnt_dscnt 0x101
	v_cmp_eq_f64_e32 vcc_lo, 0, v[2:3]
	s_wait_xcnt 0x0
	v_cmp_eq_f64_e64 s2, 0, v[4:5]
	s_and_b32 s4, vcc_lo, s2
	s_mov_b32 s2, -1
	s_and_saveexec_b32 s3, s4
	s_cbranch_execz .LBB295_2
; %bb.1:
	s_wait_loadcnt_dscnt 0x0
	v_cmp_neq_f64_e32 vcc_lo, 1.0, v[6:7]
	v_cmp_neq_f64_e64 s2, 0, v[8:9]
	s_or_b32 s2, vcc_lo, s2
	s_delay_alu instid0(SALU_CYCLE_1)
	s_or_not1_b32 s2, s2, exec_lo
.LBB295_2:
	s_or_b32 exec_lo, exec_lo, s3
	s_and_saveexec_b32 s3, s2
	s_cbranch_execz .LBB295_25
; %bb.3:
	s_load_b64 s[2:3], s[0:1], 0x0
	s_bfe_u32 s4, ttmp6, 0x4000c
	s_and_b32 s5, ttmp6, 15
	s_add_co_i32 s4, s4, 1
	s_getreg_b32 s6, hwreg(HW_REG_IB_STS2, 6, 4)
	s_mul_i32 s4, ttmp9, s4
	v_lshrrev_b32_e32 v1, 4, v0
	s_add_co_i32 s5, s5, s4
	s_cmp_eq_u32 s6, 0
	s_cselect_b32 s4, ttmp9, s5
	s_delay_alu instid0(VALU_DEP_1) | instid1(SALU_CYCLE_1)
	v_lshl_or_b32 v10, s4, 3, v1
	s_wait_kmcnt 0x0
	s_delay_alu instid0(VALU_DEP_1)
	v_cmp_gt_i32_e32 vcc_lo, s2, v10
	s_and_b32 exec_lo, exec_lo, vcc_lo
	s_cbranch_execz .LBB295_25
; %bb.4:
	s_load_b256 s[4:11], s[0:1], 0x18
	v_ashrrev_i32_e32 v11, 31, v10
	s_cmp_lg_u32 s3, 0
	s_wait_kmcnt 0x0
	s_delay_alu instid0(VALU_DEP_1)
	v_lshl_add_u64 v[12:13], v[10:11], 2, s[4:5]
	v_and_b32_e32 v11, 15, v0
	global_load_b64 v[18:19], v[12:13], off
	s_wait_loadcnt 0x0
	v_subrev_nc_u32_e32 v0, s12, v18
	v_subrev_nc_u32_e32 v19, s12, v19
	s_delay_alu instid0(VALU_DEP_2) | instskip(NEXT) | instid1(VALU_DEP_1)
	v_add_nc_u32_e32 v20, v0, v11
	v_cmp_lt_i32_e64 s2, v20, v19
	s_cbranch_scc0 .LBB295_12
; %bb.5:
	v_mov_b64_e32 v[0:1], 0
	v_mov_b64_e32 v[14:15], 0
	;; [unrolled: 1-line block ×4, first 2 shown]
	s_and_saveexec_b32 s3, s2
	s_cbranch_execz .LBB295_11
; %bb.6:
	v_mul_lo_u32 v21, v20, 30
	v_mov_b64_e32 v[0:1], 0
	v_mov_b64_e32 v[14:15], 0
	;; [unrolled: 1-line block ×4, first 2 shown]
	v_mov_b32_e32 v22, v20
	s_mov_b32 s4, 0
.LBB295_7:                              ; =>This Loop Header: Depth=1
                                        ;     Child Loop BB295_8 Depth 2
	global_load_b32 v23, v22, s[6:7] scale_offset
	v_mov_b32_e32 v24, v21
	s_mov_b32 s5, 0
	s_wait_loadcnt 0x0
	v_subrev_nc_u32_e32 v23, s12, v23
	s_delay_alu instid0(VALU_DEP_1)
	v_mul_lo_u32 v23, v23, 15
.LBB295_8:                              ;   Parent Loop BB295_7 Depth=1
                                        ; =>  This Inner Loop Header: Depth=2
	s_delay_alu instid0(VALU_DEP_1)
	v_dual_add_nc_u32 v25, s5, v23 :: v_dual_add_nc_u32 v50, 2, v24
	s_add_co_i32 s5, s5, 3
	s_clause 0x1
	global_load_b128 v[26:29], v24, s[8:9] offset:16 scale_offset
	global_load_b128 v[30:33], v24, s[8:9] scale_offset
	global_load_b128 v[34:37], v25, s[10:11] scale_offset
	s_cmp_eq_u32 s5, 15
	v_dual_add_nc_u32 v51, 1, v25 :: v_dual_add_nc_u32 v62, 4, v24
	s_wait_xcnt 0x0
	v_dual_add_nc_u32 v25, 2, v25 :: v_dual_add_nc_u32 v24, 6, v24
	s_clause 0x1
	global_load_b128 v[38:41], v50, s[8:9] offset:16 scale_offset
	global_load_b128 v[42:45], v50, s[8:9] scale_offset
	global_load_b128 v[46:49], v51, s[10:11] scale_offset
	s_clause 0x1
	global_load_b128 v[50:53], v62, s[8:9] offset:16 scale_offset
	global_load_b128 v[54:57], v62, s[8:9] scale_offset
	global_load_b128 v[58:61], v25, s[10:11] scale_offset
	s_wait_loadcnt 0x6
	v_fmac_f64_e32 v[14:15], v[30:31], v[34:35]
	v_fmac_f64_e32 v[0:1], v[32:33], v[34:35]
	;; [unrolled: 1-line block ×4, first 2 shown]
	s_delay_alu instid0(VALU_DEP_4) | instskip(NEXT) | instid1(VALU_DEP_4)
	v_fma_f64 v[14:15], -v[32:33], v[36:37], v[14:15]
	v_fmac_f64_e32 v[0:1], v[30:31], v[36:37]
	s_delay_alu instid0(VALU_DEP_4) | instskip(NEXT) | instid1(VALU_DEP_4)
	v_fma_f64 v[16:17], -v[28:29], v[36:37], v[16:17]
	v_fmac_f64_e32 v[12:13], v[26:27], v[36:37]
	s_wait_loadcnt 0x3
	s_delay_alu instid0(VALU_DEP_4) | instskip(NEXT) | instid1(VALU_DEP_4)
	v_fmac_f64_e32 v[14:15], v[42:43], v[46:47]
	v_fmac_f64_e32 v[0:1], v[44:45], v[46:47]
	s_delay_alu instid0(VALU_DEP_4) | instskip(NEXT) | instid1(VALU_DEP_4)
	v_fmac_f64_e32 v[16:17], v[38:39], v[46:47]
	v_fmac_f64_e32 v[12:13], v[40:41], v[46:47]
	s_delay_alu instid0(VALU_DEP_4) | instskip(NEXT) | instid1(VALU_DEP_4)
	v_fma_f64 v[14:15], -v[44:45], v[48:49], v[14:15]
	v_fmac_f64_e32 v[0:1], v[42:43], v[48:49]
	s_delay_alu instid0(VALU_DEP_4) | instskip(NEXT) | instid1(VALU_DEP_4)
	v_fma_f64 v[16:17], -v[40:41], v[48:49], v[16:17]
	v_fmac_f64_e32 v[12:13], v[38:39], v[48:49]
	s_wait_loadcnt 0x0
	s_delay_alu instid0(VALU_DEP_4) | instskip(NEXT) | instid1(VALU_DEP_4)
	v_fmac_f64_e32 v[14:15], v[54:55], v[58:59]
	v_fmac_f64_e32 v[0:1], v[56:57], v[58:59]
	s_delay_alu instid0(VALU_DEP_4) | instskip(NEXT) | instid1(VALU_DEP_4)
	v_fmac_f64_e32 v[16:17], v[50:51], v[58:59]
	v_fmac_f64_e32 v[12:13], v[52:53], v[58:59]
	s_delay_alu instid0(VALU_DEP_4) | instskip(NEXT) | instid1(VALU_DEP_4)
	v_fma_f64 v[14:15], -v[56:57], v[60:61], v[14:15]
	v_fmac_f64_e32 v[0:1], v[54:55], v[60:61]
	s_delay_alu instid0(VALU_DEP_4) | instskip(NEXT) | instid1(VALU_DEP_4)
	v_fma_f64 v[16:17], -v[52:53], v[60:61], v[16:17]
	v_fmac_f64_e32 v[12:13], v[50:51], v[60:61]
	s_cbranch_scc0 .LBB295_8
; %bb.9:                                ;   in Loop: Header=BB295_7 Depth=1
	v_add_nc_u32_e32 v22, 16, v22
	v_add_nc_u32_e32 v21, 0x1e0, v21
	s_delay_alu instid0(VALU_DEP_2) | instskip(SKIP_1) | instid1(SALU_CYCLE_1)
	v_cmp_ge_i32_e32 vcc_lo, v22, v19
	s_or_b32 s4, vcc_lo, s4
	s_and_not1_b32 exec_lo, exec_lo, s4
	s_cbranch_execnz .LBB295_7
; %bb.10:
	s_or_b32 exec_lo, exec_lo, s4
.LBB295_11:
	s_delay_alu instid0(SALU_CYCLE_1)
	s_or_b32 exec_lo, exec_lo, s3
	s_cbranch_execz .LBB295_13
	s_branch .LBB295_20
.LBB295_12:
                                        ; implicit-def: $vgpr0_vgpr1
                                        ; implicit-def: $vgpr14_vgpr15
                                        ; implicit-def: $vgpr16_vgpr17
                                        ; implicit-def: $vgpr12_vgpr13
.LBB295_13:
	v_mov_b64_e32 v[0:1], 0
	v_mov_b64_e32 v[14:15], 0
	;; [unrolled: 1-line block ×4, first 2 shown]
	s_and_saveexec_b32 s3, s2
	s_cbranch_execz .LBB295_19
; %bb.14:
	v_mul_u32_u24_e32 v0, 30, v11
	s_mul_i32 s2, s12, 30
	v_mov_b64_e32 v[14:15], 0
	v_mov_b64_e32 v[16:17], 0
	v_mov_b64_e32 v[12:13], 0
	v_mad_u32 v21, v18, 30, v0
	v_mul_lo_u32 v18, v20, 30
	v_mov_b64_e32 v[0:1], 0
	s_delay_alu instid0(VALU_DEP_3)
	v_subrev_nc_u32_e32 v21, s2, v21
	s_mov_b32 s2, 0
.LBB295_15:                             ; =>This Loop Header: Depth=1
                                        ;     Child Loop BB295_16 Depth 2
	global_load_b32 v22, v20, s[6:7] scale_offset
	s_mov_b32 s4, 0
	s_wait_loadcnt 0x0
	v_subrev_nc_u32_e32 v22, s12, v22
	s_delay_alu instid0(VALU_DEP_1)
	v_mul_lo_u32 v22, v22, 15
.LBB295_16:                             ;   Parent Loop BB295_15 Depth=1
                                        ; =>  This Inner Loop Header: Depth=2
	v_dual_add_nc_u32 v23, s4, v18 :: v_dual_add_nc_u32 v36, s4, v21
	s_delay_alu instid0(VALU_DEP_2) | instskip(SKIP_1) | instid1(SALU_CYCLE_1)
	v_add_nc_u32_e32 v48, s4, v22
	s_add_co_i32 s4, s4, 3
	s_cmp_eq_u32 s4, 15
	s_delay_alu instid0(VALU_DEP_2) | instskip(NEXT) | instid1(VALU_DEP_2)
	v_dual_add_nc_u32 v37, 15, v23 :: v_dual_add_nc_u32 v49, 1, v23
	v_add_nc_u32_e32 v50, 1, v48
	global_load_b128 v[24:27], v36, s[8:9] scale_offset
	global_load_b128 v[28:31], v48, s[10:11] scale_offset
	;; [unrolled: 1-line block ×3, first 2 shown]
	v_dual_add_nc_u32 v51, 16, v23 :: v_dual_add_nc_u32 v60, 2, v23
	global_load_b128 v[36:39], v49, s[8:9] scale_offset
	global_load_b128 v[40:43], v50, s[10:11] scale_offset
	global_load_b128 v[44:47], v51, s[8:9] scale_offset
	v_dual_add_nc_u32 v61, 2, v48 :: v_dual_add_nc_u32 v23, 17, v23
	global_load_b128 v[48:51], v60, s[8:9] scale_offset
	global_load_b128 v[52:55], v61, s[10:11] scale_offset
	;; [unrolled: 1-line block ×3, first 2 shown]
	s_wait_loadcnt 0x7
	v_fmac_f64_e32 v[14:15], v[24:25], v[28:29]
	v_fmac_f64_e32 v[0:1], v[26:27], v[28:29]
	s_wait_loadcnt 0x6
	v_fmac_f64_e32 v[16:17], v[32:33], v[28:29]
	v_fmac_f64_e32 v[12:13], v[34:35], v[28:29]
	s_delay_alu instid0(VALU_DEP_4) | instskip(NEXT) | instid1(VALU_DEP_4)
	v_fma_f64 v[14:15], -v[26:27], v[30:31], v[14:15]
	v_fmac_f64_e32 v[0:1], v[24:25], v[30:31]
	s_delay_alu instid0(VALU_DEP_4) | instskip(NEXT) | instid1(VALU_DEP_4)
	v_fma_f64 v[16:17], -v[34:35], v[30:31], v[16:17]
	v_fmac_f64_e32 v[12:13], v[32:33], v[30:31]
	s_wait_loadcnt 0x4
	s_delay_alu instid0(VALU_DEP_4) | instskip(NEXT) | instid1(VALU_DEP_4)
	v_fmac_f64_e32 v[14:15], v[36:37], v[40:41]
	v_fmac_f64_e32 v[0:1], v[38:39], v[40:41]
	s_wait_loadcnt 0x3
	s_delay_alu instid0(VALU_DEP_4) | instskip(NEXT) | instid1(VALU_DEP_4)
	v_fmac_f64_e32 v[16:17], v[44:45], v[40:41]
	v_fmac_f64_e32 v[12:13], v[46:47], v[40:41]
	s_delay_alu instid0(VALU_DEP_4) | instskip(NEXT) | instid1(VALU_DEP_4)
	v_fma_f64 v[14:15], -v[38:39], v[42:43], v[14:15]
	v_fmac_f64_e32 v[0:1], v[36:37], v[42:43]
	s_delay_alu instid0(VALU_DEP_4) | instskip(NEXT) | instid1(VALU_DEP_4)
	v_fma_f64 v[16:17], -v[46:47], v[42:43], v[16:17]
	v_fmac_f64_e32 v[12:13], v[44:45], v[42:43]
	s_wait_loadcnt 0x1
	s_delay_alu instid0(VALU_DEP_4) | instskip(NEXT) | instid1(VALU_DEP_4)
	v_fmac_f64_e32 v[14:15], v[48:49], v[52:53]
	v_fmac_f64_e32 v[0:1], v[50:51], v[52:53]
	s_wait_loadcnt 0x0
	s_delay_alu instid0(VALU_DEP_4) | instskip(NEXT) | instid1(VALU_DEP_4)
	v_fmac_f64_e32 v[16:17], v[56:57], v[52:53]
	v_fmac_f64_e32 v[12:13], v[58:59], v[52:53]
	s_delay_alu instid0(VALU_DEP_4) | instskip(NEXT) | instid1(VALU_DEP_4)
	v_fma_f64 v[14:15], -v[50:51], v[54:55], v[14:15]
	v_fmac_f64_e32 v[0:1], v[48:49], v[54:55]
	s_delay_alu instid0(VALU_DEP_4) | instskip(NEXT) | instid1(VALU_DEP_4)
	v_fma_f64 v[16:17], -v[58:59], v[54:55], v[16:17]
	v_fmac_f64_e32 v[12:13], v[56:57], v[54:55]
	s_cbranch_scc0 .LBB295_16
; %bb.17:                               ;   in Loop: Header=BB295_15 Depth=1
	v_add_nc_u32_e32 v20, 16, v20
	v_add_nc_u32_e32 v18, 0x1e0, v18
	;; [unrolled: 1-line block ×3, first 2 shown]
	s_delay_alu instid0(VALU_DEP_3) | instskip(SKIP_1) | instid1(SALU_CYCLE_1)
	v_cmp_ge_i32_e32 vcc_lo, v20, v19
	s_or_b32 s2, vcc_lo, s2
	s_and_not1_b32 exec_lo, exec_lo, s2
	s_cbranch_execnz .LBB295_15
; %bb.18:
	s_or_b32 exec_lo, exec_lo, s2
.LBB295_19:
	s_delay_alu instid0(SALU_CYCLE_1)
	s_or_b32 exec_lo, exec_lo, s3
.LBB295_20:
	v_mbcnt_lo_u32_b32 v28, -1, 0
	s_delay_alu instid0(VALU_DEP_1) | instskip(NEXT) | instid1(VALU_DEP_1)
	v_xor_b32_e32 v18, 8, v28
	v_cmp_gt_i32_e32 vcc_lo, 32, v18
	v_cndmask_b32_e32 v18, v28, v18, vcc_lo
	s_delay_alu instid0(VALU_DEP_1)
	v_lshlrev_b32_e32 v25, 2, v18
	ds_bpermute_b32 v20, v25, v0
	ds_bpermute_b32 v21, v25, v1
	s_wait_dscnt 0x0
	v_add_f64_e32 v[0:1], v[0:1], v[20:21]
	ds_bpermute_b32 v18, v25, v14
	ds_bpermute_b32 v19, v25, v15
	;; [unrolled: 1-line block ×6, first 2 shown]
	s_wait_dscnt 0x4
	v_dual_add_f64 v[14:15], v[14:15], v[18:19] :: v_dual_bitop2_b32 v18, 4, v28 bitop3:0x14
	s_wait_dscnt 0x2
	v_add_f64_e32 v[16:17], v[16:17], v[22:23]
	s_delay_alu instid0(VALU_DEP_2) | instskip(SKIP_2) | instid1(VALU_DEP_1)
	v_cmp_gt_i32_e32 vcc_lo, 32, v18
	v_cndmask_b32_e32 v18, v28, v18, vcc_lo
	s_wait_dscnt 0x0
	v_dual_add_f64 v[12:13], v[12:13], v[24:25] :: v_dual_lshlrev_b32 v25, 2, v18
	ds_bpermute_b32 v20, v25, v0
	ds_bpermute_b32 v21, v25, v1
	;; [unrolled: 1-line block ×8, first 2 shown]
	s_wait_dscnt 0x4
	v_add_f64_e32 v[14:15], v[14:15], v[18:19]
	v_add_f64_e32 v[18:19], v[0:1], v[20:21]
	s_wait_dscnt 0x2
	v_dual_add_f64 v[20:21], v[16:17], v[22:23] :: v_dual_bitop2_b32 v0, 2, v28 bitop3:0x14
	s_delay_alu instid0(VALU_DEP_1) | instskip(SKIP_3) | instid1(VALU_DEP_1)
	v_cmp_gt_i32_e32 vcc_lo, 32, v0
	s_wait_dscnt 0x0
	v_add_f64_e32 v[22:23], v[12:13], v[24:25]
	v_cndmask_b32_e32 v0, v28, v0, vcc_lo
	v_lshlrev_b32_e32 v16, 2, v0
	ds_bpermute_b32 v0, v16, v14
	ds_bpermute_b32 v12, v16, v18
	;; [unrolled: 1-line block ×8, first 2 shown]
	s_wait_dscnt 0x5
	v_add_f64_e32 v[16:17], v[18:19], v[12:13]
	v_xor_b32_e32 v18, 1, v28
	s_wait_dscnt 0x2
	v_add_f64_e32 v[12:13], v[20:21], v[24:25]
	s_delay_alu instid0(VALU_DEP_2) | instskip(SKIP_2) | instid1(VALU_DEP_2)
	v_cmp_gt_i32_e32 vcc_lo, 32, v18
	v_dual_add_f64 v[0:1], v[14:15], v[0:1] :: v_dual_cndmask_b32 v18, v28, v18, vcc_lo
	v_cmp_eq_u32_e32 vcc_lo, 15, v11
	v_lshlrev_b32_e32 v21, 2, v18
	s_wait_dscnt 0x0
	v_add_f64_e32 v[14:15], v[22:23], v[26:27]
	ds_bpermute_b32 v22, v21, v16
	ds_bpermute_b32 v23, v21, v17
	;; [unrolled: 1-line block ×8, first 2 shown]
	s_and_b32 exec_lo, exec_lo, vcc_lo
	s_cbranch_execz .LBB295_25
; %bb.21:
	v_cmp_eq_f64_e32 vcc_lo, 0, v[6:7]
	v_cmp_eq_f64_e64 s2, 0, v[8:9]
	s_wait_dscnt 0x2
	v_add_f64_e32 v[0:1], v[0:1], v[24:25]
	v_add_f64_e32 v[16:17], v[16:17], v[22:23]
	;; [unrolled: 1-line block ×3, first 2 shown]
	s_wait_dscnt 0x0
	v_add_f64_e32 v[14:15], v[14:15], v[20:21]
	s_load_b64 s[0:1], s[0:1], 0x48
	s_and_b32 s2, vcc_lo, s2
	s_delay_alu instid0(SALU_CYCLE_1) | instskip(NEXT) | instid1(SALU_CYCLE_1)
	s_and_saveexec_b32 s3, s2
	s_xor_b32 s2, exec_lo, s3
	s_cbranch_execz .LBB295_23
; %bb.22:
	s_delay_alu instid0(VALU_DEP_3) | instskip(SKIP_1) | instid1(VALU_DEP_3)
	v_mul_f64_e64 v[6:7], v[16:17], -v[4:5]
	v_mul_f64_e32 v[8:9], v[2:3], v[16:17]
	v_mul_f64_e64 v[16:17], v[14:15], -v[4:5]
	v_mul_f64_e32 v[18:19], v[2:3], v[14:15]
                                        ; implicit-def: $vgpr14_vgpr15
	s_delay_alu instid0(VALU_DEP_4) | instskip(NEXT) | instid1(VALU_DEP_4)
	v_fmac_f64_e32 v[6:7], v[2:3], v[0:1]
	v_fmac_f64_e32 v[8:9], v[4:5], v[0:1]
	s_delay_alu instid0(VALU_DEP_4) | instskip(NEXT) | instid1(VALU_DEP_4)
	v_fmac_f64_e32 v[16:17], v[2:3], v[12:13]
	v_fmac_f64_e32 v[18:19], v[4:5], v[12:13]
	v_lshlrev_b32_e32 v0, 1, v10
                                        ; implicit-def: $vgpr10
                                        ; implicit-def: $vgpr12_vgpr13
                                        ; implicit-def: $vgpr4_vgpr5
	s_wait_kmcnt 0x0
	s_clause 0x1
	global_store_b128 v0, v[6:9], s[0:1] scale_offset
	global_store_b128 v0, v[16:19], s[0:1] offset:16 scale_offset
                                        ; implicit-def: $vgpr0_vgpr1
                                        ; implicit-def: $vgpr16_vgpr17
                                        ; implicit-def: $vgpr8_vgpr9
.LBB295_23:
	s_wait_xcnt 0x0
	s_and_not1_saveexec_b32 s2, s2
	s_cbranch_execz .LBB295_25
; %bb.24:
	s_delay_alu instid0(VALU_DEP_3) | instskip(SKIP_1) | instid1(VALU_DEP_3)
	v_dual_mul_f64 v[26:27], v[16:17], -v[4:5] :: v_dual_lshlrev_b32 v30, 1, v10
	v_mul_f64_e32 v[16:17], v[2:3], v[16:17]
	v_mul_f64_e64 v[28:29], v[14:15], -v[4:5]
	v_mul_f64_e32 v[10:11], v[2:3], v[14:15]
	s_wait_kmcnt 0x0
	s_clause 0x1
	global_load_b128 v[18:21], v30, s[0:1] scale_offset
	global_load_b128 v[22:25], v30, s[0:1] offset:16 scale_offset
	v_fmac_f64_e32 v[26:27], v[2:3], v[0:1]
	v_fmac_f64_e32 v[16:17], v[4:5], v[0:1]
	;; [unrolled: 1-line block ×4, first 2 shown]
	s_wait_loadcnt 0x1
	s_delay_alu instid0(VALU_DEP_4) | instskip(NEXT) | instid1(VALU_DEP_4)
	v_fmac_f64_e32 v[26:27], v[6:7], v[18:19]
	v_fmac_f64_e32 v[16:17], v[8:9], v[18:19]
	s_wait_loadcnt 0x0
	s_delay_alu instid0(VALU_DEP_4) | instskip(NEXT) | instid1(VALU_DEP_4)
	v_fmac_f64_e32 v[28:29], v[6:7], v[22:23]
	v_fmac_f64_e32 v[10:11], v[8:9], v[22:23]
	s_delay_alu instid0(VALU_DEP_4) | instskip(NEXT) | instid1(VALU_DEP_4)
	v_fma_f64 v[14:15], -v[8:9], v[20:21], v[26:27]
	v_fmac_f64_e32 v[16:17], v[6:7], v[20:21]
	s_delay_alu instid0(VALU_DEP_4) | instskip(NEXT) | instid1(VALU_DEP_4)
	v_fma_f64 v[8:9], -v[8:9], v[24:25], v[28:29]
	v_fmac_f64_e32 v[10:11], v[6:7], v[24:25]
	s_clause 0x1
	global_store_b128 v30, v[14:17], s[0:1] scale_offset
	global_store_b128 v30, v[8:11], s[0:1] offset:16 scale_offset
.LBB295_25:
	s_endpgm
	.section	.rodata,"a",@progbits
	.p2align	6, 0x0
	.amdhsa_kernel _ZN9rocsparseL19gebsrmvn_2xn_kernelILj128ELj15ELj16E21rocsparse_complex_numIdEEEvi20rocsparse_direction_NS_24const_host_device_scalarIT2_EEPKiS8_PKS5_SA_S6_PS5_21rocsparse_index_base_b
		.amdhsa_group_segment_fixed_size 0
		.amdhsa_private_segment_fixed_size 0
		.amdhsa_kernarg_size 88
		.amdhsa_user_sgpr_count 2
		.amdhsa_user_sgpr_dispatch_ptr 0
		.amdhsa_user_sgpr_queue_ptr 0
		.amdhsa_user_sgpr_kernarg_segment_ptr 1
		.amdhsa_user_sgpr_dispatch_id 0
		.amdhsa_user_sgpr_kernarg_preload_length 0
		.amdhsa_user_sgpr_kernarg_preload_offset 0
		.amdhsa_user_sgpr_private_segment_size 0
		.amdhsa_wavefront_size32 1
		.amdhsa_uses_dynamic_stack 0
		.amdhsa_enable_private_segment 0
		.amdhsa_system_sgpr_workgroup_id_x 1
		.amdhsa_system_sgpr_workgroup_id_y 0
		.amdhsa_system_sgpr_workgroup_id_z 0
		.amdhsa_system_sgpr_workgroup_info 0
		.amdhsa_system_vgpr_workitem_id 0
		.amdhsa_next_free_vgpr 63
		.amdhsa_next_free_sgpr 14
		.amdhsa_named_barrier_count 0
		.amdhsa_reserve_vcc 1
		.amdhsa_float_round_mode_32 0
		.amdhsa_float_round_mode_16_64 0
		.amdhsa_float_denorm_mode_32 3
		.amdhsa_float_denorm_mode_16_64 3
		.amdhsa_fp16_overflow 0
		.amdhsa_memory_ordered 1
		.amdhsa_forward_progress 1
		.amdhsa_inst_pref_size 17
		.amdhsa_round_robin_scheduling 0
		.amdhsa_exception_fp_ieee_invalid_op 0
		.amdhsa_exception_fp_denorm_src 0
		.amdhsa_exception_fp_ieee_div_zero 0
		.amdhsa_exception_fp_ieee_overflow 0
		.amdhsa_exception_fp_ieee_underflow 0
		.amdhsa_exception_fp_ieee_inexact 0
		.amdhsa_exception_int_div_zero 0
	.end_amdhsa_kernel
	.section	.text._ZN9rocsparseL19gebsrmvn_2xn_kernelILj128ELj15ELj16E21rocsparse_complex_numIdEEEvi20rocsparse_direction_NS_24const_host_device_scalarIT2_EEPKiS8_PKS5_SA_S6_PS5_21rocsparse_index_base_b,"axG",@progbits,_ZN9rocsparseL19gebsrmvn_2xn_kernelILj128ELj15ELj16E21rocsparse_complex_numIdEEEvi20rocsparse_direction_NS_24const_host_device_scalarIT2_EEPKiS8_PKS5_SA_S6_PS5_21rocsparse_index_base_b,comdat
.Lfunc_end295:
	.size	_ZN9rocsparseL19gebsrmvn_2xn_kernelILj128ELj15ELj16E21rocsparse_complex_numIdEEEvi20rocsparse_direction_NS_24const_host_device_scalarIT2_EEPKiS8_PKS5_SA_S6_PS5_21rocsparse_index_base_b, .Lfunc_end295-_ZN9rocsparseL19gebsrmvn_2xn_kernelILj128ELj15ELj16E21rocsparse_complex_numIdEEEvi20rocsparse_direction_NS_24const_host_device_scalarIT2_EEPKiS8_PKS5_SA_S6_PS5_21rocsparse_index_base_b
                                        ; -- End function
	.set _ZN9rocsparseL19gebsrmvn_2xn_kernelILj128ELj15ELj16E21rocsparse_complex_numIdEEEvi20rocsparse_direction_NS_24const_host_device_scalarIT2_EEPKiS8_PKS5_SA_S6_PS5_21rocsparse_index_base_b.num_vgpr, 63
	.set _ZN9rocsparseL19gebsrmvn_2xn_kernelILj128ELj15ELj16E21rocsparse_complex_numIdEEEvi20rocsparse_direction_NS_24const_host_device_scalarIT2_EEPKiS8_PKS5_SA_S6_PS5_21rocsparse_index_base_b.num_agpr, 0
	.set _ZN9rocsparseL19gebsrmvn_2xn_kernelILj128ELj15ELj16E21rocsparse_complex_numIdEEEvi20rocsparse_direction_NS_24const_host_device_scalarIT2_EEPKiS8_PKS5_SA_S6_PS5_21rocsparse_index_base_b.numbered_sgpr, 14
	.set _ZN9rocsparseL19gebsrmvn_2xn_kernelILj128ELj15ELj16E21rocsparse_complex_numIdEEEvi20rocsparse_direction_NS_24const_host_device_scalarIT2_EEPKiS8_PKS5_SA_S6_PS5_21rocsparse_index_base_b.num_named_barrier, 0
	.set _ZN9rocsparseL19gebsrmvn_2xn_kernelILj128ELj15ELj16E21rocsparse_complex_numIdEEEvi20rocsparse_direction_NS_24const_host_device_scalarIT2_EEPKiS8_PKS5_SA_S6_PS5_21rocsparse_index_base_b.private_seg_size, 0
	.set _ZN9rocsparseL19gebsrmvn_2xn_kernelILj128ELj15ELj16E21rocsparse_complex_numIdEEEvi20rocsparse_direction_NS_24const_host_device_scalarIT2_EEPKiS8_PKS5_SA_S6_PS5_21rocsparse_index_base_b.uses_vcc, 1
	.set _ZN9rocsparseL19gebsrmvn_2xn_kernelILj128ELj15ELj16E21rocsparse_complex_numIdEEEvi20rocsparse_direction_NS_24const_host_device_scalarIT2_EEPKiS8_PKS5_SA_S6_PS5_21rocsparse_index_base_b.uses_flat_scratch, 0
	.set _ZN9rocsparseL19gebsrmvn_2xn_kernelILj128ELj15ELj16E21rocsparse_complex_numIdEEEvi20rocsparse_direction_NS_24const_host_device_scalarIT2_EEPKiS8_PKS5_SA_S6_PS5_21rocsparse_index_base_b.has_dyn_sized_stack, 0
	.set _ZN9rocsparseL19gebsrmvn_2xn_kernelILj128ELj15ELj16E21rocsparse_complex_numIdEEEvi20rocsparse_direction_NS_24const_host_device_scalarIT2_EEPKiS8_PKS5_SA_S6_PS5_21rocsparse_index_base_b.has_recursion, 0
	.set _ZN9rocsparseL19gebsrmvn_2xn_kernelILj128ELj15ELj16E21rocsparse_complex_numIdEEEvi20rocsparse_direction_NS_24const_host_device_scalarIT2_EEPKiS8_PKS5_SA_S6_PS5_21rocsparse_index_base_b.has_indirect_call, 0
	.section	.AMDGPU.csdata,"",@progbits
; Kernel info:
; codeLenInByte = 2164
; TotalNumSgprs: 16
; NumVgprs: 63
; ScratchSize: 0
; MemoryBound: 0
; FloatMode: 240
; IeeeMode: 1
; LDSByteSize: 0 bytes/workgroup (compile time only)
; SGPRBlocks: 0
; VGPRBlocks: 3
; NumSGPRsForWavesPerEU: 16
; NumVGPRsForWavesPerEU: 63
; NamedBarCnt: 0
; Occupancy: 16
; WaveLimiterHint : 1
; COMPUTE_PGM_RSRC2:SCRATCH_EN: 0
; COMPUTE_PGM_RSRC2:USER_SGPR: 2
; COMPUTE_PGM_RSRC2:TRAP_HANDLER: 0
; COMPUTE_PGM_RSRC2:TGID_X_EN: 1
; COMPUTE_PGM_RSRC2:TGID_Y_EN: 0
; COMPUTE_PGM_RSRC2:TGID_Z_EN: 0
; COMPUTE_PGM_RSRC2:TIDIG_COMP_CNT: 0
	.section	.text._ZN9rocsparseL19gebsrmvn_2xn_kernelILj128ELj15ELj32E21rocsparse_complex_numIdEEEvi20rocsparse_direction_NS_24const_host_device_scalarIT2_EEPKiS8_PKS5_SA_S6_PS5_21rocsparse_index_base_b,"axG",@progbits,_ZN9rocsparseL19gebsrmvn_2xn_kernelILj128ELj15ELj32E21rocsparse_complex_numIdEEEvi20rocsparse_direction_NS_24const_host_device_scalarIT2_EEPKiS8_PKS5_SA_S6_PS5_21rocsparse_index_base_b,comdat
	.globl	_ZN9rocsparseL19gebsrmvn_2xn_kernelILj128ELj15ELj32E21rocsparse_complex_numIdEEEvi20rocsparse_direction_NS_24const_host_device_scalarIT2_EEPKiS8_PKS5_SA_S6_PS5_21rocsparse_index_base_b ; -- Begin function _ZN9rocsparseL19gebsrmvn_2xn_kernelILj128ELj15ELj32E21rocsparse_complex_numIdEEEvi20rocsparse_direction_NS_24const_host_device_scalarIT2_EEPKiS8_PKS5_SA_S6_PS5_21rocsparse_index_base_b
	.p2align	8
	.type	_ZN9rocsparseL19gebsrmvn_2xn_kernelILj128ELj15ELj32E21rocsparse_complex_numIdEEEvi20rocsparse_direction_NS_24const_host_device_scalarIT2_EEPKiS8_PKS5_SA_S6_PS5_21rocsparse_index_base_b,@function
_ZN9rocsparseL19gebsrmvn_2xn_kernelILj128ELj15ELj32E21rocsparse_complex_numIdEEEvi20rocsparse_direction_NS_24const_host_device_scalarIT2_EEPKiS8_PKS5_SA_S6_PS5_21rocsparse_index_base_b: ; @_ZN9rocsparseL19gebsrmvn_2xn_kernelILj128ELj15ELj32E21rocsparse_complex_numIdEEEvi20rocsparse_direction_NS_24const_host_device_scalarIT2_EEPKiS8_PKS5_SA_S6_PS5_21rocsparse_index_base_b
; %bb.0:
	s_clause 0x1
	s_load_b64 s[12:13], s[0:1], 0x50
	s_load_b64 s[2:3], s[0:1], 0x8
	v_mov_b32_e32 v1, 0
	s_add_nc_u64 s[4:5], s[0:1], 8
	s_load_b64 s[6:7], s[0:1], 0x38
	s_wait_kmcnt 0x0
	s_bitcmp1_b32 s13, 0
	s_cselect_b32 s3, s5, s3
	s_cselect_b32 s2, s4, s2
	flat_load_b128 v[2:5], v1, s[2:3]
	s_wait_xcnt 0x0
	s_add_nc_u64 s[2:3], s[0:1], 56
	s_delay_alu instid0(SALU_CYCLE_1)
	s_cselect_b32 s3, s3, s7
	s_cselect_b32 s2, s2, s6
	flat_load_b128 v[6:9], v1, s[2:3]
	s_wait_loadcnt_dscnt 0x101
	v_cmp_eq_f64_e32 vcc_lo, 0, v[2:3]
	s_wait_xcnt 0x0
	v_cmp_eq_f64_e64 s2, 0, v[4:5]
	s_and_b32 s4, vcc_lo, s2
	s_mov_b32 s2, -1
	s_and_saveexec_b32 s3, s4
	s_cbranch_execz .LBB296_2
; %bb.1:
	s_wait_loadcnt_dscnt 0x0
	v_cmp_neq_f64_e32 vcc_lo, 1.0, v[6:7]
	v_cmp_neq_f64_e64 s2, 0, v[8:9]
	s_or_b32 s2, vcc_lo, s2
	s_delay_alu instid0(SALU_CYCLE_1)
	s_or_not1_b32 s2, s2, exec_lo
.LBB296_2:
	s_or_b32 exec_lo, exec_lo, s3
	s_and_saveexec_b32 s3, s2
	s_cbranch_execz .LBB296_25
; %bb.3:
	s_load_b64 s[2:3], s[0:1], 0x0
	s_bfe_u32 s4, ttmp6, 0x4000c
	s_and_b32 s5, ttmp6, 15
	s_add_co_i32 s4, s4, 1
	s_getreg_b32 s6, hwreg(HW_REG_IB_STS2, 6, 4)
	s_mul_i32 s4, ttmp9, s4
	v_lshrrev_b32_e32 v1, 5, v0
	s_add_co_i32 s5, s5, s4
	s_cmp_eq_u32 s6, 0
	s_cselect_b32 s4, ttmp9, s5
	s_delay_alu instid0(VALU_DEP_1) | instid1(SALU_CYCLE_1)
	v_lshl_or_b32 v10, s4, 2, v1
	s_wait_kmcnt 0x0
	s_delay_alu instid0(VALU_DEP_1)
	v_cmp_gt_i32_e32 vcc_lo, s2, v10
	s_and_b32 exec_lo, exec_lo, vcc_lo
	s_cbranch_execz .LBB296_25
; %bb.4:
	s_load_b256 s[4:11], s[0:1], 0x18
	v_ashrrev_i32_e32 v11, 31, v10
	s_cmp_lg_u32 s3, 0
	s_wait_kmcnt 0x0
	s_delay_alu instid0(VALU_DEP_1)
	v_lshl_add_u64 v[12:13], v[10:11], 2, s[4:5]
	v_and_b32_e32 v11, 31, v0
	global_load_b64 v[18:19], v[12:13], off
	s_wait_loadcnt 0x0
	v_subrev_nc_u32_e32 v0, s12, v18
	v_subrev_nc_u32_e32 v19, s12, v19
	s_delay_alu instid0(VALU_DEP_2) | instskip(NEXT) | instid1(VALU_DEP_1)
	v_add_nc_u32_e32 v20, v0, v11
	v_cmp_lt_i32_e64 s2, v20, v19
	s_cbranch_scc0 .LBB296_12
; %bb.5:
	v_mov_b64_e32 v[0:1], 0
	v_mov_b64_e32 v[14:15], 0
	;; [unrolled: 1-line block ×4, first 2 shown]
	s_and_saveexec_b32 s3, s2
	s_cbranch_execz .LBB296_11
; %bb.6:
	v_mul_lo_u32 v21, v20, 30
	v_mov_b64_e32 v[0:1], 0
	v_mov_b64_e32 v[14:15], 0
	;; [unrolled: 1-line block ×4, first 2 shown]
	v_mov_b32_e32 v22, v20
	s_mov_b32 s4, 0
.LBB296_7:                              ; =>This Loop Header: Depth=1
                                        ;     Child Loop BB296_8 Depth 2
	global_load_b32 v23, v22, s[6:7] scale_offset
	v_mov_b32_e32 v24, v21
	s_mov_b32 s5, 0
	s_wait_loadcnt 0x0
	v_subrev_nc_u32_e32 v23, s12, v23
	s_delay_alu instid0(VALU_DEP_1)
	v_mul_lo_u32 v23, v23, 15
.LBB296_8:                              ;   Parent Loop BB296_7 Depth=1
                                        ; =>  This Inner Loop Header: Depth=2
	s_delay_alu instid0(VALU_DEP_1)
	v_dual_add_nc_u32 v25, s5, v23 :: v_dual_add_nc_u32 v50, 2, v24
	s_add_co_i32 s5, s5, 3
	s_clause 0x1
	global_load_b128 v[26:29], v24, s[8:9] offset:16 scale_offset
	global_load_b128 v[30:33], v24, s[8:9] scale_offset
	global_load_b128 v[34:37], v25, s[10:11] scale_offset
	s_cmp_eq_u32 s5, 15
	v_dual_add_nc_u32 v51, 1, v25 :: v_dual_add_nc_u32 v62, 4, v24
	s_wait_xcnt 0x0
	v_dual_add_nc_u32 v25, 2, v25 :: v_dual_add_nc_u32 v24, 6, v24
	s_clause 0x1
	global_load_b128 v[38:41], v50, s[8:9] offset:16 scale_offset
	global_load_b128 v[42:45], v50, s[8:9] scale_offset
	global_load_b128 v[46:49], v51, s[10:11] scale_offset
	s_clause 0x1
	global_load_b128 v[50:53], v62, s[8:9] offset:16 scale_offset
	global_load_b128 v[54:57], v62, s[8:9] scale_offset
	global_load_b128 v[58:61], v25, s[10:11] scale_offset
	s_wait_loadcnt 0x6
	v_fmac_f64_e32 v[14:15], v[30:31], v[34:35]
	v_fmac_f64_e32 v[0:1], v[32:33], v[34:35]
	v_fmac_f64_e32 v[16:17], v[26:27], v[34:35]
	v_fmac_f64_e32 v[12:13], v[28:29], v[34:35]
	s_delay_alu instid0(VALU_DEP_4) | instskip(NEXT) | instid1(VALU_DEP_4)
	v_fma_f64 v[14:15], -v[32:33], v[36:37], v[14:15]
	v_fmac_f64_e32 v[0:1], v[30:31], v[36:37]
	s_delay_alu instid0(VALU_DEP_4) | instskip(NEXT) | instid1(VALU_DEP_4)
	v_fma_f64 v[16:17], -v[28:29], v[36:37], v[16:17]
	v_fmac_f64_e32 v[12:13], v[26:27], v[36:37]
	s_wait_loadcnt 0x3
	s_delay_alu instid0(VALU_DEP_4) | instskip(NEXT) | instid1(VALU_DEP_4)
	v_fmac_f64_e32 v[14:15], v[42:43], v[46:47]
	v_fmac_f64_e32 v[0:1], v[44:45], v[46:47]
	s_delay_alu instid0(VALU_DEP_4) | instskip(NEXT) | instid1(VALU_DEP_4)
	v_fmac_f64_e32 v[16:17], v[38:39], v[46:47]
	v_fmac_f64_e32 v[12:13], v[40:41], v[46:47]
	s_delay_alu instid0(VALU_DEP_4) | instskip(NEXT) | instid1(VALU_DEP_4)
	v_fma_f64 v[14:15], -v[44:45], v[48:49], v[14:15]
	v_fmac_f64_e32 v[0:1], v[42:43], v[48:49]
	s_delay_alu instid0(VALU_DEP_4) | instskip(NEXT) | instid1(VALU_DEP_4)
	v_fma_f64 v[16:17], -v[40:41], v[48:49], v[16:17]
	v_fmac_f64_e32 v[12:13], v[38:39], v[48:49]
	s_wait_loadcnt 0x0
	s_delay_alu instid0(VALU_DEP_4) | instskip(NEXT) | instid1(VALU_DEP_4)
	v_fmac_f64_e32 v[14:15], v[54:55], v[58:59]
	v_fmac_f64_e32 v[0:1], v[56:57], v[58:59]
	s_delay_alu instid0(VALU_DEP_4) | instskip(NEXT) | instid1(VALU_DEP_4)
	v_fmac_f64_e32 v[16:17], v[50:51], v[58:59]
	v_fmac_f64_e32 v[12:13], v[52:53], v[58:59]
	s_delay_alu instid0(VALU_DEP_4) | instskip(NEXT) | instid1(VALU_DEP_4)
	v_fma_f64 v[14:15], -v[56:57], v[60:61], v[14:15]
	v_fmac_f64_e32 v[0:1], v[54:55], v[60:61]
	s_delay_alu instid0(VALU_DEP_4) | instskip(NEXT) | instid1(VALU_DEP_4)
	v_fma_f64 v[16:17], -v[52:53], v[60:61], v[16:17]
	v_fmac_f64_e32 v[12:13], v[50:51], v[60:61]
	s_cbranch_scc0 .LBB296_8
; %bb.9:                                ;   in Loop: Header=BB296_7 Depth=1
	v_add_nc_u32_e32 v22, 32, v22
	v_add_nc_u32_e32 v21, 0x3c0, v21
	s_delay_alu instid0(VALU_DEP_2) | instskip(SKIP_1) | instid1(SALU_CYCLE_1)
	v_cmp_ge_i32_e32 vcc_lo, v22, v19
	s_or_b32 s4, vcc_lo, s4
	s_and_not1_b32 exec_lo, exec_lo, s4
	s_cbranch_execnz .LBB296_7
; %bb.10:
	s_or_b32 exec_lo, exec_lo, s4
.LBB296_11:
	s_delay_alu instid0(SALU_CYCLE_1)
	s_or_b32 exec_lo, exec_lo, s3
	s_cbranch_execz .LBB296_13
	s_branch .LBB296_20
.LBB296_12:
                                        ; implicit-def: $vgpr0_vgpr1
                                        ; implicit-def: $vgpr14_vgpr15
                                        ; implicit-def: $vgpr16_vgpr17
                                        ; implicit-def: $vgpr12_vgpr13
.LBB296_13:
	v_mov_b64_e32 v[0:1], 0
	v_mov_b64_e32 v[14:15], 0
	;; [unrolled: 1-line block ×4, first 2 shown]
	s_and_saveexec_b32 s3, s2
	s_cbranch_execz .LBB296_19
; %bb.14:
	v_mul_u32_u24_e32 v0, 30, v11
	s_mul_i32 s2, s12, 30
	v_mov_b64_e32 v[14:15], 0
	v_mov_b64_e32 v[16:17], 0
	;; [unrolled: 1-line block ×3, first 2 shown]
	v_mad_u32 v21, v18, 30, v0
	v_mul_lo_u32 v18, v20, 30
	v_mov_b64_e32 v[0:1], 0
	s_delay_alu instid0(VALU_DEP_3)
	v_subrev_nc_u32_e32 v21, s2, v21
	s_mov_b32 s2, 0
.LBB296_15:                             ; =>This Loop Header: Depth=1
                                        ;     Child Loop BB296_16 Depth 2
	global_load_b32 v22, v20, s[6:7] scale_offset
	s_mov_b32 s4, 0
	s_wait_loadcnt 0x0
	v_subrev_nc_u32_e32 v22, s12, v22
	s_delay_alu instid0(VALU_DEP_1)
	v_mul_lo_u32 v22, v22, 15
.LBB296_16:                             ;   Parent Loop BB296_15 Depth=1
                                        ; =>  This Inner Loop Header: Depth=2
	v_dual_add_nc_u32 v23, s4, v18 :: v_dual_add_nc_u32 v36, s4, v21
	s_delay_alu instid0(VALU_DEP_2) | instskip(SKIP_1) | instid1(SALU_CYCLE_1)
	v_add_nc_u32_e32 v48, s4, v22
	s_add_co_i32 s4, s4, 3
	s_cmp_eq_u32 s4, 15
	s_delay_alu instid0(VALU_DEP_2) | instskip(NEXT) | instid1(VALU_DEP_2)
	v_dual_add_nc_u32 v37, 15, v23 :: v_dual_add_nc_u32 v49, 1, v23
	v_add_nc_u32_e32 v50, 1, v48
	global_load_b128 v[24:27], v36, s[8:9] scale_offset
	global_load_b128 v[28:31], v48, s[10:11] scale_offset
	;; [unrolled: 1-line block ×3, first 2 shown]
	v_dual_add_nc_u32 v51, 16, v23 :: v_dual_add_nc_u32 v60, 2, v23
	global_load_b128 v[36:39], v49, s[8:9] scale_offset
	global_load_b128 v[40:43], v50, s[10:11] scale_offset
	global_load_b128 v[44:47], v51, s[8:9] scale_offset
	v_dual_add_nc_u32 v61, 2, v48 :: v_dual_add_nc_u32 v23, 17, v23
	global_load_b128 v[48:51], v60, s[8:9] scale_offset
	global_load_b128 v[52:55], v61, s[10:11] scale_offset
	;; [unrolled: 1-line block ×3, first 2 shown]
	s_wait_loadcnt 0x7
	v_fmac_f64_e32 v[14:15], v[24:25], v[28:29]
	v_fmac_f64_e32 v[0:1], v[26:27], v[28:29]
	s_wait_loadcnt 0x6
	v_fmac_f64_e32 v[16:17], v[32:33], v[28:29]
	v_fmac_f64_e32 v[12:13], v[34:35], v[28:29]
	s_delay_alu instid0(VALU_DEP_4) | instskip(NEXT) | instid1(VALU_DEP_4)
	v_fma_f64 v[14:15], -v[26:27], v[30:31], v[14:15]
	v_fmac_f64_e32 v[0:1], v[24:25], v[30:31]
	s_delay_alu instid0(VALU_DEP_4) | instskip(NEXT) | instid1(VALU_DEP_4)
	v_fma_f64 v[16:17], -v[34:35], v[30:31], v[16:17]
	v_fmac_f64_e32 v[12:13], v[32:33], v[30:31]
	s_wait_loadcnt 0x4
	s_delay_alu instid0(VALU_DEP_4) | instskip(NEXT) | instid1(VALU_DEP_4)
	v_fmac_f64_e32 v[14:15], v[36:37], v[40:41]
	v_fmac_f64_e32 v[0:1], v[38:39], v[40:41]
	s_wait_loadcnt 0x3
	s_delay_alu instid0(VALU_DEP_4) | instskip(NEXT) | instid1(VALU_DEP_4)
	v_fmac_f64_e32 v[16:17], v[44:45], v[40:41]
	v_fmac_f64_e32 v[12:13], v[46:47], v[40:41]
	s_delay_alu instid0(VALU_DEP_4) | instskip(NEXT) | instid1(VALU_DEP_4)
	v_fma_f64 v[14:15], -v[38:39], v[42:43], v[14:15]
	v_fmac_f64_e32 v[0:1], v[36:37], v[42:43]
	s_delay_alu instid0(VALU_DEP_4) | instskip(NEXT) | instid1(VALU_DEP_4)
	v_fma_f64 v[16:17], -v[46:47], v[42:43], v[16:17]
	v_fmac_f64_e32 v[12:13], v[44:45], v[42:43]
	s_wait_loadcnt 0x1
	s_delay_alu instid0(VALU_DEP_4) | instskip(NEXT) | instid1(VALU_DEP_4)
	v_fmac_f64_e32 v[14:15], v[48:49], v[52:53]
	v_fmac_f64_e32 v[0:1], v[50:51], v[52:53]
	s_wait_loadcnt 0x0
	s_delay_alu instid0(VALU_DEP_4) | instskip(NEXT) | instid1(VALU_DEP_4)
	v_fmac_f64_e32 v[16:17], v[56:57], v[52:53]
	v_fmac_f64_e32 v[12:13], v[58:59], v[52:53]
	s_delay_alu instid0(VALU_DEP_4) | instskip(NEXT) | instid1(VALU_DEP_4)
	v_fma_f64 v[14:15], -v[50:51], v[54:55], v[14:15]
	v_fmac_f64_e32 v[0:1], v[48:49], v[54:55]
	s_delay_alu instid0(VALU_DEP_4) | instskip(NEXT) | instid1(VALU_DEP_4)
	v_fma_f64 v[16:17], -v[58:59], v[54:55], v[16:17]
	v_fmac_f64_e32 v[12:13], v[56:57], v[54:55]
	s_cbranch_scc0 .LBB296_16
; %bb.17:                               ;   in Loop: Header=BB296_15 Depth=1
	v_add_nc_u32_e32 v20, 32, v20
	v_add_nc_u32_e32 v18, 0x3c0, v18
	;; [unrolled: 1-line block ×3, first 2 shown]
	s_delay_alu instid0(VALU_DEP_3) | instskip(SKIP_1) | instid1(SALU_CYCLE_1)
	v_cmp_ge_i32_e32 vcc_lo, v20, v19
	s_or_b32 s2, vcc_lo, s2
	s_and_not1_b32 exec_lo, exec_lo, s2
	s_cbranch_execnz .LBB296_15
; %bb.18:
	s_or_b32 exec_lo, exec_lo, s2
.LBB296_19:
	s_delay_alu instid0(SALU_CYCLE_1)
	s_or_b32 exec_lo, exec_lo, s3
.LBB296_20:
	v_mbcnt_lo_u32_b32 v28, -1, 0
	s_delay_alu instid0(VALU_DEP_1) | instskip(NEXT) | instid1(VALU_DEP_1)
	v_xor_b32_e32 v18, 16, v28
	v_cmp_gt_i32_e32 vcc_lo, 32, v18
	v_cndmask_b32_e32 v18, v28, v18, vcc_lo
	s_delay_alu instid0(VALU_DEP_1)
	v_lshlrev_b32_e32 v25, 2, v18
	ds_bpermute_b32 v20, v25, v0
	ds_bpermute_b32 v21, v25, v1
	s_wait_dscnt 0x0
	v_add_f64_e32 v[0:1], v[0:1], v[20:21]
	ds_bpermute_b32 v18, v25, v14
	ds_bpermute_b32 v19, v25, v15
	;; [unrolled: 1-line block ×6, first 2 shown]
	s_wait_dscnt 0x4
	v_dual_add_f64 v[14:15], v[14:15], v[18:19] :: v_dual_bitop2_b32 v18, 8, v28 bitop3:0x14
	s_wait_dscnt 0x2
	v_add_f64_e32 v[16:17], v[16:17], v[22:23]
	s_delay_alu instid0(VALU_DEP_2) | instskip(SKIP_2) | instid1(VALU_DEP_1)
	v_cmp_gt_i32_e32 vcc_lo, 32, v18
	v_cndmask_b32_e32 v18, v28, v18, vcc_lo
	s_wait_dscnt 0x0
	v_dual_add_f64 v[12:13], v[12:13], v[24:25] :: v_dual_lshlrev_b32 v25, 2, v18
	ds_bpermute_b32 v20, v25, v0
	ds_bpermute_b32 v21, v25, v1
	;; [unrolled: 1-line block ×8, first 2 shown]
	s_wait_dscnt 0x4
	v_dual_add_f64 v[14:15], v[14:15], v[18:19] :: v_dual_bitop2_b32 v18, 4, v28 bitop3:0x14
	s_wait_dscnt 0x2
	v_add_f64_e32 v[16:17], v[16:17], v[22:23]
	s_delay_alu instid0(VALU_DEP_2) | instskip(SKIP_3) | instid1(VALU_DEP_2)
	v_cmp_gt_i32_e32 vcc_lo, 32, v18
	v_cndmask_b32_e32 v18, v28, v18, vcc_lo
	v_add_f64_e32 v[0:1], v[0:1], v[20:21]
	s_wait_dscnt 0x0
	v_dual_add_f64 v[12:13], v[12:13], v[24:25] :: v_dual_lshlrev_b32 v25, 2, v18
	ds_bpermute_b32 v18, v25, v14
	ds_bpermute_b32 v19, v25, v15
	;; [unrolled: 1-line block ×8, first 2 shown]
	s_wait_dscnt 0x6
	v_add_f64_e32 v[14:15], v[14:15], v[18:19]
	s_wait_dscnt 0x2
	v_add_f64_e32 v[18:19], v[0:1], v[20:21]
	v_add_f64_e32 v[20:21], v[16:17], v[22:23]
	s_wait_dscnt 0x0
	v_add_f64_e32 v[22:23], v[12:13], v[24:25]
	v_xor_b32_e32 v0, 2, v28
	s_delay_alu instid0(VALU_DEP_1) | instskip(SKIP_1) | instid1(VALU_DEP_1)
	v_cmp_gt_i32_e32 vcc_lo, 32, v0
	v_cndmask_b32_e32 v0, v28, v0, vcc_lo
	v_lshlrev_b32_e32 v16, 2, v0
	ds_bpermute_b32 v0, v16, v14
	ds_bpermute_b32 v1, v16, v15
	;; [unrolled: 1-line block ×8, first 2 shown]
	s_wait_dscnt 0x4
	v_add_f64_e32 v[16:17], v[18:19], v[12:13]
	v_xor_b32_e32 v18, 1, v28
	s_wait_dscnt 0x2
	v_add_f64_e32 v[12:13], v[20:21], v[24:25]
	s_delay_alu instid0(VALU_DEP_2)
	v_cmp_gt_i32_e32 vcc_lo, 32, v18
	v_add_f64_e32 v[0:1], v[14:15], v[0:1]
	s_wait_dscnt 0x0
	v_add_f64_e32 v[14:15], v[22:23], v[26:27]
	v_cndmask_b32_e32 v18, v28, v18, vcc_lo
	v_cmp_eq_u32_e32 vcc_lo, 31, v11
	s_delay_alu instid0(VALU_DEP_2)
	v_lshlrev_b32_e32 v21, 2, v18
	ds_bpermute_b32 v22, v21, v16
	ds_bpermute_b32 v23, v21, v17
	;; [unrolled: 1-line block ×8, first 2 shown]
	s_and_b32 exec_lo, exec_lo, vcc_lo
	s_cbranch_execz .LBB296_25
; %bb.21:
	v_cmp_eq_f64_e32 vcc_lo, 0, v[6:7]
	v_cmp_eq_f64_e64 s2, 0, v[8:9]
	s_wait_dscnt 0x2
	v_add_f64_e32 v[0:1], v[0:1], v[24:25]
	v_add_f64_e32 v[16:17], v[16:17], v[22:23]
	;; [unrolled: 1-line block ×3, first 2 shown]
	s_wait_dscnt 0x0
	v_add_f64_e32 v[14:15], v[14:15], v[20:21]
	s_load_b64 s[0:1], s[0:1], 0x48
	s_and_b32 s2, vcc_lo, s2
	s_delay_alu instid0(SALU_CYCLE_1) | instskip(NEXT) | instid1(SALU_CYCLE_1)
	s_and_saveexec_b32 s3, s2
	s_xor_b32 s2, exec_lo, s3
	s_cbranch_execz .LBB296_23
; %bb.22:
	s_delay_alu instid0(VALU_DEP_3) | instskip(SKIP_1) | instid1(VALU_DEP_3)
	v_mul_f64_e64 v[6:7], v[16:17], -v[4:5]
	v_mul_f64_e32 v[8:9], v[2:3], v[16:17]
	v_mul_f64_e64 v[16:17], v[14:15], -v[4:5]
	v_mul_f64_e32 v[18:19], v[2:3], v[14:15]
                                        ; implicit-def: $vgpr14_vgpr15
	s_delay_alu instid0(VALU_DEP_4) | instskip(NEXT) | instid1(VALU_DEP_4)
	v_fmac_f64_e32 v[6:7], v[2:3], v[0:1]
	v_fmac_f64_e32 v[8:9], v[4:5], v[0:1]
	s_delay_alu instid0(VALU_DEP_4) | instskip(NEXT) | instid1(VALU_DEP_4)
	v_fmac_f64_e32 v[16:17], v[2:3], v[12:13]
	v_fmac_f64_e32 v[18:19], v[4:5], v[12:13]
	v_lshlrev_b32_e32 v0, 1, v10
                                        ; implicit-def: $vgpr10
                                        ; implicit-def: $vgpr12_vgpr13
                                        ; implicit-def: $vgpr4_vgpr5
	s_wait_kmcnt 0x0
	s_clause 0x1
	global_store_b128 v0, v[6:9], s[0:1] scale_offset
	global_store_b128 v0, v[16:19], s[0:1] offset:16 scale_offset
                                        ; implicit-def: $vgpr0_vgpr1
                                        ; implicit-def: $vgpr16_vgpr17
                                        ; implicit-def: $vgpr8_vgpr9
.LBB296_23:
	s_wait_xcnt 0x0
	s_and_not1_saveexec_b32 s2, s2
	s_cbranch_execz .LBB296_25
; %bb.24:
	s_delay_alu instid0(VALU_DEP_3) | instskip(SKIP_1) | instid1(VALU_DEP_3)
	v_dual_mul_f64 v[26:27], v[16:17], -v[4:5] :: v_dual_lshlrev_b32 v30, 1, v10
	v_mul_f64_e32 v[16:17], v[2:3], v[16:17]
	v_mul_f64_e64 v[28:29], v[14:15], -v[4:5]
	v_mul_f64_e32 v[10:11], v[2:3], v[14:15]
	s_wait_kmcnt 0x0
	s_clause 0x1
	global_load_b128 v[18:21], v30, s[0:1] scale_offset
	global_load_b128 v[22:25], v30, s[0:1] offset:16 scale_offset
	v_fmac_f64_e32 v[26:27], v[2:3], v[0:1]
	v_fmac_f64_e32 v[16:17], v[4:5], v[0:1]
	;; [unrolled: 1-line block ×4, first 2 shown]
	s_wait_loadcnt 0x1
	s_delay_alu instid0(VALU_DEP_4) | instskip(NEXT) | instid1(VALU_DEP_4)
	v_fmac_f64_e32 v[26:27], v[6:7], v[18:19]
	v_fmac_f64_e32 v[16:17], v[8:9], v[18:19]
	s_wait_loadcnt 0x0
	s_delay_alu instid0(VALU_DEP_4) | instskip(NEXT) | instid1(VALU_DEP_4)
	v_fmac_f64_e32 v[28:29], v[6:7], v[22:23]
	v_fmac_f64_e32 v[10:11], v[8:9], v[22:23]
	s_delay_alu instid0(VALU_DEP_4) | instskip(NEXT) | instid1(VALU_DEP_4)
	v_fma_f64 v[14:15], -v[8:9], v[20:21], v[26:27]
	v_fmac_f64_e32 v[16:17], v[6:7], v[20:21]
	s_delay_alu instid0(VALU_DEP_4) | instskip(NEXT) | instid1(VALU_DEP_4)
	v_fma_f64 v[8:9], -v[8:9], v[24:25], v[28:29]
	v_fmac_f64_e32 v[10:11], v[6:7], v[24:25]
	s_clause 0x1
	global_store_b128 v30, v[14:17], s[0:1] scale_offset
	global_store_b128 v30, v[8:11], s[0:1] offset:16 scale_offset
.LBB296_25:
	s_endpgm
	.section	.rodata,"a",@progbits
	.p2align	6, 0x0
	.amdhsa_kernel _ZN9rocsparseL19gebsrmvn_2xn_kernelILj128ELj15ELj32E21rocsparse_complex_numIdEEEvi20rocsparse_direction_NS_24const_host_device_scalarIT2_EEPKiS8_PKS5_SA_S6_PS5_21rocsparse_index_base_b
		.amdhsa_group_segment_fixed_size 0
		.amdhsa_private_segment_fixed_size 0
		.amdhsa_kernarg_size 88
		.amdhsa_user_sgpr_count 2
		.amdhsa_user_sgpr_dispatch_ptr 0
		.amdhsa_user_sgpr_queue_ptr 0
		.amdhsa_user_sgpr_kernarg_segment_ptr 1
		.amdhsa_user_sgpr_dispatch_id 0
		.amdhsa_user_sgpr_kernarg_preload_length 0
		.amdhsa_user_sgpr_kernarg_preload_offset 0
		.amdhsa_user_sgpr_private_segment_size 0
		.amdhsa_wavefront_size32 1
		.amdhsa_uses_dynamic_stack 0
		.amdhsa_enable_private_segment 0
		.amdhsa_system_sgpr_workgroup_id_x 1
		.amdhsa_system_sgpr_workgroup_id_y 0
		.amdhsa_system_sgpr_workgroup_id_z 0
		.amdhsa_system_sgpr_workgroup_info 0
		.amdhsa_system_vgpr_workitem_id 0
		.amdhsa_next_free_vgpr 63
		.amdhsa_next_free_sgpr 14
		.amdhsa_named_barrier_count 0
		.amdhsa_reserve_vcc 1
		.amdhsa_float_round_mode_32 0
		.amdhsa_float_round_mode_16_64 0
		.amdhsa_float_denorm_mode_32 3
		.amdhsa_float_denorm_mode_16_64 3
		.amdhsa_fp16_overflow 0
		.amdhsa_memory_ordered 1
		.amdhsa_forward_progress 1
		.amdhsa_inst_pref_size 18
		.amdhsa_round_robin_scheduling 0
		.amdhsa_exception_fp_ieee_invalid_op 0
		.amdhsa_exception_fp_denorm_src 0
		.amdhsa_exception_fp_ieee_div_zero 0
		.amdhsa_exception_fp_ieee_overflow 0
		.amdhsa_exception_fp_ieee_underflow 0
		.amdhsa_exception_fp_ieee_inexact 0
		.amdhsa_exception_int_div_zero 0
	.end_amdhsa_kernel
	.section	.text._ZN9rocsparseL19gebsrmvn_2xn_kernelILj128ELj15ELj32E21rocsparse_complex_numIdEEEvi20rocsparse_direction_NS_24const_host_device_scalarIT2_EEPKiS8_PKS5_SA_S6_PS5_21rocsparse_index_base_b,"axG",@progbits,_ZN9rocsparseL19gebsrmvn_2xn_kernelILj128ELj15ELj32E21rocsparse_complex_numIdEEEvi20rocsparse_direction_NS_24const_host_device_scalarIT2_EEPKiS8_PKS5_SA_S6_PS5_21rocsparse_index_base_b,comdat
.Lfunc_end296:
	.size	_ZN9rocsparseL19gebsrmvn_2xn_kernelILj128ELj15ELj32E21rocsparse_complex_numIdEEEvi20rocsparse_direction_NS_24const_host_device_scalarIT2_EEPKiS8_PKS5_SA_S6_PS5_21rocsparse_index_base_b, .Lfunc_end296-_ZN9rocsparseL19gebsrmvn_2xn_kernelILj128ELj15ELj32E21rocsparse_complex_numIdEEEvi20rocsparse_direction_NS_24const_host_device_scalarIT2_EEPKiS8_PKS5_SA_S6_PS5_21rocsparse_index_base_b
                                        ; -- End function
	.set _ZN9rocsparseL19gebsrmvn_2xn_kernelILj128ELj15ELj32E21rocsparse_complex_numIdEEEvi20rocsparse_direction_NS_24const_host_device_scalarIT2_EEPKiS8_PKS5_SA_S6_PS5_21rocsparse_index_base_b.num_vgpr, 63
	.set _ZN9rocsparseL19gebsrmvn_2xn_kernelILj128ELj15ELj32E21rocsparse_complex_numIdEEEvi20rocsparse_direction_NS_24const_host_device_scalarIT2_EEPKiS8_PKS5_SA_S6_PS5_21rocsparse_index_base_b.num_agpr, 0
	.set _ZN9rocsparseL19gebsrmvn_2xn_kernelILj128ELj15ELj32E21rocsparse_complex_numIdEEEvi20rocsparse_direction_NS_24const_host_device_scalarIT2_EEPKiS8_PKS5_SA_S6_PS5_21rocsparse_index_base_b.numbered_sgpr, 14
	.set _ZN9rocsparseL19gebsrmvn_2xn_kernelILj128ELj15ELj32E21rocsparse_complex_numIdEEEvi20rocsparse_direction_NS_24const_host_device_scalarIT2_EEPKiS8_PKS5_SA_S6_PS5_21rocsparse_index_base_b.num_named_barrier, 0
	.set _ZN9rocsparseL19gebsrmvn_2xn_kernelILj128ELj15ELj32E21rocsparse_complex_numIdEEEvi20rocsparse_direction_NS_24const_host_device_scalarIT2_EEPKiS8_PKS5_SA_S6_PS5_21rocsparse_index_base_b.private_seg_size, 0
	.set _ZN9rocsparseL19gebsrmvn_2xn_kernelILj128ELj15ELj32E21rocsparse_complex_numIdEEEvi20rocsparse_direction_NS_24const_host_device_scalarIT2_EEPKiS8_PKS5_SA_S6_PS5_21rocsparse_index_base_b.uses_vcc, 1
	.set _ZN9rocsparseL19gebsrmvn_2xn_kernelILj128ELj15ELj32E21rocsparse_complex_numIdEEEvi20rocsparse_direction_NS_24const_host_device_scalarIT2_EEPKiS8_PKS5_SA_S6_PS5_21rocsparse_index_base_b.uses_flat_scratch, 0
	.set _ZN9rocsparseL19gebsrmvn_2xn_kernelILj128ELj15ELj32E21rocsparse_complex_numIdEEEvi20rocsparse_direction_NS_24const_host_device_scalarIT2_EEPKiS8_PKS5_SA_S6_PS5_21rocsparse_index_base_b.has_dyn_sized_stack, 0
	.set _ZN9rocsparseL19gebsrmvn_2xn_kernelILj128ELj15ELj32E21rocsparse_complex_numIdEEEvi20rocsparse_direction_NS_24const_host_device_scalarIT2_EEPKiS8_PKS5_SA_S6_PS5_21rocsparse_index_base_b.has_recursion, 0
	.set _ZN9rocsparseL19gebsrmvn_2xn_kernelILj128ELj15ELj32E21rocsparse_complex_numIdEEEvi20rocsparse_direction_NS_24const_host_device_scalarIT2_EEPKiS8_PKS5_SA_S6_PS5_21rocsparse_index_base_b.has_indirect_call, 0
	.section	.AMDGPU.csdata,"",@progbits
; Kernel info:
; codeLenInByte = 2280
; TotalNumSgprs: 16
; NumVgprs: 63
; ScratchSize: 0
; MemoryBound: 0
; FloatMode: 240
; IeeeMode: 1
; LDSByteSize: 0 bytes/workgroup (compile time only)
; SGPRBlocks: 0
; VGPRBlocks: 3
; NumSGPRsForWavesPerEU: 16
; NumVGPRsForWavesPerEU: 63
; NamedBarCnt: 0
; Occupancy: 16
; WaveLimiterHint : 1
; COMPUTE_PGM_RSRC2:SCRATCH_EN: 0
; COMPUTE_PGM_RSRC2:USER_SGPR: 2
; COMPUTE_PGM_RSRC2:TRAP_HANDLER: 0
; COMPUTE_PGM_RSRC2:TGID_X_EN: 1
; COMPUTE_PGM_RSRC2:TGID_Y_EN: 0
; COMPUTE_PGM_RSRC2:TGID_Z_EN: 0
; COMPUTE_PGM_RSRC2:TIDIG_COMP_CNT: 0
	.section	.text._ZN9rocsparseL19gebsrmvn_2xn_kernelILj128ELj15ELj64E21rocsparse_complex_numIdEEEvi20rocsparse_direction_NS_24const_host_device_scalarIT2_EEPKiS8_PKS5_SA_S6_PS5_21rocsparse_index_base_b,"axG",@progbits,_ZN9rocsparseL19gebsrmvn_2xn_kernelILj128ELj15ELj64E21rocsparse_complex_numIdEEEvi20rocsparse_direction_NS_24const_host_device_scalarIT2_EEPKiS8_PKS5_SA_S6_PS5_21rocsparse_index_base_b,comdat
	.globl	_ZN9rocsparseL19gebsrmvn_2xn_kernelILj128ELj15ELj64E21rocsparse_complex_numIdEEEvi20rocsparse_direction_NS_24const_host_device_scalarIT2_EEPKiS8_PKS5_SA_S6_PS5_21rocsparse_index_base_b ; -- Begin function _ZN9rocsparseL19gebsrmvn_2xn_kernelILj128ELj15ELj64E21rocsparse_complex_numIdEEEvi20rocsparse_direction_NS_24const_host_device_scalarIT2_EEPKiS8_PKS5_SA_S6_PS5_21rocsparse_index_base_b
	.p2align	8
	.type	_ZN9rocsparseL19gebsrmvn_2xn_kernelILj128ELj15ELj64E21rocsparse_complex_numIdEEEvi20rocsparse_direction_NS_24const_host_device_scalarIT2_EEPKiS8_PKS5_SA_S6_PS5_21rocsparse_index_base_b,@function
_ZN9rocsparseL19gebsrmvn_2xn_kernelILj128ELj15ELj64E21rocsparse_complex_numIdEEEvi20rocsparse_direction_NS_24const_host_device_scalarIT2_EEPKiS8_PKS5_SA_S6_PS5_21rocsparse_index_base_b: ; @_ZN9rocsparseL19gebsrmvn_2xn_kernelILj128ELj15ELj64E21rocsparse_complex_numIdEEEvi20rocsparse_direction_NS_24const_host_device_scalarIT2_EEPKiS8_PKS5_SA_S6_PS5_21rocsparse_index_base_b
; %bb.0:
	s_clause 0x1
	s_load_b64 s[12:13], s[0:1], 0x50
	s_load_b64 s[2:3], s[0:1], 0x8
	v_mov_b32_e32 v1, 0
	s_add_nc_u64 s[4:5], s[0:1], 8
	s_load_b64 s[6:7], s[0:1], 0x38
	s_wait_kmcnt 0x0
	s_bitcmp1_b32 s13, 0
	s_cselect_b32 s3, s5, s3
	s_cselect_b32 s2, s4, s2
	flat_load_b128 v[2:5], v1, s[2:3]
	s_wait_xcnt 0x0
	s_add_nc_u64 s[2:3], s[0:1], 56
	s_delay_alu instid0(SALU_CYCLE_1)
	s_cselect_b32 s3, s3, s7
	s_cselect_b32 s2, s2, s6
	flat_load_b128 v[6:9], v1, s[2:3]
	s_wait_loadcnt_dscnt 0x101
	v_cmp_eq_f64_e32 vcc_lo, 0, v[2:3]
	s_wait_xcnt 0x0
	v_cmp_eq_f64_e64 s2, 0, v[4:5]
	s_and_b32 s4, vcc_lo, s2
	s_mov_b32 s2, -1
	s_and_saveexec_b32 s3, s4
	s_cbranch_execz .LBB297_2
; %bb.1:
	s_wait_loadcnt_dscnt 0x0
	v_cmp_neq_f64_e32 vcc_lo, 1.0, v[6:7]
	v_cmp_neq_f64_e64 s2, 0, v[8:9]
	s_or_b32 s2, vcc_lo, s2
	s_delay_alu instid0(SALU_CYCLE_1)
	s_or_not1_b32 s2, s2, exec_lo
.LBB297_2:
	s_or_b32 exec_lo, exec_lo, s3
	s_and_saveexec_b32 s3, s2
	s_cbranch_execz .LBB297_25
; %bb.3:
	s_load_b64 s[2:3], s[0:1], 0x0
	s_bfe_u32 s4, ttmp6, 0x4000c
	s_and_b32 s5, ttmp6, 15
	s_add_co_i32 s4, s4, 1
	s_getreg_b32 s6, hwreg(HW_REG_IB_STS2, 6, 4)
	s_mul_i32 s4, ttmp9, s4
	v_lshrrev_b32_e32 v1, 6, v0
	s_add_co_i32 s5, s5, s4
	s_cmp_eq_u32 s6, 0
	s_cselect_b32 s4, ttmp9, s5
	s_delay_alu instid0(VALU_DEP_1) | instid1(SALU_CYCLE_1)
	v_lshl_or_b32 v10, s4, 1, v1
	s_wait_kmcnt 0x0
	s_delay_alu instid0(VALU_DEP_1)
	v_cmp_gt_i32_e32 vcc_lo, s2, v10
	s_and_b32 exec_lo, exec_lo, vcc_lo
	s_cbranch_execz .LBB297_25
; %bb.4:
	s_load_b256 s[4:11], s[0:1], 0x18
	v_ashrrev_i32_e32 v11, 31, v10
	s_cmp_lg_u32 s3, 0
	s_wait_kmcnt 0x0
	s_delay_alu instid0(VALU_DEP_1)
	v_lshl_add_u64 v[12:13], v[10:11], 2, s[4:5]
	v_and_b32_e32 v11, 63, v0
	global_load_b64 v[18:19], v[12:13], off
	s_wait_loadcnt 0x0
	v_subrev_nc_u32_e32 v0, s12, v18
	v_subrev_nc_u32_e32 v19, s12, v19
	s_delay_alu instid0(VALU_DEP_2) | instskip(NEXT) | instid1(VALU_DEP_1)
	v_add_nc_u32_e32 v20, v0, v11
	v_cmp_lt_i32_e64 s2, v20, v19
	s_cbranch_scc0 .LBB297_12
; %bb.5:
	v_mov_b64_e32 v[0:1], 0
	v_mov_b64_e32 v[14:15], 0
	;; [unrolled: 1-line block ×4, first 2 shown]
	s_and_saveexec_b32 s3, s2
	s_cbranch_execz .LBB297_11
; %bb.6:
	v_mul_lo_u32 v21, v20, 30
	v_mov_b64_e32 v[0:1], 0
	v_mov_b64_e32 v[14:15], 0
	;; [unrolled: 1-line block ×4, first 2 shown]
	v_mov_b32_e32 v22, v20
	s_mov_b32 s4, 0
.LBB297_7:                              ; =>This Loop Header: Depth=1
                                        ;     Child Loop BB297_8 Depth 2
	global_load_b32 v23, v22, s[6:7] scale_offset
	v_mov_b32_e32 v24, v21
	s_mov_b32 s5, 0
	s_wait_loadcnt 0x0
	v_subrev_nc_u32_e32 v23, s12, v23
	s_delay_alu instid0(VALU_DEP_1)
	v_mul_lo_u32 v23, v23, 15
.LBB297_8:                              ;   Parent Loop BB297_7 Depth=1
                                        ; =>  This Inner Loop Header: Depth=2
	s_delay_alu instid0(VALU_DEP_1)
	v_dual_add_nc_u32 v25, s5, v23 :: v_dual_add_nc_u32 v50, 2, v24
	s_add_co_i32 s5, s5, 3
	s_clause 0x1
	global_load_b128 v[26:29], v24, s[8:9] offset:16 scale_offset
	global_load_b128 v[30:33], v24, s[8:9] scale_offset
	global_load_b128 v[34:37], v25, s[10:11] scale_offset
	s_cmp_eq_u32 s5, 15
	v_dual_add_nc_u32 v51, 1, v25 :: v_dual_add_nc_u32 v62, 4, v24
	s_wait_xcnt 0x0
	v_dual_add_nc_u32 v25, 2, v25 :: v_dual_add_nc_u32 v24, 6, v24
	s_clause 0x1
	global_load_b128 v[38:41], v50, s[8:9] offset:16 scale_offset
	global_load_b128 v[42:45], v50, s[8:9] scale_offset
	global_load_b128 v[46:49], v51, s[10:11] scale_offset
	s_clause 0x1
	global_load_b128 v[50:53], v62, s[8:9] offset:16 scale_offset
	global_load_b128 v[54:57], v62, s[8:9] scale_offset
	global_load_b128 v[58:61], v25, s[10:11] scale_offset
	s_wait_loadcnt 0x6
	v_fmac_f64_e32 v[14:15], v[30:31], v[34:35]
	v_fmac_f64_e32 v[0:1], v[32:33], v[34:35]
	v_fmac_f64_e32 v[16:17], v[26:27], v[34:35]
	v_fmac_f64_e32 v[12:13], v[28:29], v[34:35]
	s_delay_alu instid0(VALU_DEP_4) | instskip(NEXT) | instid1(VALU_DEP_4)
	v_fma_f64 v[14:15], -v[32:33], v[36:37], v[14:15]
	v_fmac_f64_e32 v[0:1], v[30:31], v[36:37]
	s_delay_alu instid0(VALU_DEP_4) | instskip(NEXT) | instid1(VALU_DEP_4)
	v_fma_f64 v[16:17], -v[28:29], v[36:37], v[16:17]
	v_fmac_f64_e32 v[12:13], v[26:27], v[36:37]
	s_wait_loadcnt 0x3
	s_delay_alu instid0(VALU_DEP_4) | instskip(NEXT) | instid1(VALU_DEP_4)
	v_fmac_f64_e32 v[14:15], v[42:43], v[46:47]
	v_fmac_f64_e32 v[0:1], v[44:45], v[46:47]
	s_delay_alu instid0(VALU_DEP_4) | instskip(NEXT) | instid1(VALU_DEP_4)
	v_fmac_f64_e32 v[16:17], v[38:39], v[46:47]
	v_fmac_f64_e32 v[12:13], v[40:41], v[46:47]
	s_delay_alu instid0(VALU_DEP_4) | instskip(NEXT) | instid1(VALU_DEP_4)
	v_fma_f64 v[14:15], -v[44:45], v[48:49], v[14:15]
	v_fmac_f64_e32 v[0:1], v[42:43], v[48:49]
	s_delay_alu instid0(VALU_DEP_4) | instskip(NEXT) | instid1(VALU_DEP_4)
	v_fma_f64 v[16:17], -v[40:41], v[48:49], v[16:17]
	v_fmac_f64_e32 v[12:13], v[38:39], v[48:49]
	s_wait_loadcnt 0x0
	s_delay_alu instid0(VALU_DEP_4) | instskip(NEXT) | instid1(VALU_DEP_4)
	v_fmac_f64_e32 v[14:15], v[54:55], v[58:59]
	v_fmac_f64_e32 v[0:1], v[56:57], v[58:59]
	s_delay_alu instid0(VALU_DEP_4) | instskip(NEXT) | instid1(VALU_DEP_4)
	v_fmac_f64_e32 v[16:17], v[50:51], v[58:59]
	v_fmac_f64_e32 v[12:13], v[52:53], v[58:59]
	s_delay_alu instid0(VALU_DEP_4) | instskip(NEXT) | instid1(VALU_DEP_4)
	v_fma_f64 v[14:15], -v[56:57], v[60:61], v[14:15]
	v_fmac_f64_e32 v[0:1], v[54:55], v[60:61]
	s_delay_alu instid0(VALU_DEP_4) | instskip(NEXT) | instid1(VALU_DEP_4)
	v_fma_f64 v[16:17], -v[52:53], v[60:61], v[16:17]
	v_fmac_f64_e32 v[12:13], v[50:51], v[60:61]
	s_cbranch_scc0 .LBB297_8
; %bb.9:                                ;   in Loop: Header=BB297_7 Depth=1
	v_add_nc_u32_e32 v22, 64, v22
	v_add_nc_u32_e32 v21, 0x780, v21
	s_delay_alu instid0(VALU_DEP_2) | instskip(SKIP_1) | instid1(SALU_CYCLE_1)
	v_cmp_ge_i32_e32 vcc_lo, v22, v19
	s_or_b32 s4, vcc_lo, s4
	s_and_not1_b32 exec_lo, exec_lo, s4
	s_cbranch_execnz .LBB297_7
; %bb.10:
	s_or_b32 exec_lo, exec_lo, s4
.LBB297_11:
	s_delay_alu instid0(SALU_CYCLE_1)
	s_or_b32 exec_lo, exec_lo, s3
	s_cbranch_execz .LBB297_13
	s_branch .LBB297_20
.LBB297_12:
                                        ; implicit-def: $vgpr0_vgpr1
                                        ; implicit-def: $vgpr14_vgpr15
                                        ; implicit-def: $vgpr16_vgpr17
                                        ; implicit-def: $vgpr12_vgpr13
.LBB297_13:
	v_mov_b64_e32 v[0:1], 0
	v_mov_b64_e32 v[14:15], 0
	;; [unrolled: 1-line block ×4, first 2 shown]
	s_and_saveexec_b32 s3, s2
	s_cbranch_execz .LBB297_19
; %bb.14:
	v_mul_u32_u24_e32 v0, 30, v11
	s_mul_i32 s2, s12, 30
	v_mov_b64_e32 v[14:15], 0
	v_mov_b64_e32 v[16:17], 0
	v_mov_b64_e32 v[12:13], 0
	v_mad_u32 v21, v18, 30, v0
	v_mul_lo_u32 v18, v20, 30
	v_mov_b64_e32 v[0:1], 0
	s_delay_alu instid0(VALU_DEP_3)
	v_subrev_nc_u32_e32 v21, s2, v21
	s_mov_b32 s2, 0
.LBB297_15:                             ; =>This Loop Header: Depth=1
                                        ;     Child Loop BB297_16 Depth 2
	global_load_b32 v22, v20, s[6:7] scale_offset
	s_mov_b32 s4, 0
	s_wait_loadcnt 0x0
	v_subrev_nc_u32_e32 v22, s12, v22
	s_delay_alu instid0(VALU_DEP_1)
	v_mul_lo_u32 v22, v22, 15
.LBB297_16:                             ;   Parent Loop BB297_15 Depth=1
                                        ; =>  This Inner Loop Header: Depth=2
	v_dual_add_nc_u32 v23, s4, v18 :: v_dual_add_nc_u32 v36, s4, v21
	s_delay_alu instid0(VALU_DEP_2) | instskip(SKIP_1) | instid1(SALU_CYCLE_1)
	v_add_nc_u32_e32 v48, s4, v22
	s_add_co_i32 s4, s4, 3
	s_cmp_eq_u32 s4, 15
	s_delay_alu instid0(VALU_DEP_2) | instskip(NEXT) | instid1(VALU_DEP_2)
	v_dual_add_nc_u32 v37, 15, v23 :: v_dual_add_nc_u32 v49, 1, v23
	v_add_nc_u32_e32 v50, 1, v48
	global_load_b128 v[24:27], v36, s[8:9] scale_offset
	global_load_b128 v[28:31], v48, s[10:11] scale_offset
	;; [unrolled: 1-line block ×3, first 2 shown]
	v_dual_add_nc_u32 v51, 16, v23 :: v_dual_add_nc_u32 v60, 2, v23
	global_load_b128 v[36:39], v49, s[8:9] scale_offset
	global_load_b128 v[40:43], v50, s[10:11] scale_offset
	;; [unrolled: 1-line block ×3, first 2 shown]
	v_dual_add_nc_u32 v61, 2, v48 :: v_dual_add_nc_u32 v23, 17, v23
	global_load_b128 v[48:51], v60, s[8:9] scale_offset
	global_load_b128 v[52:55], v61, s[10:11] scale_offset
	;; [unrolled: 1-line block ×3, first 2 shown]
	s_wait_loadcnt 0x7
	v_fmac_f64_e32 v[14:15], v[24:25], v[28:29]
	v_fmac_f64_e32 v[0:1], v[26:27], v[28:29]
	s_wait_loadcnt 0x6
	v_fmac_f64_e32 v[16:17], v[32:33], v[28:29]
	v_fmac_f64_e32 v[12:13], v[34:35], v[28:29]
	s_delay_alu instid0(VALU_DEP_4) | instskip(NEXT) | instid1(VALU_DEP_4)
	v_fma_f64 v[14:15], -v[26:27], v[30:31], v[14:15]
	v_fmac_f64_e32 v[0:1], v[24:25], v[30:31]
	s_delay_alu instid0(VALU_DEP_4) | instskip(NEXT) | instid1(VALU_DEP_4)
	v_fma_f64 v[16:17], -v[34:35], v[30:31], v[16:17]
	v_fmac_f64_e32 v[12:13], v[32:33], v[30:31]
	s_wait_loadcnt 0x4
	s_delay_alu instid0(VALU_DEP_4) | instskip(NEXT) | instid1(VALU_DEP_4)
	v_fmac_f64_e32 v[14:15], v[36:37], v[40:41]
	v_fmac_f64_e32 v[0:1], v[38:39], v[40:41]
	s_wait_loadcnt 0x3
	s_delay_alu instid0(VALU_DEP_4) | instskip(NEXT) | instid1(VALU_DEP_4)
	v_fmac_f64_e32 v[16:17], v[44:45], v[40:41]
	v_fmac_f64_e32 v[12:13], v[46:47], v[40:41]
	s_delay_alu instid0(VALU_DEP_4) | instskip(NEXT) | instid1(VALU_DEP_4)
	v_fma_f64 v[14:15], -v[38:39], v[42:43], v[14:15]
	v_fmac_f64_e32 v[0:1], v[36:37], v[42:43]
	s_delay_alu instid0(VALU_DEP_4) | instskip(NEXT) | instid1(VALU_DEP_4)
	v_fma_f64 v[16:17], -v[46:47], v[42:43], v[16:17]
	v_fmac_f64_e32 v[12:13], v[44:45], v[42:43]
	s_wait_loadcnt 0x1
	s_delay_alu instid0(VALU_DEP_4) | instskip(NEXT) | instid1(VALU_DEP_4)
	v_fmac_f64_e32 v[14:15], v[48:49], v[52:53]
	v_fmac_f64_e32 v[0:1], v[50:51], v[52:53]
	s_wait_loadcnt 0x0
	s_delay_alu instid0(VALU_DEP_4) | instskip(NEXT) | instid1(VALU_DEP_4)
	v_fmac_f64_e32 v[16:17], v[56:57], v[52:53]
	v_fmac_f64_e32 v[12:13], v[58:59], v[52:53]
	s_delay_alu instid0(VALU_DEP_4) | instskip(NEXT) | instid1(VALU_DEP_4)
	v_fma_f64 v[14:15], -v[50:51], v[54:55], v[14:15]
	v_fmac_f64_e32 v[0:1], v[48:49], v[54:55]
	s_delay_alu instid0(VALU_DEP_4) | instskip(NEXT) | instid1(VALU_DEP_4)
	v_fma_f64 v[16:17], -v[58:59], v[54:55], v[16:17]
	v_fmac_f64_e32 v[12:13], v[56:57], v[54:55]
	s_cbranch_scc0 .LBB297_16
; %bb.17:                               ;   in Loop: Header=BB297_15 Depth=1
	v_add_nc_u32_e32 v20, 64, v20
	v_add_nc_u32_e32 v18, 0x780, v18
	;; [unrolled: 1-line block ×3, first 2 shown]
	s_delay_alu instid0(VALU_DEP_3) | instskip(SKIP_1) | instid1(SALU_CYCLE_1)
	v_cmp_ge_i32_e32 vcc_lo, v20, v19
	s_or_b32 s2, vcc_lo, s2
	s_and_not1_b32 exec_lo, exec_lo, s2
	s_cbranch_execnz .LBB297_15
; %bb.18:
	s_or_b32 exec_lo, exec_lo, s2
.LBB297_19:
	s_delay_alu instid0(SALU_CYCLE_1)
	s_or_b32 exec_lo, exec_lo, s3
.LBB297_20:
	v_mbcnt_lo_u32_b32 v28, -1, 0
	s_delay_alu instid0(VALU_DEP_1) | instskip(NEXT) | instid1(VALU_DEP_1)
	v_or_b32_e32 v18, 32, v28
	v_cmp_gt_i32_e32 vcc_lo, 32, v18
	v_cndmask_b32_e32 v18, v28, v18, vcc_lo
	s_delay_alu instid0(VALU_DEP_1)
	v_lshlrev_b32_e32 v25, 2, v18
	ds_bpermute_b32 v20, v25, v0
	ds_bpermute_b32 v21, v25, v1
	s_wait_dscnt 0x0
	v_add_f64_e32 v[0:1], v[0:1], v[20:21]
	ds_bpermute_b32 v18, v25, v14
	ds_bpermute_b32 v19, v25, v15
	;; [unrolled: 1-line block ×6, first 2 shown]
	s_wait_dscnt 0x4
	v_dual_add_f64 v[14:15], v[14:15], v[18:19] :: v_dual_bitop2_b32 v18, 16, v28 bitop3:0x14
	s_wait_dscnt 0x2
	v_add_f64_e32 v[16:17], v[16:17], v[22:23]
	s_delay_alu instid0(VALU_DEP_2) | instskip(SKIP_2) | instid1(VALU_DEP_1)
	v_cmp_gt_i32_e32 vcc_lo, 32, v18
	v_cndmask_b32_e32 v18, v28, v18, vcc_lo
	s_wait_dscnt 0x0
	v_dual_add_f64 v[12:13], v[12:13], v[24:25] :: v_dual_lshlrev_b32 v25, 2, v18
	ds_bpermute_b32 v20, v25, v0
	ds_bpermute_b32 v21, v25, v1
	;; [unrolled: 1-line block ×8, first 2 shown]
	s_wait_dscnt 0x4
	v_dual_add_f64 v[14:15], v[14:15], v[18:19] :: v_dual_bitop2_b32 v18, 8, v28 bitop3:0x14
	s_wait_dscnt 0x2
	v_add_f64_e32 v[16:17], v[16:17], v[22:23]
	s_delay_alu instid0(VALU_DEP_2) | instskip(SKIP_3) | instid1(VALU_DEP_2)
	v_cmp_gt_i32_e32 vcc_lo, 32, v18
	v_cndmask_b32_e32 v18, v28, v18, vcc_lo
	v_add_f64_e32 v[0:1], v[0:1], v[20:21]
	s_wait_dscnt 0x0
	v_dual_add_f64 v[12:13], v[12:13], v[24:25] :: v_dual_lshlrev_b32 v25, 2, v18
	ds_bpermute_b32 v18, v25, v14
	ds_bpermute_b32 v19, v25, v15
	;; [unrolled: 1-line block ×5, first 2 shown]
	s_wait_dscnt 0x3
	v_dual_add_f64 v[14:15], v[14:15], v[18:19] :: v_dual_bitop2_b32 v18, 4, v28 bitop3:0x14
	ds_bpermute_b32 v22, v25, v16
	ds_bpermute_b32 v23, v25, v17
	;; [unrolled: 1-line block ×3, first 2 shown]
	v_cmp_gt_i32_e32 vcc_lo, 32, v18
	v_cndmask_b32_e32 v18, v28, v18, vcc_lo
	s_wait_dscnt 0x4
	v_add_f64_e32 v[0:1], v[0:1], v[20:21]
	s_wait_dscnt 0x1
	v_add_f64_e32 v[16:17], v[16:17], v[22:23]
	s_wait_dscnt 0x0
	v_dual_add_f64 v[12:13], v[12:13], v[24:25] :: v_dual_lshlrev_b32 v25, 2, v18
	ds_bpermute_b32 v18, v25, v14
	ds_bpermute_b32 v19, v25, v15
	ds_bpermute_b32 v20, v25, v0
	ds_bpermute_b32 v21, v25, v1
	s_wait_dscnt 0x2
	v_add_f64_e32 v[14:15], v[14:15], v[18:19]
	ds_bpermute_b32 v22, v25, v16
	ds_bpermute_b32 v23, v25, v17
	;; [unrolled: 1-line block ×4, first 2 shown]
	s_wait_dscnt 0x4
	v_add_f64_e32 v[18:19], v[0:1], v[20:21]
	v_xor_b32_e32 v0, 2, v28
	s_delay_alu instid0(VALU_DEP_1)
	v_cmp_gt_i32_e32 vcc_lo, 32, v0
	s_wait_dscnt 0x2
	v_add_f64_e32 v[20:21], v[16:17], v[22:23]
	v_cndmask_b32_e32 v0, v28, v0, vcc_lo
	s_wait_dscnt 0x0
	v_add_f64_e32 v[22:23], v[12:13], v[24:25]
	s_delay_alu instid0(VALU_DEP_2)
	v_lshlrev_b32_e32 v16, 2, v0
	ds_bpermute_b32 v0, v16, v14
	ds_bpermute_b32 v1, v16, v15
	;; [unrolled: 1-line block ×8, first 2 shown]
	s_wait_dscnt 0x6
	v_add_f64_e32 v[0:1], v[14:15], v[0:1]
	s_wait_dscnt 0x4
	v_add_f64_e32 v[16:17], v[18:19], v[12:13]
	v_xor_b32_e32 v18, 1, v28
	s_delay_alu instid0(VALU_DEP_1)
	v_cmp_gt_i32_e32 vcc_lo, 32, v18
	s_wait_dscnt 0x2
	v_add_f64_e32 v[12:13], v[20:21], v[24:25]
	v_cndmask_b32_e32 v18, v28, v18, vcc_lo
	s_wait_dscnt 0x0
	v_add_f64_e32 v[14:15], v[22:23], v[26:27]
	v_cmp_eq_u32_e32 vcc_lo, 63, v11
	s_delay_alu instid0(VALU_DEP_3)
	v_lshlrev_b32_e32 v21, 2, v18
	ds_bpermute_b32 v24, v21, v0
	ds_bpermute_b32 v25, v21, v1
	;; [unrolled: 1-line block ×8, first 2 shown]
	s_and_b32 exec_lo, exec_lo, vcc_lo
	s_cbranch_execz .LBB297_25
; %bb.21:
	v_cmp_eq_f64_e32 vcc_lo, 0, v[6:7]
	v_cmp_eq_f64_e64 s2, 0, v[8:9]
	s_wait_dscnt 0x6
	v_add_f64_e32 v[0:1], v[0:1], v[24:25]
	s_wait_dscnt 0x4
	v_add_f64_e32 v[16:17], v[16:17], v[22:23]
	;; [unrolled: 2-line block ×4, first 2 shown]
	s_load_b64 s[0:1], s[0:1], 0x48
	s_and_b32 s2, vcc_lo, s2
	s_delay_alu instid0(SALU_CYCLE_1) | instskip(NEXT) | instid1(SALU_CYCLE_1)
	s_and_saveexec_b32 s3, s2
	s_xor_b32 s2, exec_lo, s3
	s_cbranch_execz .LBB297_23
; %bb.22:
	s_delay_alu instid0(VALU_DEP_3) | instskip(SKIP_1) | instid1(VALU_DEP_3)
	v_mul_f64_e64 v[6:7], v[16:17], -v[4:5]
	v_mul_f64_e32 v[8:9], v[2:3], v[16:17]
	v_mul_f64_e64 v[16:17], v[14:15], -v[4:5]
	v_mul_f64_e32 v[18:19], v[2:3], v[14:15]
                                        ; implicit-def: $vgpr14_vgpr15
	s_delay_alu instid0(VALU_DEP_4) | instskip(NEXT) | instid1(VALU_DEP_4)
	v_fmac_f64_e32 v[6:7], v[2:3], v[0:1]
	v_fmac_f64_e32 v[8:9], v[4:5], v[0:1]
	s_delay_alu instid0(VALU_DEP_4) | instskip(NEXT) | instid1(VALU_DEP_4)
	v_fmac_f64_e32 v[16:17], v[2:3], v[12:13]
	v_fmac_f64_e32 v[18:19], v[4:5], v[12:13]
	v_lshlrev_b32_e32 v0, 1, v10
                                        ; implicit-def: $vgpr10
                                        ; implicit-def: $vgpr12_vgpr13
                                        ; implicit-def: $vgpr4_vgpr5
	s_wait_kmcnt 0x0
	s_clause 0x1
	global_store_b128 v0, v[6:9], s[0:1] scale_offset
	global_store_b128 v0, v[16:19], s[0:1] offset:16 scale_offset
                                        ; implicit-def: $vgpr0_vgpr1
                                        ; implicit-def: $vgpr16_vgpr17
                                        ; implicit-def: $vgpr8_vgpr9
.LBB297_23:
	s_wait_xcnt 0x0
	s_and_not1_saveexec_b32 s2, s2
	s_cbranch_execz .LBB297_25
; %bb.24:
	s_delay_alu instid0(VALU_DEP_3) | instskip(SKIP_1) | instid1(VALU_DEP_3)
	v_dual_mul_f64 v[26:27], v[16:17], -v[4:5] :: v_dual_lshlrev_b32 v30, 1, v10
	v_mul_f64_e32 v[16:17], v[2:3], v[16:17]
	v_mul_f64_e64 v[28:29], v[14:15], -v[4:5]
	v_mul_f64_e32 v[10:11], v[2:3], v[14:15]
	s_wait_kmcnt 0x0
	s_clause 0x1
	global_load_b128 v[18:21], v30, s[0:1] scale_offset
	global_load_b128 v[22:25], v30, s[0:1] offset:16 scale_offset
	v_fmac_f64_e32 v[26:27], v[2:3], v[0:1]
	v_fmac_f64_e32 v[16:17], v[4:5], v[0:1]
	;; [unrolled: 1-line block ×4, first 2 shown]
	s_wait_loadcnt 0x1
	s_delay_alu instid0(VALU_DEP_4) | instskip(NEXT) | instid1(VALU_DEP_4)
	v_fmac_f64_e32 v[26:27], v[6:7], v[18:19]
	v_fmac_f64_e32 v[16:17], v[8:9], v[18:19]
	s_wait_loadcnt 0x0
	s_delay_alu instid0(VALU_DEP_4) | instskip(NEXT) | instid1(VALU_DEP_4)
	v_fmac_f64_e32 v[28:29], v[6:7], v[22:23]
	v_fmac_f64_e32 v[10:11], v[8:9], v[22:23]
	s_delay_alu instid0(VALU_DEP_4) | instskip(NEXT) | instid1(VALU_DEP_4)
	v_fma_f64 v[14:15], -v[8:9], v[20:21], v[26:27]
	v_fmac_f64_e32 v[16:17], v[6:7], v[20:21]
	s_delay_alu instid0(VALU_DEP_4) | instskip(NEXT) | instid1(VALU_DEP_4)
	v_fma_f64 v[8:9], -v[8:9], v[24:25], v[28:29]
	v_fmac_f64_e32 v[10:11], v[6:7], v[24:25]
	s_clause 0x1
	global_store_b128 v30, v[14:17], s[0:1] scale_offset
	global_store_b128 v30, v[8:11], s[0:1] offset:16 scale_offset
.LBB297_25:
	s_endpgm
	.section	.rodata,"a",@progbits
	.p2align	6, 0x0
	.amdhsa_kernel _ZN9rocsparseL19gebsrmvn_2xn_kernelILj128ELj15ELj64E21rocsparse_complex_numIdEEEvi20rocsparse_direction_NS_24const_host_device_scalarIT2_EEPKiS8_PKS5_SA_S6_PS5_21rocsparse_index_base_b
		.amdhsa_group_segment_fixed_size 0
		.amdhsa_private_segment_fixed_size 0
		.amdhsa_kernarg_size 88
		.amdhsa_user_sgpr_count 2
		.amdhsa_user_sgpr_dispatch_ptr 0
		.amdhsa_user_sgpr_queue_ptr 0
		.amdhsa_user_sgpr_kernarg_segment_ptr 1
		.amdhsa_user_sgpr_dispatch_id 0
		.amdhsa_user_sgpr_kernarg_preload_length 0
		.amdhsa_user_sgpr_kernarg_preload_offset 0
		.amdhsa_user_sgpr_private_segment_size 0
		.amdhsa_wavefront_size32 1
		.amdhsa_uses_dynamic_stack 0
		.amdhsa_enable_private_segment 0
		.amdhsa_system_sgpr_workgroup_id_x 1
		.amdhsa_system_sgpr_workgroup_id_y 0
		.amdhsa_system_sgpr_workgroup_id_z 0
		.amdhsa_system_sgpr_workgroup_info 0
		.amdhsa_system_vgpr_workitem_id 0
		.amdhsa_next_free_vgpr 63
		.amdhsa_next_free_sgpr 14
		.amdhsa_named_barrier_count 0
		.amdhsa_reserve_vcc 1
		.amdhsa_float_round_mode_32 0
		.amdhsa_float_round_mode_16_64 0
		.amdhsa_float_denorm_mode_32 3
		.amdhsa_float_denorm_mode_16_64 3
		.amdhsa_fp16_overflow 0
		.amdhsa_memory_ordered 1
		.amdhsa_forward_progress 1
		.amdhsa_inst_pref_size 19
		.amdhsa_round_robin_scheduling 0
		.amdhsa_exception_fp_ieee_invalid_op 0
		.amdhsa_exception_fp_denorm_src 0
		.amdhsa_exception_fp_ieee_div_zero 0
		.amdhsa_exception_fp_ieee_overflow 0
		.amdhsa_exception_fp_ieee_underflow 0
		.amdhsa_exception_fp_ieee_inexact 0
		.amdhsa_exception_int_div_zero 0
	.end_amdhsa_kernel
	.section	.text._ZN9rocsparseL19gebsrmvn_2xn_kernelILj128ELj15ELj64E21rocsparse_complex_numIdEEEvi20rocsparse_direction_NS_24const_host_device_scalarIT2_EEPKiS8_PKS5_SA_S6_PS5_21rocsparse_index_base_b,"axG",@progbits,_ZN9rocsparseL19gebsrmvn_2xn_kernelILj128ELj15ELj64E21rocsparse_complex_numIdEEEvi20rocsparse_direction_NS_24const_host_device_scalarIT2_EEPKiS8_PKS5_SA_S6_PS5_21rocsparse_index_base_b,comdat
.Lfunc_end297:
	.size	_ZN9rocsparseL19gebsrmvn_2xn_kernelILj128ELj15ELj64E21rocsparse_complex_numIdEEEvi20rocsparse_direction_NS_24const_host_device_scalarIT2_EEPKiS8_PKS5_SA_S6_PS5_21rocsparse_index_base_b, .Lfunc_end297-_ZN9rocsparseL19gebsrmvn_2xn_kernelILj128ELj15ELj64E21rocsparse_complex_numIdEEEvi20rocsparse_direction_NS_24const_host_device_scalarIT2_EEPKiS8_PKS5_SA_S6_PS5_21rocsparse_index_base_b
                                        ; -- End function
	.set _ZN9rocsparseL19gebsrmvn_2xn_kernelILj128ELj15ELj64E21rocsparse_complex_numIdEEEvi20rocsparse_direction_NS_24const_host_device_scalarIT2_EEPKiS8_PKS5_SA_S6_PS5_21rocsparse_index_base_b.num_vgpr, 63
	.set _ZN9rocsparseL19gebsrmvn_2xn_kernelILj128ELj15ELj64E21rocsparse_complex_numIdEEEvi20rocsparse_direction_NS_24const_host_device_scalarIT2_EEPKiS8_PKS5_SA_S6_PS5_21rocsparse_index_base_b.num_agpr, 0
	.set _ZN9rocsparseL19gebsrmvn_2xn_kernelILj128ELj15ELj64E21rocsparse_complex_numIdEEEvi20rocsparse_direction_NS_24const_host_device_scalarIT2_EEPKiS8_PKS5_SA_S6_PS5_21rocsparse_index_base_b.numbered_sgpr, 14
	.set _ZN9rocsparseL19gebsrmvn_2xn_kernelILj128ELj15ELj64E21rocsparse_complex_numIdEEEvi20rocsparse_direction_NS_24const_host_device_scalarIT2_EEPKiS8_PKS5_SA_S6_PS5_21rocsparse_index_base_b.num_named_barrier, 0
	.set _ZN9rocsparseL19gebsrmvn_2xn_kernelILj128ELj15ELj64E21rocsparse_complex_numIdEEEvi20rocsparse_direction_NS_24const_host_device_scalarIT2_EEPKiS8_PKS5_SA_S6_PS5_21rocsparse_index_base_b.private_seg_size, 0
	.set _ZN9rocsparseL19gebsrmvn_2xn_kernelILj128ELj15ELj64E21rocsparse_complex_numIdEEEvi20rocsparse_direction_NS_24const_host_device_scalarIT2_EEPKiS8_PKS5_SA_S6_PS5_21rocsparse_index_base_b.uses_vcc, 1
	.set _ZN9rocsparseL19gebsrmvn_2xn_kernelILj128ELj15ELj64E21rocsparse_complex_numIdEEEvi20rocsparse_direction_NS_24const_host_device_scalarIT2_EEPKiS8_PKS5_SA_S6_PS5_21rocsparse_index_base_b.uses_flat_scratch, 0
	.set _ZN9rocsparseL19gebsrmvn_2xn_kernelILj128ELj15ELj64E21rocsparse_complex_numIdEEEvi20rocsparse_direction_NS_24const_host_device_scalarIT2_EEPKiS8_PKS5_SA_S6_PS5_21rocsparse_index_base_b.has_dyn_sized_stack, 0
	.set _ZN9rocsparseL19gebsrmvn_2xn_kernelILj128ELj15ELj64E21rocsparse_complex_numIdEEEvi20rocsparse_direction_NS_24const_host_device_scalarIT2_EEPKiS8_PKS5_SA_S6_PS5_21rocsparse_index_base_b.has_recursion, 0
	.set _ZN9rocsparseL19gebsrmvn_2xn_kernelILj128ELj15ELj64E21rocsparse_complex_numIdEEEvi20rocsparse_direction_NS_24const_host_device_scalarIT2_EEPKiS8_PKS5_SA_S6_PS5_21rocsparse_index_base_b.has_indirect_call, 0
	.section	.AMDGPU.csdata,"",@progbits
; Kernel info:
; codeLenInByte = 2420
; TotalNumSgprs: 16
; NumVgprs: 63
; ScratchSize: 0
; MemoryBound: 0
; FloatMode: 240
; IeeeMode: 1
; LDSByteSize: 0 bytes/workgroup (compile time only)
; SGPRBlocks: 0
; VGPRBlocks: 3
; NumSGPRsForWavesPerEU: 16
; NumVGPRsForWavesPerEU: 63
; NamedBarCnt: 0
; Occupancy: 16
; WaveLimiterHint : 1
; COMPUTE_PGM_RSRC2:SCRATCH_EN: 0
; COMPUTE_PGM_RSRC2:USER_SGPR: 2
; COMPUTE_PGM_RSRC2:TRAP_HANDLER: 0
; COMPUTE_PGM_RSRC2:TGID_X_EN: 1
; COMPUTE_PGM_RSRC2:TGID_Y_EN: 0
; COMPUTE_PGM_RSRC2:TGID_Z_EN: 0
; COMPUTE_PGM_RSRC2:TIDIG_COMP_CNT: 0
	.section	.text._ZN9rocsparseL19gebsrmvn_2xn_kernelILj128ELj16ELj4E21rocsparse_complex_numIdEEEvi20rocsparse_direction_NS_24const_host_device_scalarIT2_EEPKiS8_PKS5_SA_S6_PS5_21rocsparse_index_base_b,"axG",@progbits,_ZN9rocsparseL19gebsrmvn_2xn_kernelILj128ELj16ELj4E21rocsparse_complex_numIdEEEvi20rocsparse_direction_NS_24const_host_device_scalarIT2_EEPKiS8_PKS5_SA_S6_PS5_21rocsparse_index_base_b,comdat
	.globl	_ZN9rocsparseL19gebsrmvn_2xn_kernelILj128ELj16ELj4E21rocsparse_complex_numIdEEEvi20rocsparse_direction_NS_24const_host_device_scalarIT2_EEPKiS8_PKS5_SA_S6_PS5_21rocsparse_index_base_b ; -- Begin function _ZN9rocsparseL19gebsrmvn_2xn_kernelILj128ELj16ELj4E21rocsparse_complex_numIdEEEvi20rocsparse_direction_NS_24const_host_device_scalarIT2_EEPKiS8_PKS5_SA_S6_PS5_21rocsparse_index_base_b
	.p2align	8
	.type	_ZN9rocsparseL19gebsrmvn_2xn_kernelILj128ELj16ELj4E21rocsparse_complex_numIdEEEvi20rocsparse_direction_NS_24const_host_device_scalarIT2_EEPKiS8_PKS5_SA_S6_PS5_21rocsparse_index_base_b,@function
_ZN9rocsparseL19gebsrmvn_2xn_kernelILj128ELj16ELj4E21rocsparse_complex_numIdEEEvi20rocsparse_direction_NS_24const_host_device_scalarIT2_EEPKiS8_PKS5_SA_S6_PS5_21rocsparse_index_base_b: ; @_ZN9rocsparseL19gebsrmvn_2xn_kernelILj128ELj16ELj4E21rocsparse_complex_numIdEEEvi20rocsparse_direction_NS_24const_host_device_scalarIT2_EEPKiS8_PKS5_SA_S6_PS5_21rocsparse_index_base_b
; %bb.0:
	s_clause 0x1
	s_load_b64 s[12:13], s[0:1], 0x50
	s_load_b64 s[2:3], s[0:1], 0x8
	v_mov_b32_e32 v1, 0
	s_add_nc_u64 s[4:5], s[0:1], 8
	s_load_b64 s[6:7], s[0:1], 0x38
	s_wait_kmcnt 0x0
	s_bitcmp1_b32 s13, 0
	s_cselect_b32 s3, s5, s3
	s_cselect_b32 s2, s4, s2
	flat_load_b128 v[2:5], v1, s[2:3]
	s_wait_xcnt 0x0
	s_add_nc_u64 s[2:3], s[0:1], 56
	s_delay_alu instid0(SALU_CYCLE_1)
	s_cselect_b32 s3, s3, s7
	s_cselect_b32 s2, s2, s6
	flat_load_b128 v[6:9], v1, s[2:3]
	s_wait_loadcnt_dscnt 0x101
	v_cmp_eq_f64_e32 vcc_lo, 0, v[2:3]
	s_wait_xcnt 0x0
	v_cmp_eq_f64_e64 s2, 0, v[4:5]
	s_and_b32 s4, vcc_lo, s2
	s_mov_b32 s2, -1
	s_and_saveexec_b32 s3, s4
	s_cbranch_execz .LBB298_2
; %bb.1:
	s_wait_loadcnt_dscnt 0x0
	v_cmp_neq_f64_e32 vcc_lo, 1.0, v[6:7]
	v_cmp_neq_f64_e64 s2, 0, v[8:9]
	s_or_b32 s2, vcc_lo, s2
	s_delay_alu instid0(SALU_CYCLE_1)
	s_or_not1_b32 s2, s2, exec_lo
.LBB298_2:
	s_or_b32 exec_lo, exec_lo, s3
	s_and_saveexec_b32 s3, s2
	s_cbranch_execz .LBB298_25
; %bb.3:
	s_load_b64 s[2:3], s[0:1], 0x0
	s_bfe_u32 s4, ttmp6, 0x4000c
	s_and_b32 s5, ttmp6, 15
	s_add_co_i32 s4, s4, 1
	s_getreg_b32 s6, hwreg(HW_REG_IB_STS2, 6, 4)
	s_mul_i32 s4, ttmp9, s4
	v_lshrrev_b32_e32 v1, 2, v0
	s_add_co_i32 s5, s5, s4
	s_cmp_eq_u32 s6, 0
	s_cselect_b32 s4, ttmp9, s5
	s_delay_alu instid0(VALU_DEP_1) | instid1(SALU_CYCLE_1)
	v_lshl_or_b32 v10, s4, 5, v1
	s_wait_kmcnt 0x0
	s_delay_alu instid0(VALU_DEP_1)
	v_cmp_gt_i32_e32 vcc_lo, s2, v10
	s_and_b32 exec_lo, exec_lo, vcc_lo
	s_cbranch_execz .LBB298_25
; %bb.4:
	s_load_b256 s[4:11], s[0:1], 0x18
	v_ashrrev_i32_e32 v11, 31, v10
	s_cmp_lg_u32 s3, 0
	s_wait_kmcnt 0x0
	s_delay_alu instid0(VALU_DEP_1)
	v_lshl_add_u64 v[12:13], v[10:11], 2, s[4:5]
	v_and_b32_e32 v11, 3, v0
	global_load_b64 v[12:13], v[12:13], off
	s_wait_loadcnt 0x0
	v_subrev_nc_u32_e32 v0, s12, v12
	v_subrev_nc_u32_e32 v24, s12, v13
	s_delay_alu instid0(VALU_DEP_2) | instskip(NEXT) | instid1(VALU_DEP_1)
	v_add_nc_u32_e32 v25, v0, v11
	v_cmp_lt_i32_e64 s2, v25, v24
	s_cbranch_scc0 .LBB298_12
; %bb.5:
	v_mov_b64_e32 v[0:1], 0
	v_mov_b64_e32 v[14:15], 0
	;; [unrolled: 1-line block ×4, first 2 shown]
	s_and_saveexec_b32 s3, s2
	s_cbranch_execz .LBB298_11
; %bb.6:
	v_dual_mov_b32 v19, 0 :: v_dual_lshlrev_b32 v18, 5, v25
	v_mov_b64_e32 v[0:1], 0
	v_mov_b64_e32 v[14:15], 0
	;; [unrolled: 1-line block ×4, first 2 shown]
	v_dual_mov_b32 v27, v25 :: v_dual_bitop2_b32 v26, 6, v18 bitop3:0x54
	s_add_nc_u64 s[4:5], s[8:9], 16
	s_mov_b32 s13, 0
.LBB298_7:                              ; =>This Loop Header: Depth=1
                                        ;     Child Loop BB298_8 Depth 2
	global_load_b32 v20, v27, s[6:7] scale_offset
	v_mov_b32_e32 v28, v26
	s_mov_b64 s[14:15], 0
	s_wait_loadcnt 0x0
	v_subrev_nc_u32_e32 v20, s12, v20
	s_delay_alu instid0(VALU_DEP_1) | instskip(SKIP_1) | instid1(VALU_DEP_2)
	v_dual_mov_b32 v23, v19 :: v_dual_lshlrev_b32 v22, 4, v20
	v_lshl_add_u64 v[20:21], v[18:19], 4, s[4:5]
	v_lshl_add_u64 v[22:23], v[22:23], 4, s[10:11]
.LBB298_8:                              ;   Parent Loop BB298_7 Depth=1
                                        ; =>  This Inner Loop Header: Depth=2
	s_delay_alu instid0(VALU_DEP_1)
	v_add_nc_u64_e32 v[78:79], s[14:15], v[22:23]
	v_add_nc_u32_e32 v29, -4, v28
	s_add_nc_u64 s[14:15], s[14:15], 64
	s_clause 0x1
	global_load_b128 v[30:33], v[20:21], off
	global_load_b128 v[34:37], v[20:21], off offset:-16
	s_clause 0x1
	global_load_b128 v[38:41], v[78:79], off
	global_load_b128 v[42:45], v[78:79], off offset:16
	s_clause 0x1
	global_load_b128 v[46:49], v29, s[8:9] scale_offset
	global_load_b128 v[50:53], v29, s[8:9] offset:16 scale_offset
	s_wait_xcnt 0x0
	v_add_nc_u32_e32 v29, -2, v28
	v_add_nc_u64_e32 v[20:21], 0x80, v[20:21]
	s_cmp_eq_u32 s14, 0x100
	s_clause 0x1
	global_load_b128 v[54:57], v29, s[8:9] offset:16 scale_offset
	global_load_b128 v[58:61], v29, s[8:9] scale_offset
	s_clause 0x1
	global_load_b128 v[62:65], v[78:79], off offset:32
	global_load_b128 v[66:69], v[78:79], off offset:48
	s_clause 0x1
	global_load_b128 v[70:73], v28, s[8:9] scale_offset
	global_load_b128 v[74:77], v28, s[8:9] offset:16 scale_offset
	s_wait_xcnt 0x0
	v_add_nc_u32_e32 v28, 8, v28
	s_wait_loadcnt 0x9
	v_fmac_f64_e32 v[14:15], v[34:35], v[38:39]
	v_fmac_f64_e32 v[0:1], v[36:37], v[38:39]
	;; [unrolled: 1-line block ×4, first 2 shown]
	s_delay_alu instid0(VALU_DEP_4) | instskip(NEXT) | instid1(VALU_DEP_4)
	v_fma_f64 v[14:15], -v[36:37], v[40:41], v[14:15]
	v_fmac_f64_e32 v[0:1], v[34:35], v[40:41]
	s_delay_alu instid0(VALU_DEP_4) | instskip(NEXT) | instid1(VALU_DEP_4)
	v_fma_f64 v[16:17], -v[32:33], v[40:41], v[16:17]
	v_fmac_f64_e32 v[12:13], v[30:31], v[40:41]
	s_wait_loadcnt 0x7
	s_delay_alu instid0(VALU_DEP_4) | instskip(NEXT) | instid1(VALU_DEP_4)
	v_fmac_f64_e32 v[14:15], v[46:47], v[42:43]
	v_fmac_f64_e32 v[0:1], v[48:49], v[42:43]
	s_wait_loadcnt 0x6
	s_delay_alu instid0(VALU_DEP_4) | instskip(NEXT) | instid1(VALU_DEP_4)
	v_fmac_f64_e32 v[16:17], v[50:51], v[42:43]
	v_fmac_f64_e32 v[12:13], v[52:53], v[42:43]
	s_delay_alu instid0(VALU_DEP_4) | instskip(NEXT) | instid1(VALU_DEP_4)
	v_fma_f64 v[14:15], -v[48:49], v[44:45], v[14:15]
	v_fmac_f64_e32 v[0:1], v[46:47], v[44:45]
	s_delay_alu instid0(VALU_DEP_4) | instskip(NEXT) | instid1(VALU_DEP_4)
	v_fma_f64 v[16:17], -v[52:53], v[44:45], v[16:17]
	v_fmac_f64_e32 v[12:13], v[50:51], v[44:45]
	s_wait_loadcnt 0x3
	s_delay_alu instid0(VALU_DEP_4) | instskip(NEXT) | instid1(VALU_DEP_4)
	v_fmac_f64_e32 v[14:15], v[58:59], v[62:63]
	v_fmac_f64_e32 v[0:1], v[60:61], v[62:63]
	s_delay_alu instid0(VALU_DEP_4) | instskip(NEXT) | instid1(VALU_DEP_4)
	v_fmac_f64_e32 v[16:17], v[54:55], v[62:63]
	v_fmac_f64_e32 v[12:13], v[56:57], v[62:63]
	s_delay_alu instid0(VALU_DEP_4) | instskip(NEXT) | instid1(VALU_DEP_4)
	v_fma_f64 v[14:15], -v[60:61], v[64:65], v[14:15]
	v_fmac_f64_e32 v[0:1], v[58:59], v[64:65]
	s_delay_alu instid0(VALU_DEP_4) | instskip(NEXT) | instid1(VALU_DEP_4)
	v_fma_f64 v[16:17], -v[56:57], v[64:65], v[16:17]
	v_fmac_f64_e32 v[12:13], v[54:55], v[64:65]
	s_wait_loadcnt 0x1
	s_delay_alu instid0(VALU_DEP_4) | instskip(NEXT) | instid1(VALU_DEP_4)
	v_fmac_f64_e32 v[14:15], v[70:71], v[66:67]
	v_fmac_f64_e32 v[0:1], v[72:73], v[66:67]
	s_wait_loadcnt 0x0
	s_delay_alu instid0(VALU_DEP_4) | instskip(NEXT) | instid1(VALU_DEP_4)
	v_fmac_f64_e32 v[16:17], v[74:75], v[66:67]
	v_fmac_f64_e32 v[12:13], v[76:77], v[66:67]
	s_delay_alu instid0(VALU_DEP_4) | instskip(NEXT) | instid1(VALU_DEP_4)
	v_fma_f64 v[14:15], -v[72:73], v[68:69], v[14:15]
	v_fmac_f64_e32 v[0:1], v[70:71], v[68:69]
	s_delay_alu instid0(VALU_DEP_4) | instskip(NEXT) | instid1(VALU_DEP_4)
	v_fma_f64 v[16:17], -v[76:77], v[68:69], v[16:17]
	v_fmac_f64_e32 v[12:13], v[74:75], v[68:69]
	s_cbranch_scc0 .LBB298_8
; %bb.9:                                ;   in Loop: Header=BB298_7 Depth=1
	v_add_nc_u32_e32 v27, 4, v27
	v_add_nc_u32_e32 v26, 0x80, v26
	;; [unrolled: 1-line block ×3, first 2 shown]
	s_delay_alu instid0(VALU_DEP_3) | instskip(SKIP_1) | instid1(SALU_CYCLE_1)
	v_cmp_ge_i32_e32 vcc_lo, v27, v24
	s_or_b32 s13, vcc_lo, s13
	s_and_not1_b32 exec_lo, exec_lo, s13
	s_cbranch_execnz .LBB298_7
; %bb.10:
	s_or_b32 exec_lo, exec_lo, s13
.LBB298_11:
	s_delay_alu instid0(SALU_CYCLE_1)
	s_or_b32 exec_lo, exec_lo, s3
	s_cbranch_execz .LBB298_13
	s_branch .LBB298_20
.LBB298_12:
                                        ; implicit-def: $vgpr0_vgpr1
                                        ; implicit-def: $vgpr14_vgpr15
                                        ; implicit-def: $vgpr16_vgpr17
                                        ; implicit-def: $vgpr12_vgpr13
.LBB298_13:
	v_mov_b64_e32 v[0:1], 0
	v_mov_b64_e32 v[14:15], 0
	;; [unrolled: 1-line block ×4, first 2 shown]
	s_and_saveexec_b32 s4, s2
	s_cbranch_execz .LBB298_19
; %bb.14:
	v_mov_b64_e32 v[0:1], 0
	v_mov_b64_e32 v[14:15], 0
	;; [unrolled: 1-line block ×4, first 2 shown]
	v_dual_mov_b32 v19, 0 :: v_dual_lshlrev_b32 v18, 5, v25
	s_mov_b32 s5, 0
.LBB298_15:                             ; =>This Loop Header: Depth=1
                                        ;     Child Loop BB298_16 Depth 2
	global_load_b32 v20, v25, s[6:7] scale_offset
	s_mov_b64 s[2:3], 0
	v_mov_b32_e32 v23, v19
	s_wait_loadcnt 0x0
	v_subrev_nc_u32_e32 v20, s12, v20
	s_delay_alu instid0(VALU_DEP_1) | instskip(SKIP_1) | instid1(VALU_DEP_2)
	v_lshlrev_b32_e32 v22, 4, v20
	v_lshl_add_u64 v[20:21], v[18:19], 4, s[8:9]
	v_lshl_add_u64 v[22:23], v[22:23], 4, s[10:11]
.LBB298_16:                             ;   Parent Loop BB298_15 Depth=1
                                        ; =>  This Inner Loop Header: Depth=2
	s_delay_alu instid0(VALU_DEP_2) | instskip(NEXT) | instid1(VALU_DEP_2)
	v_add_nc_u64_e32 v[74:75], s[2:3], v[20:21]
	v_add_nc_u64_e32 v[76:77], s[2:3], v[22:23]
	s_add_nc_u64 s[2:3], s[2:3], 64
	global_load_b128 v[26:29], v[74:75], off
	global_load_b128 v[30:33], v[76:77], off
	s_clause 0x1
	global_load_b128 v[34:37], v[74:75], off offset:256
	global_load_b128 v[38:41], v[74:75], off offset:16
	global_load_b128 v[42:45], v[76:77], off offset:16
	s_clause 0x1
	global_load_b128 v[46:49], v[74:75], off offset:272
	global_load_b128 v[50:53], v[74:75], off offset:32
	global_load_b128 v[54:57], v[76:77], off offset:32
	;; [unrolled: 4-line block ×3, first 2 shown]
	global_load_b128 v[70:73], v[74:75], off offset:304
	s_cmp_eq_u32 s2, 0x100
	s_wait_loadcnt 0xa
	v_fmac_f64_e32 v[14:15], v[26:27], v[30:31]
	v_fmac_f64_e32 v[0:1], v[28:29], v[30:31]
	s_wait_loadcnt 0x9
	v_fmac_f64_e32 v[16:17], v[34:35], v[30:31]
	v_fmac_f64_e32 v[12:13], v[36:37], v[30:31]
	s_delay_alu instid0(VALU_DEP_4) | instskip(NEXT) | instid1(VALU_DEP_4)
	v_fma_f64 v[14:15], -v[28:29], v[32:33], v[14:15]
	v_fmac_f64_e32 v[0:1], v[26:27], v[32:33]
	s_delay_alu instid0(VALU_DEP_4) | instskip(NEXT) | instid1(VALU_DEP_4)
	v_fma_f64 v[16:17], -v[36:37], v[32:33], v[16:17]
	v_fmac_f64_e32 v[12:13], v[34:35], v[32:33]
	s_wait_loadcnt 0x7
	s_delay_alu instid0(VALU_DEP_4) | instskip(NEXT) | instid1(VALU_DEP_4)
	v_fmac_f64_e32 v[14:15], v[38:39], v[42:43]
	v_fmac_f64_e32 v[0:1], v[40:41], v[42:43]
	s_wait_loadcnt 0x6
	s_delay_alu instid0(VALU_DEP_4) | instskip(NEXT) | instid1(VALU_DEP_4)
	v_fmac_f64_e32 v[16:17], v[46:47], v[42:43]
	v_fmac_f64_e32 v[12:13], v[48:49], v[42:43]
	s_delay_alu instid0(VALU_DEP_4) | instskip(NEXT) | instid1(VALU_DEP_4)
	v_fma_f64 v[14:15], -v[40:41], v[44:45], v[14:15]
	v_fmac_f64_e32 v[0:1], v[38:39], v[44:45]
	s_delay_alu instid0(VALU_DEP_4) | instskip(NEXT) | instid1(VALU_DEP_4)
	v_fma_f64 v[16:17], -v[48:49], v[44:45], v[16:17]
	v_fmac_f64_e32 v[12:13], v[46:47], v[44:45]
	s_wait_loadcnt 0x4
	s_delay_alu instid0(VALU_DEP_4) | instskip(NEXT) | instid1(VALU_DEP_4)
	v_fmac_f64_e32 v[14:15], v[50:51], v[54:55]
	v_fmac_f64_e32 v[0:1], v[52:53], v[54:55]
	s_wait_loadcnt 0x3
	s_delay_alu instid0(VALU_DEP_4) | instskip(NEXT) | instid1(VALU_DEP_4)
	;; [unrolled: 14-line block ×3, first 2 shown]
	v_fmac_f64_e32 v[16:17], v[70:71], v[66:67]
	v_fmac_f64_e32 v[12:13], v[72:73], v[66:67]
	s_delay_alu instid0(VALU_DEP_4) | instskip(NEXT) | instid1(VALU_DEP_4)
	v_fma_f64 v[14:15], -v[64:65], v[68:69], v[14:15]
	v_fmac_f64_e32 v[0:1], v[62:63], v[68:69]
	s_delay_alu instid0(VALU_DEP_4) | instskip(NEXT) | instid1(VALU_DEP_4)
	v_fma_f64 v[16:17], -v[72:73], v[68:69], v[16:17]
	v_fmac_f64_e32 v[12:13], v[70:71], v[68:69]
	s_cbranch_scc0 .LBB298_16
; %bb.17:                               ;   in Loop: Header=BB298_15 Depth=1
	v_add_nc_u32_e32 v25, 4, v25
	v_add_nc_u32_e32 v18, 0x80, v18
	s_delay_alu instid0(VALU_DEP_2) | instskip(SKIP_1) | instid1(SALU_CYCLE_1)
	v_cmp_ge_i32_e32 vcc_lo, v25, v24
	s_or_b32 s5, vcc_lo, s5
	s_and_not1_b32 exec_lo, exec_lo, s5
	s_cbranch_execnz .LBB298_15
; %bb.18:
	s_or_b32 exec_lo, exec_lo, s5
.LBB298_19:
	s_delay_alu instid0(SALU_CYCLE_1)
	s_or_b32 exec_lo, exec_lo, s4
.LBB298_20:
	v_mbcnt_lo_u32_b32 v28, -1, 0
	s_delay_alu instid0(VALU_DEP_1) | instskip(NEXT) | instid1(VALU_DEP_1)
	v_xor_b32_e32 v18, 2, v28
	v_cmp_gt_i32_e32 vcc_lo, 32, v18
	v_cndmask_b32_e32 v18, v28, v18, vcc_lo
	s_delay_alu instid0(VALU_DEP_1)
	v_lshlrev_b32_e32 v22, 2, v18
	ds_bpermute_b32 v20, v22, v0
	ds_bpermute_b32 v21, v22, v1
	s_wait_dscnt 0x0
	v_add_f64_e32 v[20:21], v[0:1], v[20:21]
	ds_bpermute_b32 v18, v22, v14
	ds_bpermute_b32 v19, v22, v15
	;; [unrolled: 1-line block ×6, first 2 shown]
	v_xor_b32_e32 v0, 1, v28
	s_delay_alu instid0(VALU_DEP_1)
	v_cmp_gt_i32_e32 vcc_lo, 32, v0
	v_cndmask_b32_e32 v0, v28, v0, vcc_lo
	v_cmp_eq_u32_e32 vcc_lo, 3, v11
	s_wait_dscnt 0x4
	v_add_f64_e32 v[22:23], v[14:15], v[18:19]
	s_wait_dscnt 0x2
	v_add_f64_e32 v[14:15], v[16:17], v[24:25]
	s_wait_dscnt 0x0
	v_dual_add_f64 v[18:19], v[12:13], v[26:27] :: v_dual_lshlrev_b32 v25, 2, v0
	ds_bpermute_b32 v16, v25, v20
	ds_bpermute_b32 v17, v25, v21
	;; [unrolled: 1-line block ×8, first 2 shown]
	s_and_b32 exec_lo, exec_lo, vcc_lo
	s_cbranch_execz .LBB298_25
; %bb.21:
	v_cmp_eq_f64_e32 vcc_lo, 0, v[6:7]
	v_cmp_eq_f64_e64 s2, 0, v[8:9]
	s_wait_dscnt 0x4
	v_add_f64_e32 v[0:1], v[22:23], v[0:1]
	v_add_f64_e32 v[16:17], v[20:21], v[16:17]
	s_wait_dscnt 0x2
	v_add_f64_e32 v[12:13], v[14:15], v[12:13]
	s_wait_dscnt 0x0
	v_add_f64_e32 v[14:15], v[18:19], v[24:25]
	s_load_b64 s[0:1], s[0:1], 0x48
	s_and_b32 s2, vcc_lo, s2
	s_delay_alu instid0(SALU_CYCLE_1) | instskip(NEXT) | instid1(SALU_CYCLE_1)
	s_and_saveexec_b32 s3, s2
	s_xor_b32 s2, exec_lo, s3
	s_cbranch_execz .LBB298_23
; %bb.22:
	s_delay_alu instid0(VALU_DEP_3) | instskip(SKIP_1) | instid1(VALU_DEP_3)
	v_mul_f64_e64 v[6:7], v[16:17], -v[4:5]
	v_mul_f64_e32 v[8:9], v[2:3], v[16:17]
	v_mul_f64_e64 v[16:17], v[14:15], -v[4:5]
	v_mul_f64_e32 v[18:19], v[2:3], v[14:15]
                                        ; implicit-def: $vgpr14_vgpr15
	s_delay_alu instid0(VALU_DEP_4) | instskip(NEXT) | instid1(VALU_DEP_4)
	v_fmac_f64_e32 v[6:7], v[2:3], v[0:1]
	v_fmac_f64_e32 v[8:9], v[4:5], v[0:1]
	s_delay_alu instid0(VALU_DEP_4) | instskip(NEXT) | instid1(VALU_DEP_4)
	v_fmac_f64_e32 v[16:17], v[2:3], v[12:13]
	v_fmac_f64_e32 v[18:19], v[4:5], v[12:13]
	v_lshlrev_b32_e32 v0, 1, v10
                                        ; implicit-def: $vgpr10
                                        ; implicit-def: $vgpr12_vgpr13
                                        ; implicit-def: $vgpr4_vgpr5
	s_wait_kmcnt 0x0
	s_clause 0x1
	global_store_b128 v0, v[6:9], s[0:1] scale_offset
	global_store_b128 v0, v[16:19], s[0:1] offset:16 scale_offset
                                        ; implicit-def: $vgpr0_vgpr1
                                        ; implicit-def: $vgpr16_vgpr17
                                        ; implicit-def: $vgpr8_vgpr9
.LBB298_23:
	s_wait_xcnt 0x0
	s_and_not1_saveexec_b32 s2, s2
	s_cbranch_execz .LBB298_25
; %bb.24:
	s_delay_alu instid0(VALU_DEP_3) | instskip(SKIP_1) | instid1(VALU_DEP_3)
	v_dual_mul_f64 v[26:27], v[16:17], -v[4:5] :: v_dual_lshlrev_b32 v30, 1, v10
	v_mul_f64_e32 v[16:17], v[2:3], v[16:17]
	v_mul_f64_e64 v[28:29], v[14:15], -v[4:5]
	v_mul_f64_e32 v[10:11], v[2:3], v[14:15]
	s_wait_kmcnt 0x0
	s_clause 0x1
	global_load_b128 v[18:21], v30, s[0:1] scale_offset
	global_load_b128 v[22:25], v30, s[0:1] offset:16 scale_offset
	v_fmac_f64_e32 v[26:27], v[2:3], v[0:1]
	v_fmac_f64_e32 v[16:17], v[4:5], v[0:1]
	;; [unrolled: 1-line block ×4, first 2 shown]
	s_wait_loadcnt 0x1
	s_delay_alu instid0(VALU_DEP_4) | instskip(NEXT) | instid1(VALU_DEP_4)
	v_fmac_f64_e32 v[26:27], v[6:7], v[18:19]
	v_fmac_f64_e32 v[16:17], v[8:9], v[18:19]
	s_wait_loadcnt 0x0
	s_delay_alu instid0(VALU_DEP_4) | instskip(NEXT) | instid1(VALU_DEP_4)
	v_fmac_f64_e32 v[28:29], v[6:7], v[22:23]
	v_fmac_f64_e32 v[10:11], v[8:9], v[22:23]
	s_delay_alu instid0(VALU_DEP_4) | instskip(NEXT) | instid1(VALU_DEP_4)
	v_fma_f64 v[14:15], -v[8:9], v[20:21], v[26:27]
	v_fmac_f64_e32 v[16:17], v[6:7], v[20:21]
	s_delay_alu instid0(VALU_DEP_4) | instskip(NEXT) | instid1(VALU_DEP_4)
	v_fma_f64 v[8:9], -v[8:9], v[24:25], v[28:29]
	v_fmac_f64_e32 v[10:11], v[6:7], v[24:25]
	s_clause 0x1
	global_store_b128 v30, v[14:17], s[0:1] scale_offset
	global_store_b128 v30, v[8:11], s[0:1] offset:16 scale_offset
.LBB298_25:
	s_sendmsg sendmsg(MSG_DEALLOC_VGPRS)
	s_endpgm
	.section	.rodata,"a",@progbits
	.p2align	6, 0x0
	.amdhsa_kernel _ZN9rocsparseL19gebsrmvn_2xn_kernelILj128ELj16ELj4E21rocsparse_complex_numIdEEEvi20rocsparse_direction_NS_24const_host_device_scalarIT2_EEPKiS8_PKS5_SA_S6_PS5_21rocsparse_index_base_b
		.amdhsa_group_segment_fixed_size 0
		.amdhsa_private_segment_fixed_size 0
		.amdhsa_kernarg_size 88
		.amdhsa_user_sgpr_count 2
		.amdhsa_user_sgpr_dispatch_ptr 0
		.amdhsa_user_sgpr_queue_ptr 0
		.amdhsa_user_sgpr_kernarg_segment_ptr 1
		.amdhsa_user_sgpr_dispatch_id 0
		.amdhsa_user_sgpr_kernarg_preload_length 0
		.amdhsa_user_sgpr_kernarg_preload_offset 0
		.amdhsa_user_sgpr_private_segment_size 0
		.amdhsa_wavefront_size32 1
		.amdhsa_uses_dynamic_stack 0
		.amdhsa_enable_private_segment 0
		.amdhsa_system_sgpr_workgroup_id_x 1
		.amdhsa_system_sgpr_workgroup_id_y 0
		.amdhsa_system_sgpr_workgroup_id_z 0
		.amdhsa_system_sgpr_workgroup_info 0
		.amdhsa_system_vgpr_workitem_id 0
		.amdhsa_next_free_vgpr 80
		.amdhsa_next_free_sgpr 16
		.amdhsa_named_barrier_count 0
		.amdhsa_reserve_vcc 1
		.amdhsa_float_round_mode_32 0
		.amdhsa_float_round_mode_16_64 0
		.amdhsa_float_denorm_mode_32 3
		.amdhsa_float_denorm_mode_16_64 3
		.amdhsa_fp16_overflow 0
		.amdhsa_memory_ordered 1
		.amdhsa_forward_progress 1
		.amdhsa_inst_pref_size 17
		.amdhsa_round_robin_scheduling 0
		.amdhsa_exception_fp_ieee_invalid_op 0
		.amdhsa_exception_fp_denorm_src 0
		.amdhsa_exception_fp_ieee_div_zero 0
		.amdhsa_exception_fp_ieee_overflow 0
		.amdhsa_exception_fp_ieee_underflow 0
		.amdhsa_exception_fp_ieee_inexact 0
		.amdhsa_exception_int_div_zero 0
	.end_amdhsa_kernel
	.section	.text._ZN9rocsparseL19gebsrmvn_2xn_kernelILj128ELj16ELj4E21rocsparse_complex_numIdEEEvi20rocsparse_direction_NS_24const_host_device_scalarIT2_EEPKiS8_PKS5_SA_S6_PS5_21rocsparse_index_base_b,"axG",@progbits,_ZN9rocsparseL19gebsrmvn_2xn_kernelILj128ELj16ELj4E21rocsparse_complex_numIdEEEvi20rocsparse_direction_NS_24const_host_device_scalarIT2_EEPKiS8_PKS5_SA_S6_PS5_21rocsparse_index_base_b,comdat
.Lfunc_end298:
	.size	_ZN9rocsparseL19gebsrmvn_2xn_kernelILj128ELj16ELj4E21rocsparse_complex_numIdEEEvi20rocsparse_direction_NS_24const_host_device_scalarIT2_EEPKiS8_PKS5_SA_S6_PS5_21rocsparse_index_base_b, .Lfunc_end298-_ZN9rocsparseL19gebsrmvn_2xn_kernelILj128ELj16ELj4E21rocsparse_complex_numIdEEEvi20rocsparse_direction_NS_24const_host_device_scalarIT2_EEPKiS8_PKS5_SA_S6_PS5_21rocsparse_index_base_b
                                        ; -- End function
	.set _ZN9rocsparseL19gebsrmvn_2xn_kernelILj128ELj16ELj4E21rocsparse_complex_numIdEEEvi20rocsparse_direction_NS_24const_host_device_scalarIT2_EEPKiS8_PKS5_SA_S6_PS5_21rocsparse_index_base_b.num_vgpr, 80
	.set _ZN9rocsparseL19gebsrmvn_2xn_kernelILj128ELj16ELj4E21rocsparse_complex_numIdEEEvi20rocsparse_direction_NS_24const_host_device_scalarIT2_EEPKiS8_PKS5_SA_S6_PS5_21rocsparse_index_base_b.num_agpr, 0
	.set _ZN9rocsparseL19gebsrmvn_2xn_kernelILj128ELj16ELj4E21rocsparse_complex_numIdEEEvi20rocsparse_direction_NS_24const_host_device_scalarIT2_EEPKiS8_PKS5_SA_S6_PS5_21rocsparse_index_base_b.numbered_sgpr, 16
	.set _ZN9rocsparseL19gebsrmvn_2xn_kernelILj128ELj16ELj4E21rocsparse_complex_numIdEEEvi20rocsparse_direction_NS_24const_host_device_scalarIT2_EEPKiS8_PKS5_SA_S6_PS5_21rocsparse_index_base_b.num_named_barrier, 0
	.set _ZN9rocsparseL19gebsrmvn_2xn_kernelILj128ELj16ELj4E21rocsparse_complex_numIdEEEvi20rocsparse_direction_NS_24const_host_device_scalarIT2_EEPKiS8_PKS5_SA_S6_PS5_21rocsparse_index_base_b.private_seg_size, 0
	.set _ZN9rocsparseL19gebsrmvn_2xn_kernelILj128ELj16ELj4E21rocsparse_complex_numIdEEEvi20rocsparse_direction_NS_24const_host_device_scalarIT2_EEPKiS8_PKS5_SA_S6_PS5_21rocsparse_index_base_b.uses_vcc, 1
	.set _ZN9rocsparseL19gebsrmvn_2xn_kernelILj128ELj16ELj4E21rocsparse_complex_numIdEEEvi20rocsparse_direction_NS_24const_host_device_scalarIT2_EEPKiS8_PKS5_SA_S6_PS5_21rocsparse_index_base_b.uses_flat_scratch, 0
	.set _ZN9rocsparseL19gebsrmvn_2xn_kernelILj128ELj16ELj4E21rocsparse_complex_numIdEEEvi20rocsparse_direction_NS_24const_host_device_scalarIT2_EEPKiS8_PKS5_SA_S6_PS5_21rocsparse_index_base_b.has_dyn_sized_stack, 0
	.set _ZN9rocsparseL19gebsrmvn_2xn_kernelILj128ELj16ELj4E21rocsparse_complex_numIdEEEvi20rocsparse_direction_NS_24const_host_device_scalarIT2_EEPKiS8_PKS5_SA_S6_PS5_21rocsparse_index_base_b.has_recursion, 0
	.set _ZN9rocsparseL19gebsrmvn_2xn_kernelILj128ELj16ELj4E21rocsparse_complex_numIdEEEvi20rocsparse_direction_NS_24const_host_device_scalarIT2_EEPKiS8_PKS5_SA_S6_PS5_21rocsparse_index_base_b.has_indirect_call, 0
	.section	.AMDGPU.csdata,"",@progbits
; Kernel info:
; codeLenInByte = 2132
; TotalNumSgprs: 18
; NumVgprs: 80
; ScratchSize: 0
; MemoryBound: 1
; FloatMode: 240
; IeeeMode: 1
; LDSByteSize: 0 bytes/workgroup (compile time only)
; SGPRBlocks: 0
; VGPRBlocks: 4
; NumSGPRsForWavesPerEU: 18
; NumVGPRsForWavesPerEU: 80
; NamedBarCnt: 0
; Occupancy: 12
; WaveLimiterHint : 1
; COMPUTE_PGM_RSRC2:SCRATCH_EN: 0
; COMPUTE_PGM_RSRC2:USER_SGPR: 2
; COMPUTE_PGM_RSRC2:TRAP_HANDLER: 0
; COMPUTE_PGM_RSRC2:TGID_X_EN: 1
; COMPUTE_PGM_RSRC2:TGID_Y_EN: 0
; COMPUTE_PGM_RSRC2:TGID_Z_EN: 0
; COMPUTE_PGM_RSRC2:TIDIG_COMP_CNT: 0
	.section	.text._ZN9rocsparseL19gebsrmvn_2xn_kernelILj128ELj16ELj8E21rocsparse_complex_numIdEEEvi20rocsparse_direction_NS_24const_host_device_scalarIT2_EEPKiS8_PKS5_SA_S6_PS5_21rocsparse_index_base_b,"axG",@progbits,_ZN9rocsparseL19gebsrmvn_2xn_kernelILj128ELj16ELj8E21rocsparse_complex_numIdEEEvi20rocsparse_direction_NS_24const_host_device_scalarIT2_EEPKiS8_PKS5_SA_S6_PS5_21rocsparse_index_base_b,comdat
	.globl	_ZN9rocsparseL19gebsrmvn_2xn_kernelILj128ELj16ELj8E21rocsparse_complex_numIdEEEvi20rocsparse_direction_NS_24const_host_device_scalarIT2_EEPKiS8_PKS5_SA_S6_PS5_21rocsparse_index_base_b ; -- Begin function _ZN9rocsparseL19gebsrmvn_2xn_kernelILj128ELj16ELj8E21rocsparse_complex_numIdEEEvi20rocsparse_direction_NS_24const_host_device_scalarIT2_EEPKiS8_PKS5_SA_S6_PS5_21rocsparse_index_base_b
	.p2align	8
	.type	_ZN9rocsparseL19gebsrmvn_2xn_kernelILj128ELj16ELj8E21rocsparse_complex_numIdEEEvi20rocsparse_direction_NS_24const_host_device_scalarIT2_EEPKiS8_PKS5_SA_S6_PS5_21rocsparse_index_base_b,@function
_ZN9rocsparseL19gebsrmvn_2xn_kernelILj128ELj16ELj8E21rocsparse_complex_numIdEEEvi20rocsparse_direction_NS_24const_host_device_scalarIT2_EEPKiS8_PKS5_SA_S6_PS5_21rocsparse_index_base_b: ; @_ZN9rocsparseL19gebsrmvn_2xn_kernelILj128ELj16ELj8E21rocsparse_complex_numIdEEEvi20rocsparse_direction_NS_24const_host_device_scalarIT2_EEPKiS8_PKS5_SA_S6_PS5_21rocsparse_index_base_b
; %bb.0:
	s_clause 0x1
	s_load_b64 s[12:13], s[0:1], 0x50
	s_load_b64 s[2:3], s[0:1], 0x8
	v_mov_b32_e32 v1, 0
	s_add_nc_u64 s[4:5], s[0:1], 8
	s_load_b64 s[6:7], s[0:1], 0x38
	s_wait_kmcnt 0x0
	s_bitcmp1_b32 s13, 0
	s_cselect_b32 s3, s5, s3
	s_cselect_b32 s2, s4, s2
	flat_load_b128 v[2:5], v1, s[2:3]
	s_wait_xcnt 0x0
	s_add_nc_u64 s[2:3], s[0:1], 56
	s_delay_alu instid0(SALU_CYCLE_1)
	s_cselect_b32 s3, s3, s7
	s_cselect_b32 s2, s2, s6
	flat_load_b128 v[6:9], v1, s[2:3]
	s_wait_loadcnt_dscnt 0x101
	v_cmp_eq_f64_e32 vcc_lo, 0, v[2:3]
	s_wait_xcnt 0x0
	v_cmp_eq_f64_e64 s2, 0, v[4:5]
	s_and_b32 s4, vcc_lo, s2
	s_mov_b32 s2, -1
	s_and_saveexec_b32 s3, s4
	s_cbranch_execz .LBB299_2
; %bb.1:
	s_wait_loadcnt_dscnt 0x0
	v_cmp_neq_f64_e32 vcc_lo, 1.0, v[6:7]
	v_cmp_neq_f64_e64 s2, 0, v[8:9]
	s_or_b32 s2, vcc_lo, s2
	s_delay_alu instid0(SALU_CYCLE_1)
	s_or_not1_b32 s2, s2, exec_lo
.LBB299_2:
	s_or_b32 exec_lo, exec_lo, s3
	s_and_saveexec_b32 s3, s2
	s_cbranch_execz .LBB299_25
; %bb.3:
	s_load_b64 s[2:3], s[0:1], 0x0
	s_bfe_u32 s4, ttmp6, 0x4000c
	s_and_b32 s5, ttmp6, 15
	s_add_co_i32 s4, s4, 1
	s_getreg_b32 s6, hwreg(HW_REG_IB_STS2, 6, 4)
	s_mul_i32 s4, ttmp9, s4
	v_lshrrev_b32_e32 v1, 3, v0
	s_add_co_i32 s5, s5, s4
	s_cmp_eq_u32 s6, 0
	s_cselect_b32 s4, ttmp9, s5
	s_delay_alu instid0(VALU_DEP_1) | instid1(SALU_CYCLE_1)
	v_lshl_or_b32 v10, s4, 4, v1
	s_wait_kmcnt 0x0
	s_delay_alu instid0(VALU_DEP_1)
	v_cmp_gt_i32_e32 vcc_lo, s2, v10
	s_and_b32 exec_lo, exec_lo, vcc_lo
	s_cbranch_execz .LBB299_25
; %bb.4:
	s_load_b256 s[4:11], s[0:1], 0x18
	v_ashrrev_i32_e32 v11, 31, v10
	s_cmp_lg_u32 s3, 0
	s_wait_kmcnt 0x0
	s_delay_alu instid0(VALU_DEP_1)
	v_lshl_add_u64 v[12:13], v[10:11], 2, s[4:5]
	v_and_b32_e32 v11, 7, v0
	global_load_b64 v[12:13], v[12:13], off
	s_wait_loadcnt 0x0
	v_subrev_nc_u32_e32 v0, s12, v12
	v_subrev_nc_u32_e32 v24, s12, v13
	s_delay_alu instid0(VALU_DEP_2) | instskip(NEXT) | instid1(VALU_DEP_1)
	v_add_nc_u32_e32 v25, v0, v11
	v_cmp_lt_i32_e64 s2, v25, v24
	s_cbranch_scc0 .LBB299_12
; %bb.5:
	v_mov_b64_e32 v[0:1], 0
	v_mov_b64_e32 v[14:15], 0
	;; [unrolled: 1-line block ×4, first 2 shown]
	s_and_saveexec_b32 s3, s2
	s_cbranch_execz .LBB299_11
; %bb.6:
	v_dual_mov_b32 v19, 0 :: v_dual_lshlrev_b32 v18, 5, v25
	v_mov_b64_e32 v[0:1], 0
	v_mov_b64_e32 v[14:15], 0
	;; [unrolled: 1-line block ×4, first 2 shown]
	v_dual_mov_b32 v27, v25 :: v_dual_bitop2_b32 v26, 6, v18 bitop3:0x54
	s_add_nc_u64 s[4:5], s[8:9], 16
	s_mov_b32 s13, 0
.LBB299_7:                              ; =>This Loop Header: Depth=1
                                        ;     Child Loop BB299_8 Depth 2
	global_load_b32 v20, v27, s[6:7] scale_offset
	v_mov_b32_e32 v28, v26
	s_mov_b64 s[14:15], 0
	s_wait_loadcnt 0x0
	v_subrev_nc_u32_e32 v20, s12, v20
	s_delay_alu instid0(VALU_DEP_1) | instskip(SKIP_1) | instid1(VALU_DEP_2)
	v_dual_mov_b32 v23, v19 :: v_dual_lshlrev_b32 v22, 4, v20
	v_lshl_add_u64 v[20:21], v[18:19], 4, s[4:5]
	v_lshl_add_u64 v[22:23], v[22:23], 4, s[10:11]
.LBB299_8:                              ;   Parent Loop BB299_7 Depth=1
                                        ; =>  This Inner Loop Header: Depth=2
	s_delay_alu instid0(VALU_DEP_1)
	v_add_nc_u64_e32 v[78:79], s[14:15], v[22:23]
	v_add_nc_u32_e32 v29, -4, v28
	s_add_nc_u64 s[14:15], s[14:15], 64
	s_clause 0x1
	global_load_b128 v[30:33], v[20:21], off
	global_load_b128 v[34:37], v[20:21], off offset:-16
	s_clause 0x1
	global_load_b128 v[38:41], v[78:79], off
	global_load_b128 v[42:45], v[78:79], off offset:16
	s_clause 0x1
	global_load_b128 v[46:49], v29, s[8:9] scale_offset
	global_load_b128 v[50:53], v29, s[8:9] offset:16 scale_offset
	s_wait_xcnt 0x0
	v_add_nc_u32_e32 v29, -2, v28
	v_add_nc_u64_e32 v[20:21], 0x80, v[20:21]
	s_cmp_eq_u32 s14, 0x100
	s_clause 0x1
	global_load_b128 v[54:57], v29, s[8:9] offset:16 scale_offset
	global_load_b128 v[58:61], v29, s[8:9] scale_offset
	s_clause 0x1
	global_load_b128 v[62:65], v[78:79], off offset:32
	global_load_b128 v[66:69], v[78:79], off offset:48
	s_clause 0x1
	global_load_b128 v[70:73], v28, s[8:9] scale_offset
	global_load_b128 v[74:77], v28, s[8:9] offset:16 scale_offset
	s_wait_xcnt 0x0
	v_add_nc_u32_e32 v28, 8, v28
	s_wait_loadcnt 0x9
	v_fmac_f64_e32 v[14:15], v[34:35], v[38:39]
	v_fmac_f64_e32 v[0:1], v[36:37], v[38:39]
	;; [unrolled: 1-line block ×4, first 2 shown]
	s_delay_alu instid0(VALU_DEP_4) | instskip(NEXT) | instid1(VALU_DEP_4)
	v_fma_f64 v[14:15], -v[36:37], v[40:41], v[14:15]
	v_fmac_f64_e32 v[0:1], v[34:35], v[40:41]
	s_delay_alu instid0(VALU_DEP_4) | instskip(NEXT) | instid1(VALU_DEP_4)
	v_fma_f64 v[16:17], -v[32:33], v[40:41], v[16:17]
	v_fmac_f64_e32 v[12:13], v[30:31], v[40:41]
	s_wait_loadcnt 0x7
	s_delay_alu instid0(VALU_DEP_4) | instskip(NEXT) | instid1(VALU_DEP_4)
	v_fmac_f64_e32 v[14:15], v[46:47], v[42:43]
	v_fmac_f64_e32 v[0:1], v[48:49], v[42:43]
	s_wait_loadcnt 0x6
	s_delay_alu instid0(VALU_DEP_4) | instskip(NEXT) | instid1(VALU_DEP_4)
	v_fmac_f64_e32 v[16:17], v[50:51], v[42:43]
	v_fmac_f64_e32 v[12:13], v[52:53], v[42:43]
	s_delay_alu instid0(VALU_DEP_4) | instskip(NEXT) | instid1(VALU_DEP_4)
	v_fma_f64 v[14:15], -v[48:49], v[44:45], v[14:15]
	v_fmac_f64_e32 v[0:1], v[46:47], v[44:45]
	s_delay_alu instid0(VALU_DEP_4) | instskip(NEXT) | instid1(VALU_DEP_4)
	v_fma_f64 v[16:17], -v[52:53], v[44:45], v[16:17]
	v_fmac_f64_e32 v[12:13], v[50:51], v[44:45]
	s_wait_loadcnt 0x3
	s_delay_alu instid0(VALU_DEP_4) | instskip(NEXT) | instid1(VALU_DEP_4)
	v_fmac_f64_e32 v[14:15], v[58:59], v[62:63]
	v_fmac_f64_e32 v[0:1], v[60:61], v[62:63]
	s_delay_alu instid0(VALU_DEP_4) | instskip(NEXT) | instid1(VALU_DEP_4)
	v_fmac_f64_e32 v[16:17], v[54:55], v[62:63]
	v_fmac_f64_e32 v[12:13], v[56:57], v[62:63]
	s_delay_alu instid0(VALU_DEP_4) | instskip(NEXT) | instid1(VALU_DEP_4)
	v_fma_f64 v[14:15], -v[60:61], v[64:65], v[14:15]
	v_fmac_f64_e32 v[0:1], v[58:59], v[64:65]
	s_delay_alu instid0(VALU_DEP_4) | instskip(NEXT) | instid1(VALU_DEP_4)
	v_fma_f64 v[16:17], -v[56:57], v[64:65], v[16:17]
	v_fmac_f64_e32 v[12:13], v[54:55], v[64:65]
	s_wait_loadcnt 0x1
	s_delay_alu instid0(VALU_DEP_4) | instskip(NEXT) | instid1(VALU_DEP_4)
	v_fmac_f64_e32 v[14:15], v[70:71], v[66:67]
	v_fmac_f64_e32 v[0:1], v[72:73], v[66:67]
	s_wait_loadcnt 0x0
	s_delay_alu instid0(VALU_DEP_4) | instskip(NEXT) | instid1(VALU_DEP_4)
	v_fmac_f64_e32 v[16:17], v[74:75], v[66:67]
	v_fmac_f64_e32 v[12:13], v[76:77], v[66:67]
	s_delay_alu instid0(VALU_DEP_4) | instskip(NEXT) | instid1(VALU_DEP_4)
	v_fma_f64 v[14:15], -v[72:73], v[68:69], v[14:15]
	v_fmac_f64_e32 v[0:1], v[70:71], v[68:69]
	s_delay_alu instid0(VALU_DEP_4) | instskip(NEXT) | instid1(VALU_DEP_4)
	v_fma_f64 v[16:17], -v[76:77], v[68:69], v[16:17]
	v_fmac_f64_e32 v[12:13], v[74:75], v[68:69]
	s_cbranch_scc0 .LBB299_8
; %bb.9:                                ;   in Loop: Header=BB299_7 Depth=1
	v_add_nc_u32_e32 v27, 8, v27
	v_add_nc_u32_e32 v26, 0x100, v26
	;; [unrolled: 1-line block ×3, first 2 shown]
	s_delay_alu instid0(VALU_DEP_3) | instskip(SKIP_1) | instid1(SALU_CYCLE_1)
	v_cmp_ge_i32_e32 vcc_lo, v27, v24
	s_or_b32 s13, vcc_lo, s13
	s_and_not1_b32 exec_lo, exec_lo, s13
	s_cbranch_execnz .LBB299_7
; %bb.10:
	s_or_b32 exec_lo, exec_lo, s13
.LBB299_11:
	s_delay_alu instid0(SALU_CYCLE_1)
	s_or_b32 exec_lo, exec_lo, s3
	s_cbranch_execz .LBB299_13
	s_branch .LBB299_20
.LBB299_12:
                                        ; implicit-def: $vgpr0_vgpr1
                                        ; implicit-def: $vgpr14_vgpr15
                                        ; implicit-def: $vgpr16_vgpr17
                                        ; implicit-def: $vgpr12_vgpr13
.LBB299_13:
	v_mov_b64_e32 v[0:1], 0
	v_mov_b64_e32 v[14:15], 0
	;; [unrolled: 1-line block ×4, first 2 shown]
	s_and_saveexec_b32 s4, s2
	s_cbranch_execz .LBB299_19
; %bb.14:
	v_mov_b64_e32 v[0:1], 0
	v_mov_b64_e32 v[14:15], 0
	;; [unrolled: 1-line block ×4, first 2 shown]
	v_dual_mov_b32 v19, 0 :: v_dual_lshlrev_b32 v18, 5, v25
	s_mov_b32 s5, 0
.LBB299_15:                             ; =>This Loop Header: Depth=1
                                        ;     Child Loop BB299_16 Depth 2
	global_load_b32 v20, v25, s[6:7] scale_offset
	s_mov_b64 s[2:3], 0
	v_mov_b32_e32 v23, v19
	s_wait_loadcnt 0x0
	v_subrev_nc_u32_e32 v20, s12, v20
	s_delay_alu instid0(VALU_DEP_1) | instskip(SKIP_1) | instid1(VALU_DEP_2)
	v_lshlrev_b32_e32 v22, 4, v20
	v_lshl_add_u64 v[20:21], v[18:19], 4, s[8:9]
	v_lshl_add_u64 v[22:23], v[22:23], 4, s[10:11]
.LBB299_16:                             ;   Parent Loop BB299_15 Depth=1
                                        ; =>  This Inner Loop Header: Depth=2
	s_delay_alu instid0(VALU_DEP_2) | instskip(NEXT) | instid1(VALU_DEP_2)
	v_add_nc_u64_e32 v[74:75], s[2:3], v[20:21]
	v_add_nc_u64_e32 v[76:77], s[2:3], v[22:23]
	s_add_nc_u64 s[2:3], s[2:3], 64
	global_load_b128 v[26:29], v[74:75], off
	global_load_b128 v[30:33], v[76:77], off
	s_clause 0x1
	global_load_b128 v[34:37], v[74:75], off offset:256
	global_load_b128 v[38:41], v[74:75], off offset:16
	global_load_b128 v[42:45], v[76:77], off offset:16
	s_clause 0x1
	global_load_b128 v[46:49], v[74:75], off offset:272
	global_load_b128 v[50:53], v[74:75], off offset:32
	global_load_b128 v[54:57], v[76:77], off offset:32
	;; [unrolled: 4-line block ×3, first 2 shown]
	global_load_b128 v[70:73], v[74:75], off offset:304
	s_cmp_eq_u32 s2, 0x100
	s_wait_loadcnt 0xa
	v_fmac_f64_e32 v[14:15], v[26:27], v[30:31]
	v_fmac_f64_e32 v[0:1], v[28:29], v[30:31]
	s_wait_loadcnt 0x9
	v_fmac_f64_e32 v[16:17], v[34:35], v[30:31]
	v_fmac_f64_e32 v[12:13], v[36:37], v[30:31]
	s_delay_alu instid0(VALU_DEP_4) | instskip(NEXT) | instid1(VALU_DEP_4)
	v_fma_f64 v[14:15], -v[28:29], v[32:33], v[14:15]
	v_fmac_f64_e32 v[0:1], v[26:27], v[32:33]
	s_delay_alu instid0(VALU_DEP_4) | instskip(NEXT) | instid1(VALU_DEP_4)
	v_fma_f64 v[16:17], -v[36:37], v[32:33], v[16:17]
	v_fmac_f64_e32 v[12:13], v[34:35], v[32:33]
	s_wait_loadcnt 0x7
	s_delay_alu instid0(VALU_DEP_4) | instskip(NEXT) | instid1(VALU_DEP_4)
	v_fmac_f64_e32 v[14:15], v[38:39], v[42:43]
	v_fmac_f64_e32 v[0:1], v[40:41], v[42:43]
	s_wait_loadcnt 0x6
	s_delay_alu instid0(VALU_DEP_4) | instskip(NEXT) | instid1(VALU_DEP_4)
	v_fmac_f64_e32 v[16:17], v[46:47], v[42:43]
	v_fmac_f64_e32 v[12:13], v[48:49], v[42:43]
	s_delay_alu instid0(VALU_DEP_4) | instskip(NEXT) | instid1(VALU_DEP_4)
	v_fma_f64 v[14:15], -v[40:41], v[44:45], v[14:15]
	v_fmac_f64_e32 v[0:1], v[38:39], v[44:45]
	s_delay_alu instid0(VALU_DEP_4) | instskip(NEXT) | instid1(VALU_DEP_4)
	v_fma_f64 v[16:17], -v[48:49], v[44:45], v[16:17]
	v_fmac_f64_e32 v[12:13], v[46:47], v[44:45]
	s_wait_loadcnt 0x4
	s_delay_alu instid0(VALU_DEP_4) | instskip(NEXT) | instid1(VALU_DEP_4)
	v_fmac_f64_e32 v[14:15], v[50:51], v[54:55]
	v_fmac_f64_e32 v[0:1], v[52:53], v[54:55]
	s_wait_loadcnt 0x3
	s_delay_alu instid0(VALU_DEP_4) | instskip(NEXT) | instid1(VALU_DEP_4)
	v_fmac_f64_e32 v[16:17], v[58:59], v[54:55]
	v_fmac_f64_e32 v[12:13], v[60:61], v[54:55]
	s_delay_alu instid0(VALU_DEP_4) | instskip(NEXT) | instid1(VALU_DEP_4)
	v_fma_f64 v[14:15], -v[52:53], v[56:57], v[14:15]
	v_fmac_f64_e32 v[0:1], v[50:51], v[56:57]
	s_delay_alu instid0(VALU_DEP_4) | instskip(NEXT) | instid1(VALU_DEP_4)
	v_fma_f64 v[16:17], -v[60:61], v[56:57], v[16:17]
	v_fmac_f64_e32 v[12:13], v[58:59], v[56:57]
	s_wait_loadcnt 0x1
	s_delay_alu instid0(VALU_DEP_4) | instskip(NEXT) | instid1(VALU_DEP_4)
	v_fmac_f64_e32 v[14:15], v[62:63], v[66:67]
	v_fmac_f64_e32 v[0:1], v[64:65], v[66:67]
	s_wait_loadcnt 0x0
	s_delay_alu instid0(VALU_DEP_4) | instskip(NEXT) | instid1(VALU_DEP_4)
	v_fmac_f64_e32 v[16:17], v[70:71], v[66:67]
	v_fmac_f64_e32 v[12:13], v[72:73], v[66:67]
	s_delay_alu instid0(VALU_DEP_4) | instskip(NEXT) | instid1(VALU_DEP_4)
	v_fma_f64 v[14:15], -v[64:65], v[68:69], v[14:15]
	v_fmac_f64_e32 v[0:1], v[62:63], v[68:69]
	s_delay_alu instid0(VALU_DEP_4) | instskip(NEXT) | instid1(VALU_DEP_4)
	v_fma_f64 v[16:17], -v[72:73], v[68:69], v[16:17]
	v_fmac_f64_e32 v[12:13], v[70:71], v[68:69]
	s_cbranch_scc0 .LBB299_16
; %bb.17:                               ;   in Loop: Header=BB299_15 Depth=1
	v_add_nc_u32_e32 v25, 8, v25
	v_add_nc_u32_e32 v18, 0x100, v18
	s_delay_alu instid0(VALU_DEP_2) | instskip(SKIP_1) | instid1(SALU_CYCLE_1)
	v_cmp_ge_i32_e32 vcc_lo, v25, v24
	s_or_b32 s5, vcc_lo, s5
	s_and_not1_b32 exec_lo, exec_lo, s5
	s_cbranch_execnz .LBB299_15
; %bb.18:
	s_or_b32 exec_lo, exec_lo, s5
.LBB299_19:
	s_delay_alu instid0(SALU_CYCLE_1)
	s_or_b32 exec_lo, exec_lo, s4
.LBB299_20:
	v_mbcnt_lo_u32_b32 v28, -1, 0
	s_delay_alu instid0(VALU_DEP_1) | instskip(NEXT) | instid1(VALU_DEP_1)
	v_xor_b32_e32 v18, 4, v28
	v_cmp_gt_i32_e32 vcc_lo, 32, v18
	v_cndmask_b32_e32 v18, v28, v18, vcc_lo
	s_delay_alu instid0(VALU_DEP_1)
	v_lshlrev_b32_e32 v25, 2, v18
	ds_bpermute_b32 v18, v25, v14
	ds_bpermute_b32 v19, v25, v15
	;; [unrolled: 1-line block ×4, first 2 shown]
	s_wait_dscnt 0x2
	v_add_f64_e32 v[14:15], v[14:15], v[18:19]
	s_wait_dscnt 0x0
	v_add_f64_e32 v[18:19], v[0:1], v[20:21]
	ds_bpermute_b32 v22, v25, v16
	ds_bpermute_b32 v23, v25, v17
	;; [unrolled: 1-line block ×4, first 2 shown]
	v_xor_b32_e32 v0, 2, v28
	s_delay_alu instid0(VALU_DEP_1)
	v_cmp_gt_i32_e32 vcc_lo, 32, v0
	v_cndmask_b32_e32 v0, v28, v0, vcc_lo
	s_wait_dscnt 0x2
	v_add_f64_e32 v[20:21], v[16:17], v[22:23]
	s_wait_dscnt 0x0
	v_add_f64_e32 v[22:23], v[12:13], v[24:25]
	v_lshlrev_b32_e32 v16, 2, v0
	ds_bpermute_b32 v0, v16, v14
	ds_bpermute_b32 v1, v16, v15
	;; [unrolled: 1-line block ×8, first 2 shown]
	s_wait_dscnt 0x4
	v_add_f64_e32 v[16:17], v[18:19], v[12:13]
	v_xor_b32_e32 v18, 1, v28
	s_delay_alu instid0(VALU_DEP_1) | instskip(SKIP_3) | instid1(VALU_DEP_2)
	v_cmp_gt_i32_e32 vcc_lo, 32, v18
	v_dual_add_f64 v[0:1], v[14:15], v[0:1] :: v_dual_cndmask_b32 v18, v28, v18, vcc_lo
	v_cmp_eq_u32_e32 vcc_lo, 7, v11
	s_wait_dscnt 0x2
	v_dual_add_f64 v[12:13], v[20:21], v[24:25] :: v_dual_lshlrev_b32 v21, 2, v18
	s_wait_dscnt 0x0
	v_add_f64_e32 v[14:15], v[22:23], v[26:27]
	ds_bpermute_b32 v22, v21, v16
	ds_bpermute_b32 v23, v21, v17
	;; [unrolled: 1-line block ×8, first 2 shown]
	s_and_b32 exec_lo, exec_lo, vcc_lo
	s_cbranch_execz .LBB299_25
; %bb.21:
	v_cmp_eq_f64_e32 vcc_lo, 0, v[6:7]
	v_cmp_eq_f64_e64 s2, 0, v[8:9]
	s_wait_dscnt 0x4
	v_add_f64_e32 v[0:1], v[0:1], v[24:25]
	v_add_f64_e32 v[16:17], v[16:17], v[22:23]
	s_wait_dscnt 0x2
	v_add_f64_e32 v[12:13], v[12:13], v[18:19]
	s_wait_dscnt 0x0
	v_add_f64_e32 v[14:15], v[14:15], v[20:21]
	s_load_b64 s[0:1], s[0:1], 0x48
	s_and_b32 s2, vcc_lo, s2
	s_delay_alu instid0(SALU_CYCLE_1) | instskip(NEXT) | instid1(SALU_CYCLE_1)
	s_and_saveexec_b32 s3, s2
	s_xor_b32 s2, exec_lo, s3
	s_cbranch_execz .LBB299_23
; %bb.22:
	s_delay_alu instid0(VALU_DEP_3) | instskip(SKIP_1) | instid1(VALU_DEP_3)
	v_mul_f64_e64 v[6:7], v[16:17], -v[4:5]
	v_mul_f64_e32 v[8:9], v[2:3], v[16:17]
	v_mul_f64_e64 v[16:17], v[14:15], -v[4:5]
	v_mul_f64_e32 v[18:19], v[2:3], v[14:15]
                                        ; implicit-def: $vgpr14_vgpr15
	s_delay_alu instid0(VALU_DEP_4) | instskip(NEXT) | instid1(VALU_DEP_4)
	v_fmac_f64_e32 v[6:7], v[2:3], v[0:1]
	v_fmac_f64_e32 v[8:9], v[4:5], v[0:1]
	s_delay_alu instid0(VALU_DEP_4) | instskip(NEXT) | instid1(VALU_DEP_4)
	v_fmac_f64_e32 v[16:17], v[2:3], v[12:13]
	v_fmac_f64_e32 v[18:19], v[4:5], v[12:13]
	v_lshlrev_b32_e32 v0, 1, v10
                                        ; implicit-def: $vgpr10
                                        ; implicit-def: $vgpr12_vgpr13
                                        ; implicit-def: $vgpr4_vgpr5
	s_wait_kmcnt 0x0
	s_clause 0x1
	global_store_b128 v0, v[6:9], s[0:1] scale_offset
	global_store_b128 v0, v[16:19], s[0:1] offset:16 scale_offset
                                        ; implicit-def: $vgpr0_vgpr1
                                        ; implicit-def: $vgpr16_vgpr17
                                        ; implicit-def: $vgpr8_vgpr9
.LBB299_23:
	s_wait_xcnt 0x0
	s_and_not1_saveexec_b32 s2, s2
	s_cbranch_execz .LBB299_25
; %bb.24:
	s_delay_alu instid0(VALU_DEP_3) | instskip(SKIP_1) | instid1(VALU_DEP_3)
	v_dual_mul_f64 v[26:27], v[16:17], -v[4:5] :: v_dual_lshlrev_b32 v30, 1, v10
	v_mul_f64_e32 v[16:17], v[2:3], v[16:17]
	v_mul_f64_e64 v[28:29], v[14:15], -v[4:5]
	v_mul_f64_e32 v[10:11], v[2:3], v[14:15]
	s_wait_kmcnt 0x0
	s_clause 0x1
	global_load_b128 v[18:21], v30, s[0:1] scale_offset
	global_load_b128 v[22:25], v30, s[0:1] offset:16 scale_offset
	v_fmac_f64_e32 v[26:27], v[2:3], v[0:1]
	v_fmac_f64_e32 v[16:17], v[4:5], v[0:1]
	;; [unrolled: 1-line block ×4, first 2 shown]
	s_wait_loadcnt 0x1
	s_delay_alu instid0(VALU_DEP_4) | instskip(NEXT) | instid1(VALU_DEP_4)
	v_fmac_f64_e32 v[26:27], v[6:7], v[18:19]
	v_fmac_f64_e32 v[16:17], v[8:9], v[18:19]
	s_wait_loadcnt 0x0
	s_delay_alu instid0(VALU_DEP_4) | instskip(NEXT) | instid1(VALU_DEP_4)
	v_fmac_f64_e32 v[28:29], v[6:7], v[22:23]
	v_fmac_f64_e32 v[10:11], v[8:9], v[22:23]
	s_delay_alu instid0(VALU_DEP_4) | instskip(NEXT) | instid1(VALU_DEP_4)
	v_fma_f64 v[14:15], -v[8:9], v[20:21], v[26:27]
	v_fmac_f64_e32 v[16:17], v[6:7], v[20:21]
	s_delay_alu instid0(VALU_DEP_4) | instskip(NEXT) | instid1(VALU_DEP_4)
	v_fma_f64 v[8:9], -v[8:9], v[24:25], v[28:29]
	v_fmac_f64_e32 v[10:11], v[6:7], v[24:25]
	s_clause 0x1
	global_store_b128 v30, v[14:17], s[0:1] scale_offset
	global_store_b128 v30, v[8:11], s[0:1] offset:16 scale_offset
.LBB299_25:
	s_sendmsg sendmsg(MSG_DEALLOC_VGPRS)
	s_endpgm
	.section	.rodata,"a",@progbits
	.p2align	6, 0x0
	.amdhsa_kernel _ZN9rocsparseL19gebsrmvn_2xn_kernelILj128ELj16ELj8E21rocsparse_complex_numIdEEEvi20rocsparse_direction_NS_24const_host_device_scalarIT2_EEPKiS8_PKS5_SA_S6_PS5_21rocsparse_index_base_b
		.amdhsa_group_segment_fixed_size 0
		.amdhsa_private_segment_fixed_size 0
		.amdhsa_kernarg_size 88
		.amdhsa_user_sgpr_count 2
		.amdhsa_user_sgpr_dispatch_ptr 0
		.amdhsa_user_sgpr_queue_ptr 0
		.amdhsa_user_sgpr_kernarg_segment_ptr 1
		.amdhsa_user_sgpr_dispatch_id 0
		.amdhsa_user_sgpr_kernarg_preload_length 0
		.amdhsa_user_sgpr_kernarg_preload_offset 0
		.amdhsa_user_sgpr_private_segment_size 0
		.amdhsa_wavefront_size32 1
		.amdhsa_uses_dynamic_stack 0
		.amdhsa_enable_private_segment 0
		.amdhsa_system_sgpr_workgroup_id_x 1
		.amdhsa_system_sgpr_workgroup_id_y 0
		.amdhsa_system_sgpr_workgroup_id_z 0
		.amdhsa_system_sgpr_workgroup_info 0
		.amdhsa_system_vgpr_workitem_id 0
		.amdhsa_next_free_vgpr 80
		.amdhsa_next_free_sgpr 16
		.amdhsa_named_barrier_count 0
		.amdhsa_reserve_vcc 1
		.amdhsa_float_round_mode_32 0
		.amdhsa_float_round_mode_16_64 0
		.amdhsa_float_denorm_mode_32 3
		.amdhsa_float_denorm_mode_16_64 3
		.amdhsa_fp16_overflow 0
		.amdhsa_memory_ordered 1
		.amdhsa_forward_progress 1
		.amdhsa_inst_pref_size 18
		.amdhsa_round_robin_scheduling 0
		.amdhsa_exception_fp_ieee_invalid_op 0
		.amdhsa_exception_fp_denorm_src 0
		.amdhsa_exception_fp_ieee_div_zero 0
		.amdhsa_exception_fp_ieee_overflow 0
		.amdhsa_exception_fp_ieee_underflow 0
		.amdhsa_exception_fp_ieee_inexact 0
		.amdhsa_exception_int_div_zero 0
	.end_amdhsa_kernel
	.section	.text._ZN9rocsparseL19gebsrmvn_2xn_kernelILj128ELj16ELj8E21rocsparse_complex_numIdEEEvi20rocsparse_direction_NS_24const_host_device_scalarIT2_EEPKiS8_PKS5_SA_S6_PS5_21rocsparse_index_base_b,"axG",@progbits,_ZN9rocsparseL19gebsrmvn_2xn_kernelILj128ELj16ELj8E21rocsparse_complex_numIdEEEvi20rocsparse_direction_NS_24const_host_device_scalarIT2_EEPKiS8_PKS5_SA_S6_PS5_21rocsparse_index_base_b,comdat
.Lfunc_end299:
	.size	_ZN9rocsparseL19gebsrmvn_2xn_kernelILj128ELj16ELj8E21rocsparse_complex_numIdEEEvi20rocsparse_direction_NS_24const_host_device_scalarIT2_EEPKiS8_PKS5_SA_S6_PS5_21rocsparse_index_base_b, .Lfunc_end299-_ZN9rocsparseL19gebsrmvn_2xn_kernelILj128ELj16ELj8E21rocsparse_complex_numIdEEEvi20rocsparse_direction_NS_24const_host_device_scalarIT2_EEPKiS8_PKS5_SA_S6_PS5_21rocsparse_index_base_b
                                        ; -- End function
	.set _ZN9rocsparseL19gebsrmvn_2xn_kernelILj128ELj16ELj8E21rocsparse_complex_numIdEEEvi20rocsparse_direction_NS_24const_host_device_scalarIT2_EEPKiS8_PKS5_SA_S6_PS5_21rocsparse_index_base_b.num_vgpr, 80
	.set _ZN9rocsparseL19gebsrmvn_2xn_kernelILj128ELj16ELj8E21rocsparse_complex_numIdEEEvi20rocsparse_direction_NS_24const_host_device_scalarIT2_EEPKiS8_PKS5_SA_S6_PS5_21rocsparse_index_base_b.num_agpr, 0
	.set _ZN9rocsparseL19gebsrmvn_2xn_kernelILj128ELj16ELj8E21rocsparse_complex_numIdEEEvi20rocsparse_direction_NS_24const_host_device_scalarIT2_EEPKiS8_PKS5_SA_S6_PS5_21rocsparse_index_base_b.numbered_sgpr, 16
	.set _ZN9rocsparseL19gebsrmvn_2xn_kernelILj128ELj16ELj8E21rocsparse_complex_numIdEEEvi20rocsparse_direction_NS_24const_host_device_scalarIT2_EEPKiS8_PKS5_SA_S6_PS5_21rocsparse_index_base_b.num_named_barrier, 0
	.set _ZN9rocsparseL19gebsrmvn_2xn_kernelILj128ELj16ELj8E21rocsparse_complex_numIdEEEvi20rocsparse_direction_NS_24const_host_device_scalarIT2_EEPKiS8_PKS5_SA_S6_PS5_21rocsparse_index_base_b.private_seg_size, 0
	.set _ZN9rocsparseL19gebsrmvn_2xn_kernelILj128ELj16ELj8E21rocsparse_complex_numIdEEEvi20rocsparse_direction_NS_24const_host_device_scalarIT2_EEPKiS8_PKS5_SA_S6_PS5_21rocsparse_index_base_b.uses_vcc, 1
	.set _ZN9rocsparseL19gebsrmvn_2xn_kernelILj128ELj16ELj8E21rocsparse_complex_numIdEEEvi20rocsparse_direction_NS_24const_host_device_scalarIT2_EEPKiS8_PKS5_SA_S6_PS5_21rocsparse_index_base_b.uses_flat_scratch, 0
	.set _ZN9rocsparseL19gebsrmvn_2xn_kernelILj128ELj16ELj8E21rocsparse_complex_numIdEEEvi20rocsparse_direction_NS_24const_host_device_scalarIT2_EEPKiS8_PKS5_SA_S6_PS5_21rocsparse_index_base_b.has_dyn_sized_stack, 0
	.set _ZN9rocsparseL19gebsrmvn_2xn_kernelILj128ELj16ELj8E21rocsparse_complex_numIdEEEvi20rocsparse_direction_NS_24const_host_device_scalarIT2_EEPKiS8_PKS5_SA_S6_PS5_21rocsparse_index_base_b.has_recursion, 0
	.set _ZN9rocsparseL19gebsrmvn_2xn_kernelILj128ELj16ELj8E21rocsparse_complex_numIdEEEvi20rocsparse_direction_NS_24const_host_device_scalarIT2_EEPKiS8_PKS5_SA_S6_PS5_21rocsparse_index_base_b.has_indirect_call, 0
	.section	.AMDGPU.csdata,"",@progbits
; Kernel info:
; codeLenInByte = 2248
; TotalNumSgprs: 18
; NumVgprs: 80
; ScratchSize: 0
; MemoryBound: 1
; FloatMode: 240
; IeeeMode: 1
; LDSByteSize: 0 bytes/workgroup (compile time only)
; SGPRBlocks: 0
; VGPRBlocks: 4
; NumSGPRsForWavesPerEU: 18
; NumVGPRsForWavesPerEU: 80
; NamedBarCnt: 0
; Occupancy: 12
; WaveLimiterHint : 1
; COMPUTE_PGM_RSRC2:SCRATCH_EN: 0
; COMPUTE_PGM_RSRC2:USER_SGPR: 2
; COMPUTE_PGM_RSRC2:TRAP_HANDLER: 0
; COMPUTE_PGM_RSRC2:TGID_X_EN: 1
; COMPUTE_PGM_RSRC2:TGID_Y_EN: 0
; COMPUTE_PGM_RSRC2:TGID_Z_EN: 0
; COMPUTE_PGM_RSRC2:TIDIG_COMP_CNT: 0
	.section	.text._ZN9rocsparseL19gebsrmvn_2xn_kernelILj128ELj16ELj16E21rocsparse_complex_numIdEEEvi20rocsparse_direction_NS_24const_host_device_scalarIT2_EEPKiS8_PKS5_SA_S6_PS5_21rocsparse_index_base_b,"axG",@progbits,_ZN9rocsparseL19gebsrmvn_2xn_kernelILj128ELj16ELj16E21rocsparse_complex_numIdEEEvi20rocsparse_direction_NS_24const_host_device_scalarIT2_EEPKiS8_PKS5_SA_S6_PS5_21rocsparse_index_base_b,comdat
	.globl	_ZN9rocsparseL19gebsrmvn_2xn_kernelILj128ELj16ELj16E21rocsparse_complex_numIdEEEvi20rocsparse_direction_NS_24const_host_device_scalarIT2_EEPKiS8_PKS5_SA_S6_PS5_21rocsparse_index_base_b ; -- Begin function _ZN9rocsparseL19gebsrmvn_2xn_kernelILj128ELj16ELj16E21rocsparse_complex_numIdEEEvi20rocsparse_direction_NS_24const_host_device_scalarIT2_EEPKiS8_PKS5_SA_S6_PS5_21rocsparse_index_base_b
	.p2align	8
	.type	_ZN9rocsparseL19gebsrmvn_2xn_kernelILj128ELj16ELj16E21rocsparse_complex_numIdEEEvi20rocsparse_direction_NS_24const_host_device_scalarIT2_EEPKiS8_PKS5_SA_S6_PS5_21rocsparse_index_base_b,@function
_ZN9rocsparseL19gebsrmvn_2xn_kernelILj128ELj16ELj16E21rocsparse_complex_numIdEEEvi20rocsparse_direction_NS_24const_host_device_scalarIT2_EEPKiS8_PKS5_SA_S6_PS5_21rocsparse_index_base_b: ; @_ZN9rocsparseL19gebsrmvn_2xn_kernelILj128ELj16ELj16E21rocsparse_complex_numIdEEEvi20rocsparse_direction_NS_24const_host_device_scalarIT2_EEPKiS8_PKS5_SA_S6_PS5_21rocsparse_index_base_b
; %bb.0:
	s_clause 0x1
	s_load_b64 s[12:13], s[0:1], 0x50
	s_load_b64 s[2:3], s[0:1], 0x8
	v_mov_b32_e32 v1, 0
	s_add_nc_u64 s[4:5], s[0:1], 8
	s_load_b64 s[6:7], s[0:1], 0x38
	s_wait_kmcnt 0x0
	s_bitcmp1_b32 s13, 0
	s_cselect_b32 s3, s5, s3
	s_cselect_b32 s2, s4, s2
	flat_load_b128 v[2:5], v1, s[2:3]
	s_wait_xcnt 0x0
	s_add_nc_u64 s[2:3], s[0:1], 56
	s_delay_alu instid0(SALU_CYCLE_1)
	s_cselect_b32 s3, s3, s7
	s_cselect_b32 s2, s2, s6
	flat_load_b128 v[6:9], v1, s[2:3]
	s_wait_loadcnt_dscnt 0x101
	v_cmp_eq_f64_e32 vcc_lo, 0, v[2:3]
	s_wait_xcnt 0x0
	v_cmp_eq_f64_e64 s2, 0, v[4:5]
	s_and_b32 s4, vcc_lo, s2
	s_mov_b32 s2, -1
	s_and_saveexec_b32 s3, s4
	s_cbranch_execz .LBB300_2
; %bb.1:
	s_wait_loadcnt_dscnt 0x0
	v_cmp_neq_f64_e32 vcc_lo, 1.0, v[6:7]
	v_cmp_neq_f64_e64 s2, 0, v[8:9]
	s_or_b32 s2, vcc_lo, s2
	s_delay_alu instid0(SALU_CYCLE_1)
	s_or_not1_b32 s2, s2, exec_lo
.LBB300_2:
	s_or_b32 exec_lo, exec_lo, s3
	s_and_saveexec_b32 s3, s2
	s_cbranch_execz .LBB300_25
; %bb.3:
	s_load_b64 s[2:3], s[0:1], 0x0
	s_bfe_u32 s4, ttmp6, 0x4000c
	s_and_b32 s5, ttmp6, 15
	s_add_co_i32 s4, s4, 1
	s_getreg_b32 s6, hwreg(HW_REG_IB_STS2, 6, 4)
	s_mul_i32 s4, ttmp9, s4
	v_lshrrev_b32_e32 v1, 4, v0
	s_add_co_i32 s5, s5, s4
	s_cmp_eq_u32 s6, 0
	s_cselect_b32 s4, ttmp9, s5
	s_delay_alu instid0(VALU_DEP_1) | instid1(SALU_CYCLE_1)
	v_lshl_or_b32 v10, s4, 3, v1
	s_wait_kmcnt 0x0
	s_delay_alu instid0(VALU_DEP_1)
	v_cmp_gt_i32_e32 vcc_lo, s2, v10
	s_and_b32 exec_lo, exec_lo, vcc_lo
	s_cbranch_execz .LBB300_25
; %bb.4:
	s_load_b256 s[4:11], s[0:1], 0x18
	v_ashrrev_i32_e32 v11, 31, v10
	s_cmp_lg_u32 s3, 0
	s_wait_kmcnt 0x0
	s_delay_alu instid0(VALU_DEP_1)
	v_lshl_add_u64 v[12:13], v[10:11], 2, s[4:5]
	v_and_b32_e32 v11, 15, v0
	global_load_b64 v[12:13], v[12:13], off
	s_wait_loadcnt 0x0
	v_subrev_nc_u32_e32 v0, s12, v12
	v_subrev_nc_u32_e32 v24, s12, v13
	s_delay_alu instid0(VALU_DEP_2) | instskip(NEXT) | instid1(VALU_DEP_1)
	v_add_nc_u32_e32 v25, v0, v11
	v_cmp_lt_i32_e64 s2, v25, v24
	s_cbranch_scc0 .LBB300_12
; %bb.5:
	v_mov_b64_e32 v[0:1], 0
	v_mov_b64_e32 v[14:15], 0
	v_mov_b64_e32 v[16:17], 0
	v_mov_b64_e32 v[12:13], 0
	s_and_saveexec_b32 s3, s2
	s_cbranch_execz .LBB300_11
; %bb.6:
	v_dual_mov_b32 v19, 0 :: v_dual_lshlrev_b32 v18, 5, v25
	v_mov_b64_e32 v[0:1], 0
	v_mov_b64_e32 v[14:15], 0
	;; [unrolled: 1-line block ×4, first 2 shown]
	v_dual_mov_b32 v27, v25 :: v_dual_bitop2_b32 v26, 6, v18 bitop3:0x54
	s_add_nc_u64 s[4:5], s[8:9], 16
	s_mov_b32 s13, 0
.LBB300_7:                              ; =>This Loop Header: Depth=1
                                        ;     Child Loop BB300_8 Depth 2
	global_load_b32 v20, v27, s[6:7] scale_offset
	v_mov_b32_e32 v28, v26
	s_mov_b64 s[14:15], 0
	s_wait_loadcnt 0x0
	v_subrev_nc_u32_e32 v20, s12, v20
	s_delay_alu instid0(VALU_DEP_1) | instskip(SKIP_1) | instid1(VALU_DEP_2)
	v_dual_mov_b32 v23, v19 :: v_dual_lshlrev_b32 v22, 4, v20
	v_lshl_add_u64 v[20:21], v[18:19], 4, s[4:5]
	v_lshl_add_u64 v[22:23], v[22:23], 4, s[10:11]
.LBB300_8:                              ;   Parent Loop BB300_7 Depth=1
                                        ; =>  This Inner Loop Header: Depth=2
	s_delay_alu instid0(VALU_DEP_1)
	v_add_nc_u64_e32 v[78:79], s[14:15], v[22:23]
	v_add_nc_u32_e32 v29, -4, v28
	s_add_nc_u64 s[14:15], s[14:15], 64
	s_clause 0x1
	global_load_b128 v[30:33], v[20:21], off
	global_load_b128 v[34:37], v[20:21], off offset:-16
	s_clause 0x1
	global_load_b128 v[38:41], v[78:79], off
	global_load_b128 v[42:45], v[78:79], off offset:16
	s_clause 0x1
	global_load_b128 v[46:49], v29, s[8:9] scale_offset
	global_load_b128 v[50:53], v29, s[8:9] offset:16 scale_offset
	s_wait_xcnt 0x0
	v_add_nc_u32_e32 v29, -2, v28
	v_add_nc_u64_e32 v[20:21], 0x80, v[20:21]
	s_cmp_eq_u32 s14, 0x100
	s_clause 0x1
	global_load_b128 v[54:57], v29, s[8:9] offset:16 scale_offset
	global_load_b128 v[58:61], v29, s[8:9] scale_offset
	s_clause 0x1
	global_load_b128 v[62:65], v[78:79], off offset:32
	global_load_b128 v[66:69], v[78:79], off offset:48
	s_clause 0x1
	global_load_b128 v[70:73], v28, s[8:9] scale_offset
	global_load_b128 v[74:77], v28, s[8:9] offset:16 scale_offset
	s_wait_xcnt 0x0
	v_add_nc_u32_e32 v28, 8, v28
	s_wait_loadcnt 0x9
	v_fmac_f64_e32 v[14:15], v[34:35], v[38:39]
	v_fmac_f64_e32 v[0:1], v[36:37], v[38:39]
	;; [unrolled: 1-line block ×4, first 2 shown]
	s_delay_alu instid0(VALU_DEP_4) | instskip(NEXT) | instid1(VALU_DEP_4)
	v_fma_f64 v[14:15], -v[36:37], v[40:41], v[14:15]
	v_fmac_f64_e32 v[0:1], v[34:35], v[40:41]
	s_delay_alu instid0(VALU_DEP_4) | instskip(NEXT) | instid1(VALU_DEP_4)
	v_fma_f64 v[16:17], -v[32:33], v[40:41], v[16:17]
	v_fmac_f64_e32 v[12:13], v[30:31], v[40:41]
	s_wait_loadcnt 0x7
	s_delay_alu instid0(VALU_DEP_4) | instskip(NEXT) | instid1(VALU_DEP_4)
	v_fmac_f64_e32 v[14:15], v[46:47], v[42:43]
	v_fmac_f64_e32 v[0:1], v[48:49], v[42:43]
	s_wait_loadcnt 0x6
	s_delay_alu instid0(VALU_DEP_4) | instskip(NEXT) | instid1(VALU_DEP_4)
	v_fmac_f64_e32 v[16:17], v[50:51], v[42:43]
	v_fmac_f64_e32 v[12:13], v[52:53], v[42:43]
	s_delay_alu instid0(VALU_DEP_4) | instskip(NEXT) | instid1(VALU_DEP_4)
	v_fma_f64 v[14:15], -v[48:49], v[44:45], v[14:15]
	v_fmac_f64_e32 v[0:1], v[46:47], v[44:45]
	s_delay_alu instid0(VALU_DEP_4) | instskip(NEXT) | instid1(VALU_DEP_4)
	v_fma_f64 v[16:17], -v[52:53], v[44:45], v[16:17]
	v_fmac_f64_e32 v[12:13], v[50:51], v[44:45]
	s_wait_loadcnt 0x3
	s_delay_alu instid0(VALU_DEP_4) | instskip(NEXT) | instid1(VALU_DEP_4)
	v_fmac_f64_e32 v[14:15], v[58:59], v[62:63]
	v_fmac_f64_e32 v[0:1], v[60:61], v[62:63]
	s_delay_alu instid0(VALU_DEP_4) | instskip(NEXT) | instid1(VALU_DEP_4)
	v_fmac_f64_e32 v[16:17], v[54:55], v[62:63]
	v_fmac_f64_e32 v[12:13], v[56:57], v[62:63]
	s_delay_alu instid0(VALU_DEP_4) | instskip(NEXT) | instid1(VALU_DEP_4)
	v_fma_f64 v[14:15], -v[60:61], v[64:65], v[14:15]
	v_fmac_f64_e32 v[0:1], v[58:59], v[64:65]
	s_delay_alu instid0(VALU_DEP_4) | instskip(NEXT) | instid1(VALU_DEP_4)
	v_fma_f64 v[16:17], -v[56:57], v[64:65], v[16:17]
	v_fmac_f64_e32 v[12:13], v[54:55], v[64:65]
	s_wait_loadcnt 0x1
	s_delay_alu instid0(VALU_DEP_4) | instskip(NEXT) | instid1(VALU_DEP_4)
	v_fmac_f64_e32 v[14:15], v[70:71], v[66:67]
	v_fmac_f64_e32 v[0:1], v[72:73], v[66:67]
	s_wait_loadcnt 0x0
	s_delay_alu instid0(VALU_DEP_4) | instskip(NEXT) | instid1(VALU_DEP_4)
	v_fmac_f64_e32 v[16:17], v[74:75], v[66:67]
	v_fmac_f64_e32 v[12:13], v[76:77], v[66:67]
	s_delay_alu instid0(VALU_DEP_4) | instskip(NEXT) | instid1(VALU_DEP_4)
	v_fma_f64 v[14:15], -v[72:73], v[68:69], v[14:15]
	v_fmac_f64_e32 v[0:1], v[70:71], v[68:69]
	s_delay_alu instid0(VALU_DEP_4) | instskip(NEXT) | instid1(VALU_DEP_4)
	v_fma_f64 v[16:17], -v[76:77], v[68:69], v[16:17]
	v_fmac_f64_e32 v[12:13], v[74:75], v[68:69]
	s_cbranch_scc0 .LBB300_8
; %bb.9:                                ;   in Loop: Header=BB300_7 Depth=1
	v_add_nc_u32_e32 v27, 16, v27
	v_add_nc_u32_e32 v26, 0x200, v26
	;; [unrolled: 1-line block ×3, first 2 shown]
	s_delay_alu instid0(VALU_DEP_3) | instskip(SKIP_1) | instid1(SALU_CYCLE_1)
	v_cmp_ge_i32_e32 vcc_lo, v27, v24
	s_or_b32 s13, vcc_lo, s13
	s_and_not1_b32 exec_lo, exec_lo, s13
	s_cbranch_execnz .LBB300_7
; %bb.10:
	s_or_b32 exec_lo, exec_lo, s13
.LBB300_11:
	s_delay_alu instid0(SALU_CYCLE_1)
	s_or_b32 exec_lo, exec_lo, s3
	s_cbranch_execz .LBB300_13
	s_branch .LBB300_20
.LBB300_12:
                                        ; implicit-def: $vgpr0_vgpr1
                                        ; implicit-def: $vgpr14_vgpr15
                                        ; implicit-def: $vgpr16_vgpr17
                                        ; implicit-def: $vgpr12_vgpr13
.LBB300_13:
	v_mov_b64_e32 v[0:1], 0
	v_mov_b64_e32 v[14:15], 0
	;; [unrolled: 1-line block ×4, first 2 shown]
	s_and_saveexec_b32 s4, s2
	s_cbranch_execz .LBB300_19
; %bb.14:
	v_mov_b64_e32 v[0:1], 0
	v_mov_b64_e32 v[14:15], 0
	;; [unrolled: 1-line block ×4, first 2 shown]
	v_dual_mov_b32 v19, 0 :: v_dual_lshlrev_b32 v18, 5, v25
	s_mov_b32 s5, 0
.LBB300_15:                             ; =>This Loop Header: Depth=1
                                        ;     Child Loop BB300_16 Depth 2
	global_load_b32 v20, v25, s[6:7] scale_offset
	s_mov_b64 s[2:3], 0
	v_mov_b32_e32 v23, v19
	s_wait_loadcnt 0x0
	v_subrev_nc_u32_e32 v20, s12, v20
	s_delay_alu instid0(VALU_DEP_1) | instskip(SKIP_1) | instid1(VALU_DEP_2)
	v_lshlrev_b32_e32 v22, 4, v20
	v_lshl_add_u64 v[20:21], v[18:19], 4, s[8:9]
	v_lshl_add_u64 v[22:23], v[22:23], 4, s[10:11]
.LBB300_16:                             ;   Parent Loop BB300_15 Depth=1
                                        ; =>  This Inner Loop Header: Depth=2
	s_delay_alu instid0(VALU_DEP_2) | instskip(NEXT) | instid1(VALU_DEP_2)
	v_add_nc_u64_e32 v[74:75], s[2:3], v[20:21]
	v_add_nc_u64_e32 v[76:77], s[2:3], v[22:23]
	s_add_nc_u64 s[2:3], s[2:3], 64
	global_load_b128 v[26:29], v[74:75], off
	global_load_b128 v[30:33], v[76:77], off
	s_clause 0x1
	global_load_b128 v[34:37], v[74:75], off offset:256
	global_load_b128 v[38:41], v[74:75], off offset:16
	global_load_b128 v[42:45], v[76:77], off offset:16
	s_clause 0x1
	global_load_b128 v[46:49], v[74:75], off offset:272
	global_load_b128 v[50:53], v[74:75], off offset:32
	global_load_b128 v[54:57], v[76:77], off offset:32
	;; [unrolled: 4-line block ×3, first 2 shown]
	global_load_b128 v[70:73], v[74:75], off offset:304
	s_cmp_eq_u32 s2, 0x100
	s_wait_loadcnt 0xa
	v_fmac_f64_e32 v[14:15], v[26:27], v[30:31]
	v_fmac_f64_e32 v[0:1], v[28:29], v[30:31]
	s_wait_loadcnt 0x9
	v_fmac_f64_e32 v[16:17], v[34:35], v[30:31]
	v_fmac_f64_e32 v[12:13], v[36:37], v[30:31]
	s_delay_alu instid0(VALU_DEP_4) | instskip(NEXT) | instid1(VALU_DEP_4)
	v_fma_f64 v[14:15], -v[28:29], v[32:33], v[14:15]
	v_fmac_f64_e32 v[0:1], v[26:27], v[32:33]
	s_delay_alu instid0(VALU_DEP_4) | instskip(NEXT) | instid1(VALU_DEP_4)
	v_fma_f64 v[16:17], -v[36:37], v[32:33], v[16:17]
	v_fmac_f64_e32 v[12:13], v[34:35], v[32:33]
	s_wait_loadcnt 0x7
	s_delay_alu instid0(VALU_DEP_4) | instskip(NEXT) | instid1(VALU_DEP_4)
	v_fmac_f64_e32 v[14:15], v[38:39], v[42:43]
	v_fmac_f64_e32 v[0:1], v[40:41], v[42:43]
	s_wait_loadcnt 0x6
	s_delay_alu instid0(VALU_DEP_4) | instskip(NEXT) | instid1(VALU_DEP_4)
	v_fmac_f64_e32 v[16:17], v[46:47], v[42:43]
	v_fmac_f64_e32 v[12:13], v[48:49], v[42:43]
	s_delay_alu instid0(VALU_DEP_4) | instskip(NEXT) | instid1(VALU_DEP_4)
	v_fma_f64 v[14:15], -v[40:41], v[44:45], v[14:15]
	v_fmac_f64_e32 v[0:1], v[38:39], v[44:45]
	s_delay_alu instid0(VALU_DEP_4) | instskip(NEXT) | instid1(VALU_DEP_4)
	v_fma_f64 v[16:17], -v[48:49], v[44:45], v[16:17]
	v_fmac_f64_e32 v[12:13], v[46:47], v[44:45]
	s_wait_loadcnt 0x4
	s_delay_alu instid0(VALU_DEP_4) | instskip(NEXT) | instid1(VALU_DEP_4)
	v_fmac_f64_e32 v[14:15], v[50:51], v[54:55]
	v_fmac_f64_e32 v[0:1], v[52:53], v[54:55]
	s_wait_loadcnt 0x3
	s_delay_alu instid0(VALU_DEP_4) | instskip(NEXT) | instid1(VALU_DEP_4)
	;; [unrolled: 14-line block ×3, first 2 shown]
	v_fmac_f64_e32 v[16:17], v[70:71], v[66:67]
	v_fmac_f64_e32 v[12:13], v[72:73], v[66:67]
	s_delay_alu instid0(VALU_DEP_4) | instskip(NEXT) | instid1(VALU_DEP_4)
	v_fma_f64 v[14:15], -v[64:65], v[68:69], v[14:15]
	v_fmac_f64_e32 v[0:1], v[62:63], v[68:69]
	s_delay_alu instid0(VALU_DEP_4) | instskip(NEXT) | instid1(VALU_DEP_4)
	v_fma_f64 v[16:17], -v[72:73], v[68:69], v[16:17]
	v_fmac_f64_e32 v[12:13], v[70:71], v[68:69]
	s_cbranch_scc0 .LBB300_16
; %bb.17:                               ;   in Loop: Header=BB300_15 Depth=1
	v_add_nc_u32_e32 v25, 16, v25
	v_add_nc_u32_e32 v18, 0x200, v18
	s_delay_alu instid0(VALU_DEP_2) | instskip(SKIP_1) | instid1(SALU_CYCLE_1)
	v_cmp_ge_i32_e32 vcc_lo, v25, v24
	s_or_b32 s5, vcc_lo, s5
	s_and_not1_b32 exec_lo, exec_lo, s5
	s_cbranch_execnz .LBB300_15
; %bb.18:
	s_or_b32 exec_lo, exec_lo, s5
.LBB300_19:
	s_delay_alu instid0(SALU_CYCLE_1)
	s_or_b32 exec_lo, exec_lo, s4
.LBB300_20:
	v_mbcnt_lo_u32_b32 v28, -1, 0
	s_delay_alu instid0(VALU_DEP_1) | instskip(NEXT) | instid1(VALU_DEP_1)
	v_xor_b32_e32 v18, 8, v28
	v_cmp_gt_i32_e32 vcc_lo, 32, v18
	v_cndmask_b32_e32 v18, v28, v18, vcc_lo
	s_delay_alu instid0(VALU_DEP_1)
	v_lshlrev_b32_e32 v25, 2, v18
	ds_bpermute_b32 v20, v25, v0
	ds_bpermute_b32 v21, v25, v1
	s_wait_dscnt 0x0
	v_add_f64_e32 v[0:1], v[0:1], v[20:21]
	ds_bpermute_b32 v18, v25, v14
	ds_bpermute_b32 v19, v25, v15
	;; [unrolled: 1-line block ×6, first 2 shown]
	s_wait_dscnt 0x4
	v_dual_add_f64 v[14:15], v[14:15], v[18:19] :: v_dual_bitop2_b32 v18, 4, v28 bitop3:0x14
	s_wait_dscnt 0x2
	v_add_f64_e32 v[16:17], v[16:17], v[22:23]
	s_delay_alu instid0(VALU_DEP_2) | instskip(SKIP_2) | instid1(VALU_DEP_1)
	v_cmp_gt_i32_e32 vcc_lo, 32, v18
	v_cndmask_b32_e32 v18, v28, v18, vcc_lo
	s_wait_dscnt 0x0
	v_dual_add_f64 v[12:13], v[12:13], v[24:25] :: v_dual_lshlrev_b32 v25, 2, v18
	ds_bpermute_b32 v20, v25, v0
	ds_bpermute_b32 v21, v25, v1
	;; [unrolled: 1-line block ×8, first 2 shown]
	s_wait_dscnt 0x4
	v_add_f64_e32 v[14:15], v[14:15], v[18:19]
	v_add_f64_e32 v[18:19], v[0:1], v[20:21]
	s_wait_dscnt 0x2
	v_dual_add_f64 v[20:21], v[16:17], v[22:23] :: v_dual_bitop2_b32 v0, 2, v28 bitop3:0x14
	s_delay_alu instid0(VALU_DEP_1) | instskip(SKIP_3) | instid1(VALU_DEP_1)
	v_cmp_gt_i32_e32 vcc_lo, 32, v0
	s_wait_dscnt 0x0
	v_add_f64_e32 v[22:23], v[12:13], v[24:25]
	v_cndmask_b32_e32 v0, v28, v0, vcc_lo
	v_lshlrev_b32_e32 v16, 2, v0
	ds_bpermute_b32 v0, v16, v14
	ds_bpermute_b32 v12, v16, v18
	;; [unrolled: 1-line block ×8, first 2 shown]
	s_wait_dscnt 0x5
	v_add_f64_e32 v[16:17], v[18:19], v[12:13]
	v_xor_b32_e32 v18, 1, v28
	s_wait_dscnt 0x2
	v_add_f64_e32 v[12:13], v[20:21], v[24:25]
	s_delay_alu instid0(VALU_DEP_2) | instskip(SKIP_2) | instid1(VALU_DEP_2)
	v_cmp_gt_i32_e32 vcc_lo, 32, v18
	v_dual_add_f64 v[0:1], v[14:15], v[0:1] :: v_dual_cndmask_b32 v18, v28, v18, vcc_lo
	v_cmp_eq_u32_e32 vcc_lo, 15, v11
	v_lshlrev_b32_e32 v21, 2, v18
	s_wait_dscnt 0x0
	v_add_f64_e32 v[14:15], v[22:23], v[26:27]
	ds_bpermute_b32 v22, v21, v16
	ds_bpermute_b32 v23, v21, v17
	;; [unrolled: 1-line block ×8, first 2 shown]
	s_and_b32 exec_lo, exec_lo, vcc_lo
	s_cbranch_execz .LBB300_25
; %bb.21:
	v_cmp_eq_f64_e32 vcc_lo, 0, v[6:7]
	v_cmp_eq_f64_e64 s2, 0, v[8:9]
	s_wait_dscnt 0x2
	v_add_f64_e32 v[0:1], v[0:1], v[24:25]
	v_add_f64_e32 v[16:17], v[16:17], v[22:23]
	;; [unrolled: 1-line block ×3, first 2 shown]
	s_wait_dscnt 0x0
	v_add_f64_e32 v[14:15], v[14:15], v[20:21]
	s_load_b64 s[0:1], s[0:1], 0x48
	s_and_b32 s2, vcc_lo, s2
	s_delay_alu instid0(SALU_CYCLE_1) | instskip(NEXT) | instid1(SALU_CYCLE_1)
	s_and_saveexec_b32 s3, s2
	s_xor_b32 s2, exec_lo, s3
	s_cbranch_execz .LBB300_23
; %bb.22:
	s_delay_alu instid0(VALU_DEP_3) | instskip(SKIP_1) | instid1(VALU_DEP_3)
	v_mul_f64_e64 v[6:7], v[16:17], -v[4:5]
	v_mul_f64_e32 v[8:9], v[2:3], v[16:17]
	v_mul_f64_e64 v[16:17], v[14:15], -v[4:5]
	v_mul_f64_e32 v[18:19], v[2:3], v[14:15]
                                        ; implicit-def: $vgpr14_vgpr15
	s_delay_alu instid0(VALU_DEP_4) | instskip(NEXT) | instid1(VALU_DEP_4)
	v_fmac_f64_e32 v[6:7], v[2:3], v[0:1]
	v_fmac_f64_e32 v[8:9], v[4:5], v[0:1]
	s_delay_alu instid0(VALU_DEP_4) | instskip(NEXT) | instid1(VALU_DEP_4)
	v_fmac_f64_e32 v[16:17], v[2:3], v[12:13]
	v_fmac_f64_e32 v[18:19], v[4:5], v[12:13]
	v_lshlrev_b32_e32 v0, 1, v10
                                        ; implicit-def: $vgpr10
                                        ; implicit-def: $vgpr12_vgpr13
                                        ; implicit-def: $vgpr4_vgpr5
	s_wait_kmcnt 0x0
	s_clause 0x1
	global_store_b128 v0, v[6:9], s[0:1] scale_offset
	global_store_b128 v0, v[16:19], s[0:1] offset:16 scale_offset
                                        ; implicit-def: $vgpr0_vgpr1
                                        ; implicit-def: $vgpr16_vgpr17
                                        ; implicit-def: $vgpr8_vgpr9
.LBB300_23:
	s_wait_xcnt 0x0
	s_and_not1_saveexec_b32 s2, s2
	s_cbranch_execz .LBB300_25
; %bb.24:
	s_delay_alu instid0(VALU_DEP_3) | instskip(SKIP_1) | instid1(VALU_DEP_3)
	v_dual_mul_f64 v[26:27], v[16:17], -v[4:5] :: v_dual_lshlrev_b32 v30, 1, v10
	v_mul_f64_e32 v[16:17], v[2:3], v[16:17]
	v_mul_f64_e64 v[28:29], v[14:15], -v[4:5]
	v_mul_f64_e32 v[10:11], v[2:3], v[14:15]
	s_wait_kmcnt 0x0
	s_clause 0x1
	global_load_b128 v[18:21], v30, s[0:1] scale_offset
	global_load_b128 v[22:25], v30, s[0:1] offset:16 scale_offset
	v_fmac_f64_e32 v[26:27], v[2:3], v[0:1]
	v_fmac_f64_e32 v[16:17], v[4:5], v[0:1]
	;; [unrolled: 1-line block ×4, first 2 shown]
	s_wait_loadcnt 0x1
	s_delay_alu instid0(VALU_DEP_4) | instskip(NEXT) | instid1(VALU_DEP_4)
	v_fmac_f64_e32 v[26:27], v[6:7], v[18:19]
	v_fmac_f64_e32 v[16:17], v[8:9], v[18:19]
	s_wait_loadcnt 0x0
	s_delay_alu instid0(VALU_DEP_4) | instskip(NEXT) | instid1(VALU_DEP_4)
	v_fmac_f64_e32 v[28:29], v[6:7], v[22:23]
	v_fmac_f64_e32 v[10:11], v[8:9], v[22:23]
	s_delay_alu instid0(VALU_DEP_4) | instskip(NEXT) | instid1(VALU_DEP_4)
	v_fma_f64 v[14:15], -v[8:9], v[20:21], v[26:27]
	v_fmac_f64_e32 v[16:17], v[6:7], v[20:21]
	s_delay_alu instid0(VALU_DEP_4) | instskip(NEXT) | instid1(VALU_DEP_4)
	v_fma_f64 v[8:9], -v[8:9], v[24:25], v[28:29]
	v_fmac_f64_e32 v[10:11], v[6:7], v[24:25]
	s_clause 0x1
	global_store_b128 v30, v[14:17], s[0:1] scale_offset
	global_store_b128 v30, v[8:11], s[0:1] offset:16 scale_offset
.LBB300_25:
	s_sendmsg sendmsg(MSG_DEALLOC_VGPRS)
	s_endpgm
	.section	.rodata,"a",@progbits
	.p2align	6, 0x0
	.amdhsa_kernel _ZN9rocsparseL19gebsrmvn_2xn_kernelILj128ELj16ELj16E21rocsparse_complex_numIdEEEvi20rocsparse_direction_NS_24const_host_device_scalarIT2_EEPKiS8_PKS5_SA_S6_PS5_21rocsparse_index_base_b
		.amdhsa_group_segment_fixed_size 0
		.amdhsa_private_segment_fixed_size 0
		.amdhsa_kernarg_size 88
		.amdhsa_user_sgpr_count 2
		.amdhsa_user_sgpr_dispatch_ptr 0
		.amdhsa_user_sgpr_queue_ptr 0
		.amdhsa_user_sgpr_kernarg_segment_ptr 1
		.amdhsa_user_sgpr_dispatch_id 0
		.amdhsa_user_sgpr_kernarg_preload_length 0
		.amdhsa_user_sgpr_kernarg_preload_offset 0
		.amdhsa_user_sgpr_private_segment_size 0
		.amdhsa_wavefront_size32 1
		.amdhsa_uses_dynamic_stack 0
		.amdhsa_enable_private_segment 0
		.amdhsa_system_sgpr_workgroup_id_x 1
		.amdhsa_system_sgpr_workgroup_id_y 0
		.amdhsa_system_sgpr_workgroup_id_z 0
		.amdhsa_system_sgpr_workgroup_info 0
		.amdhsa_system_vgpr_workitem_id 0
		.amdhsa_next_free_vgpr 80
		.amdhsa_next_free_sgpr 16
		.amdhsa_named_barrier_count 0
		.amdhsa_reserve_vcc 1
		.amdhsa_float_round_mode_32 0
		.amdhsa_float_round_mode_16_64 0
		.amdhsa_float_denorm_mode_32 3
		.amdhsa_float_denorm_mode_16_64 3
		.amdhsa_fp16_overflow 0
		.amdhsa_memory_ordered 1
		.amdhsa_forward_progress 1
		.amdhsa_inst_pref_size 19
		.amdhsa_round_robin_scheduling 0
		.amdhsa_exception_fp_ieee_invalid_op 0
		.amdhsa_exception_fp_denorm_src 0
		.amdhsa_exception_fp_ieee_div_zero 0
		.amdhsa_exception_fp_ieee_overflow 0
		.amdhsa_exception_fp_ieee_underflow 0
		.amdhsa_exception_fp_ieee_inexact 0
		.amdhsa_exception_int_div_zero 0
	.end_amdhsa_kernel
	.section	.text._ZN9rocsparseL19gebsrmvn_2xn_kernelILj128ELj16ELj16E21rocsparse_complex_numIdEEEvi20rocsparse_direction_NS_24const_host_device_scalarIT2_EEPKiS8_PKS5_SA_S6_PS5_21rocsparse_index_base_b,"axG",@progbits,_ZN9rocsparseL19gebsrmvn_2xn_kernelILj128ELj16ELj16E21rocsparse_complex_numIdEEEvi20rocsparse_direction_NS_24const_host_device_scalarIT2_EEPKiS8_PKS5_SA_S6_PS5_21rocsparse_index_base_b,comdat
.Lfunc_end300:
	.size	_ZN9rocsparseL19gebsrmvn_2xn_kernelILj128ELj16ELj16E21rocsparse_complex_numIdEEEvi20rocsparse_direction_NS_24const_host_device_scalarIT2_EEPKiS8_PKS5_SA_S6_PS5_21rocsparse_index_base_b, .Lfunc_end300-_ZN9rocsparseL19gebsrmvn_2xn_kernelILj128ELj16ELj16E21rocsparse_complex_numIdEEEvi20rocsparse_direction_NS_24const_host_device_scalarIT2_EEPKiS8_PKS5_SA_S6_PS5_21rocsparse_index_base_b
                                        ; -- End function
	.set _ZN9rocsparseL19gebsrmvn_2xn_kernelILj128ELj16ELj16E21rocsparse_complex_numIdEEEvi20rocsparse_direction_NS_24const_host_device_scalarIT2_EEPKiS8_PKS5_SA_S6_PS5_21rocsparse_index_base_b.num_vgpr, 80
	.set _ZN9rocsparseL19gebsrmvn_2xn_kernelILj128ELj16ELj16E21rocsparse_complex_numIdEEEvi20rocsparse_direction_NS_24const_host_device_scalarIT2_EEPKiS8_PKS5_SA_S6_PS5_21rocsparse_index_base_b.num_agpr, 0
	.set _ZN9rocsparseL19gebsrmvn_2xn_kernelILj128ELj16ELj16E21rocsparse_complex_numIdEEEvi20rocsparse_direction_NS_24const_host_device_scalarIT2_EEPKiS8_PKS5_SA_S6_PS5_21rocsparse_index_base_b.numbered_sgpr, 16
	.set _ZN9rocsparseL19gebsrmvn_2xn_kernelILj128ELj16ELj16E21rocsparse_complex_numIdEEEvi20rocsparse_direction_NS_24const_host_device_scalarIT2_EEPKiS8_PKS5_SA_S6_PS5_21rocsparse_index_base_b.num_named_barrier, 0
	.set _ZN9rocsparseL19gebsrmvn_2xn_kernelILj128ELj16ELj16E21rocsparse_complex_numIdEEEvi20rocsparse_direction_NS_24const_host_device_scalarIT2_EEPKiS8_PKS5_SA_S6_PS5_21rocsparse_index_base_b.private_seg_size, 0
	.set _ZN9rocsparseL19gebsrmvn_2xn_kernelILj128ELj16ELj16E21rocsparse_complex_numIdEEEvi20rocsparse_direction_NS_24const_host_device_scalarIT2_EEPKiS8_PKS5_SA_S6_PS5_21rocsparse_index_base_b.uses_vcc, 1
	.set _ZN9rocsparseL19gebsrmvn_2xn_kernelILj128ELj16ELj16E21rocsparse_complex_numIdEEEvi20rocsparse_direction_NS_24const_host_device_scalarIT2_EEPKiS8_PKS5_SA_S6_PS5_21rocsparse_index_base_b.uses_flat_scratch, 0
	.set _ZN9rocsparseL19gebsrmvn_2xn_kernelILj128ELj16ELj16E21rocsparse_complex_numIdEEEvi20rocsparse_direction_NS_24const_host_device_scalarIT2_EEPKiS8_PKS5_SA_S6_PS5_21rocsparse_index_base_b.has_dyn_sized_stack, 0
	.set _ZN9rocsparseL19gebsrmvn_2xn_kernelILj128ELj16ELj16E21rocsparse_complex_numIdEEEvi20rocsparse_direction_NS_24const_host_device_scalarIT2_EEPKiS8_PKS5_SA_S6_PS5_21rocsparse_index_base_b.has_recursion, 0
	.set _ZN9rocsparseL19gebsrmvn_2xn_kernelILj128ELj16ELj16E21rocsparse_complex_numIdEEEvi20rocsparse_direction_NS_24const_host_device_scalarIT2_EEPKiS8_PKS5_SA_S6_PS5_21rocsparse_index_base_b.has_indirect_call, 0
	.section	.AMDGPU.csdata,"",@progbits
; Kernel info:
; codeLenInByte = 2364
; TotalNumSgprs: 18
; NumVgprs: 80
; ScratchSize: 0
; MemoryBound: 1
; FloatMode: 240
; IeeeMode: 1
; LDSByteSize: 0 bytes/workgroup (compile time only)
; SGPRBlocks: 0
; VGPRBlocks: 4
; NumSGPRsForWavesPerEU: 18
; NumVGPRsForWavesPerEU: 80
; NamedBarCnt: 0
; Occupancy: 12
; WaveLimiterHint : 1
; COMPUTE_PGM_RSRC2:SCRATCH_EN: 0
; COMPUTE_PGM_RSRC2:USER_SGPR: 2
; COMPUTE_PGM_RSRC2:TRAP_HANDLER: 0
; COMPUTE_PGM_RSRC2:TGID_X_EN: 1
; COMPUTE_PGM_RSRC2:TGID_Y_EN: 0
; COMPUTE_PGM_RSRC2:TGID_Z_EN: 0
; COMPUTE_PGM_RSRC2:TIDIG_COMP_CNT: 0
	.section	.text._ZN9rocsparseL19gebsrmvn_2xn_kernelILj128ELj16ELj32E21rocsparse_complex_numIdEEEvi20rocsparse_direction_NS_24const_host_device_scalarIT2_EEPKiS8_PKS5_SA_S6_PS5_21rocsparse_index_base_b,"axG",@progbits,_ZN9rocsparseL19gebsrmvn_2xn_kernelILj128ELj16ELj32E21rocsparse_complex_numIdEEEvi20rocsparse_direction_NS_24const_host_device_scalarIT2_EEPKiS8_PKS5_SA_S6_PS5_21rocsparse_index_base_b,comdat
	.globl	_ZN9rocsparseL19gebsrmvn_2xn_kernelILj128ELj16ELj32E21rocsparse_complex_numIdEEEvi20rocsparse_direction_NS_24const_host_device_scalarIT2_EEPKiS8_PKS5_SA_S6_PS5_21rocsparse_index_base_b ; -- Begin function _ZN9rocsparseL19gebsrmvn_2xn_kernelILj128ELj16ELj32E21rocsparse_complex_numIdEEEvi20rocsparse_direction_NS_24const_host_device_scalarIT2_EEPKiS8_PKS5_SA_S6_PS5_21rocsparse_index_base_b
	.p2align	8
	.type	_ZN9rocsparseL19gebsrmvn_2xn_kernelILj128ELj16ELj32E21rocsparse_complex_numIdEEEvi20rocsparse_direction_NS_24const_host_device_scalarIT2_EEPKiS8_PKS5_SA_S6_PS5_21rocsparse_index_base_b,@function
_ZN9rocsparseL19gebsrmvn_2xn_kernelILj128ELj16ELj32E21rocsparse_complex_numIdEEEvi20rocsparse_direction_NS_24const_host_device_scalarIT2_EEPKiS8_PKS5_SA_S6_PS5_21rocsparse_index_base_b: ; @_ZN9rocsparseL19gebsrmvn_2xn_kernelILj128ELj16ELj32E21rocsparse_complex_numIdEEEvi20rocsparse_direction_NS_24const_host_device_scalarIT2_EEPKiS8_PKS5_SA_S6_PS5_21rocsparse_index_base_b
; %bb.0:
	s_clause 0x1
	s_load_b64 s[12:13], s[0:1], 0x50
	s_load_b64 s[2:3], s[0:1], 0x8
	v_mov_b32_e32 v1, 0
	s_add_nc_u64 s[4:5], s[0:1], 8
	s_load_b64 s[6:7], s[0:1], 0x38
	s_wait_kmcnt 0x0
	s_bitcmp1_b32 s13, 0
	s_cselect_b32 s3, s5, s3
	s_cselect_b32 s2, s4, s2
	flat_load_b128 v[2:5], v1, s[2:3]
	s_wait_xcnt 0x0
	s_add_nc_u64 s[2:3], s[0:1], 56
	s_delay_alu instid0(SALU_CYCLE_1)
	s_cselect_b32 s3, s3, s7
	s_cselect_b32 s2, s2, s6
	flat_load_b128 v[6:9], v1, s[2:3]
	s_wait_loadcnt_dscnt 0x101
	v_cmp_eq_f64_e32 vcc_lo, 0, v[2:3]
	s_wait_xcnt 0x0
	v_cmp_eq_f64_e64 s2, 0, v[4:5]
	s_and_b32 s4, vcc_lo, s2
	s_mov_b32 s2, -1
	s_and_saveexec_b32 s3, s4
	s_cbranch_execz .LBB301_2
; %bb.1:
	s_wait_loadcnt_dscnt 0x0
	v_cmp_neq_f64_e32 vcc_lo, 1.0, v[6:7]
	v_cmp_neq_f64_e64 s2, 0, v[8:9]
	s_or_b32 s2, vcc_lo, s2
	s_delay_alu instid0(SALU_CYCLE_1)
	s_or_not1_b32 s2, s2, exec_lo
.LBB301_2:
	s_or_b32 exec_lo, exec_lo, s3
	s_and_saveexec_b32 s3, s2
	s_cbranch_execz .LBB301_25
; %bb.3:
	s_load_b64 s[2:3], s[0:1], 0x0
	s_bfe_u32 s4, ttmp6, 0x4000c
	s_and_b32 s5, ttmp6, 15
	s_add_co_i32 s4, s4, 1
	s_getreg_b32 s6, hwreg(HW_REG_IB_STS2, 6, 4)
	s_mul_i32 s4, ttmp9, s4
	v_lshrrev_b32_e32 v1, 5, v0
	s_add_co_i32 s5, s5, s4
	s_cmp_eq_u32 s6, 0
	s_cselect_b32 s4, ttmp9, s5
	s_delay_alu instid0(VALU_DEP_1) | instid1(SALU_CYCLE_1)
	v_lshl_or_b32 v10, s4, 2, v1
	s_wait_kmcnt 0x0
	s_delay_alu instid0(VALU_DEP_1)
	v_cmp_gt_i32_e32 vcc_lo, s2, v10
	s_and_b32 exec_lo, exec_lo, vcc_lo
	s_cbranch_execz .LBB301_25
; %bb.4:
	s_load_b256 s[4:11], s[0:1], 0x18
	v_ashrrev_i32_e32 v11, 31, v10
	s_cmp_lg_u32 s3, 0
	s_wait_kmcnt 0x0
	s_delay_alu instid0(VALU_DEP_1)
	v_lshl_add_u64 v[12:13], v[10:11], 2, s[4:5]
	v_and_b32_e32 v11, 31, v0
	global_load_b64 v[12:13], v[12:13], off
	s_wait_loadcnt 0x0
	v_subrev_nc_u32_e32 v0, s12, v12
	v_subrev_nc_u32_e32 v24, s12, v13
	s_delay_alu instid0(VALU_DEP_2) | instskip(NEXT) | instid1(VALU_DEP_1)
	v_add_nc_u32_e32 v25, v0, v11
	v_cmp_lt_i32_e64 s2, v25, v24
	s_cbranch_scc0 .LBB301_12
; %bb.5:
	v_mov_b64_e32 v[0:1], 0
	v_mov_b64_e32 v[14:15], 0
	;; [unrolled: 1-line block ×4, first 2 shown]
	s_and_saveexec_b32 s3, s2
	s_cbranch_execz .LBB301_11
; %bb.6:
	v_dual_mov_b32 v19, 0 :: v_dual_lshlrev_b32 v18, 5, v25
	v_mov_b64_e32 v[0:1], 0
	v_mov_b64_e32 v[14:15], 0
	;; [unrolled: 1-line block ×4, first 2 shown]
	v_dual_mov_b32 v27, v25 :: v_dual_bitop2_b32 v26, 6, v18 bitop3:0x54
	s_add_nc_u64 s[4:5], s[8:9], 16
	s_mov_b32 s13, 0
.LBB301_7:                              ; =>This Loop Header: Depth=1
                                        ;     Child Loop BB301_8 Depth 2
	global_load_b32 v20, v27, s[6:7] scale_offset
	v_mov_b32_e32 v28, v26
	s_mov_b64 s[14:15], 0
	s_wait_loadcnt 0x0
	v_subrev_nc_u32_e32 v20, s12, v20
	s_delay_alu instid0(VALU_DEP_1) | instskip(SKIP_1) | instid1(VALU_DEP_2)
	v_dual_mov_b32 v23, v19 :: v_dual_lshlrev_b32 v22, 4, v20
	v_lshl_add_u64 v[20:21], v[18:19], 4, s[4:5]
	v_lshl_add_u64 v[22:23], v[22:23], 4, s[10:11]
.LBB301_8:                              ;   Parent Loop BB301_7 Depth=1
                                        ; =>  This Inner Loop Header: Depth=2
	s_delay_alu instid0(VALU_DEP_1)
	v_add_nc_u64_e32 v[78:79], s[14:15], v[22:23]
	v_add_nc_u32_e32 v29, -4, v28
	s_add_nc_u64 s[14:15], s[14:15], 64
	s_clause 0x1
	global_load_b128 v[30:33], v[20:21], off
	global_load_b128 v[34:37], v[20:21], off offset:-16
	s_clause 0x1
	global_load_b128 v[38:41], v[78:79], off
	global_load_b128 v[42:45], v[78:79], off offset:16
	s_clause 0x1
	global_load_b128 v[46:49], v29, s[8:9] scale_offset
	global_load_b128 v[50:53], v29, s[8:9] offset:16 scale_offset
	s_wait_xcnt 0x0
	v_add_nc_u32_e32 v29, -2, v28
	v_add_nc_u64_e32 v[20:21], 0x80, v[20:21]
	s_cmp_eq_u32 s14, 0x100
	s_clause 0x1
	global_load_b128 v[54:57], v29, s[8:9] offset:16 scale_offset
	global_load_b128 v[58:61], v29, s[8:9] scale_offset
	s_clause 0x1
	global_load_b128 v[62:65], v[78:79], off offset:32
	global_load_b128 v[66:69], v[78:79], off offset:48
	s_clause 0x1
	global_load_b128 v[70:73], v28, s[8:9] scale_offset
	global_load_b128 v[74:77], v28, s[8:9] offset:16 scale_offset
	s_wait_xcnt 0x0
	v_add_nc_u32_e32 v28, 8, v28
	s_wait_loadcnt 0x9
	v_fmac_f64_e32 v[14:15], v[34:35], v[38:39]
	v_fmac_f64_e32 v[0:1], v[36:37], v[38:39]
	;; [unrolled: 1-line block ×4, first 2 shown]
	s_delay_alu instid0(VALU_DEP_4) | instskip(NEXT) | instid1(VALU_DEP_4)
	v_fma_f64 v[14:15], -v[36:37], v[40:41], v[14:15]
	v_fmac_f64_e32 v[0:1], v[34:35], v[40:41]
	s_delay_alu instid0(VALU_DEP_4) | instskip(NEXT) | instid1(VALU_DEP_4)
	v_fma_f64 v[16:17], -v[32:33], v[40:41], v[16:17]
	v_fmac_f64_e32 v[12:13], v[30:31], v[40:41]
	s_wait_loadcnt 0x7
	s_delay_alu instid0(VALU_DEP_4) | instskip(NEXT) | instid1(VALU_DEP_4)
	v_fmac_f64_e32 v[14:15], v[46:47], v[42:43]
	v_fmac_f64_e32 v[0:1], v[48:49], v[42:43]
	s_wait_loadcnt 0x6
	s_delay_alu instid0(VALU_DEP_4) | instskip(NEXT) | instid1(VALU_DEP_4)
	v_fmac_f64_e32 v[16:17], v[50:51], v[42:43]
	v_fmac_f64_e32 v[12:13], v[52:53], v[42:43]
	s_delay_alu instid0(VALU_DEP_4) | instskip(NEXT) | instid1(VALU_DEP_4)
	v_fma_f64 v[14:15], -v[48:49], v[44:45], v[14:15]
	v_fmac_f64_e32 v[0:1], v[46:47], v[44:45]
	s_delay_alu instid0(VALU_DEP_4) | instskip(NEXT) | instid1(VALU_DEP_4)
	v_fma_f64 v[16:17], -v[52:53], v[44:45], v[16:17]
	v_fmac_f64_e32 v[12:13], v[50:51], v[44:45]
	s_wait_loadcnt 0x3
	s_delay_alu instid0(VALU_DEP_4) | instskip(NEXT) | instid1(VALU_DEP_4)
	v_fmac_f64_e32 v[14:15], v[58:59], v[62:63]
	v_fmac_f64_e32 v[0:1], v[60:61], v[62:63]
	s_delay_alu instid0(VALU_DEP_4) | instskip(NEXT) | instid1(VALU_DEP_4)
	v_fmac_f64_e32 v[16:17], v[54:55], v[62:63]
	v_fmac_f64_e32 v[12:13], v[56:57], v[62:63]
	s_delay_alu instid0(VALU_DEP_4) | instskip(NEXT) | instid1(VALU_DEP_4)
	v_fma_f64 v[14:15], -v[60:61], v[64:65], v[14:15]
	v_fmac_f64_e32 v[0:1], v[58:59], v[64:65]
	s_delay_alu instid0(VALU_DEP_4) | instskip(NEXT) | instid1(VALU_DEP_4)
	v_fma_f64 v[16:17], -v[56:57], v[64:65], v[16:17]
	v_fmac_f64_e32 v[12:13], v[54:55], v[64:65]
	s_wait_loadcnt 0x1
	s_delay_alu instid0(VALU_DEP_4) | instskip(NEXT) | instid1(VALU_DEP_4)
	v_fmac_f64_e32 v[14:15], v[70:71], v[66:67]
	v_fmac_f64_e32 v[0:1], v[72:73], v[66:67]
	s_wait_loadcnt 0x0
	s_delay_alu instid0(VALU_DEP_4) | instskip(NEXT) | instid1(VALU_DEP_4)
	v_fmac_f64_e32 v[16:17], v[74:75], v[66:67]
	v_fmac_f64_e32 v[12:13], v[76:77], v[66:67]
	s_delay_alu instid0(VALU_DEP_4) | instskip(NEXT) | instid1(VALU_DEP_4)
	v_fma_f64 v[14:15], -v[72:73], v[68:69], v[14:15]
	v_fmac_f64_e32 v[0:1], v[70:71], v[68:69]
	s_delay_alu instid0(VALU_DEP_4) | instskip(NEXT) | instid1(VALU_DEP_4)
	v_fma_f64 v[16:17], -v[76:77], v[68:69], v[16:17]
	v_fmac_f64_e32 v[12:13], v[74:75], v[68:69]
	s_cbranch_scc0 .LBB301_8
; %bb.9:                                ;   in Loop: Header=BB301_7 Depth=1
	v_add_nc_u32_e32 v27, 32, v27
	v_add_nc_u32_e32 v26, 0x400, v26
	v_add_nc_u32_e32 v18, 0x400, v18
	s_delay_alu instid0(VALU_DEP_3) | instskip(SKIP_1) | instid1(SALU_CYCLE_1)
	v_cmp_ge_i32_e32 vcc_lo, v27, v24
	s_or_b32 s13, vcc_lo, s13
	s_and_not1_b32 exec_lo, exec_lo, s13
	s_cbranch_execnz .LBB301_7
; %bb.10:
	s_or_b32 exec_lo, exec_lo, s13
.LBB301_11:
	s_delay_alu instid0(SALU_CYCLE_1)
	s_or_b32 exec_lo, exec_lo, s3
	s_cbranch_execz .LBB301_13
	s_branch .LBB301_20
.LBB301_12:
                                        ; implicit-def: $vgpr0_vgpr1
                                        ; implicit-def: $vgpr14_vgpr15
                                        ; implicit-def: $vgpr16_vgpr17
                                        ; implicit-def: $vgpr12_vgpr13
.LBB301_13:
	v_mov_b64_e32 v[0:1], 0
	v_mov_b64_e32 v[14:15], 0
	;; [unrolled: 1-line block ×4, first 2 shown]
	s_and_saveexec_b32 s4, s2
	s_cbranch_execz .LBB301_19
; %bb.14:
	v_mov_b64_e32 v[0:1], 0
	v_mov_b64_e32 v[14:15], 0
	;; [unrolled: 1-line block ×4, first 2 shown]
	v_dual_mov_b32 v19, 0 :: v_dual_lshlrev_b32 v18, 5, v25
	s_mov_b32 s5, 0
.LBB301_15:                             ; =>This Loop Header: Depth=1
                                        ;     Child Loop BB301_16 Depth 2
	global_load_b32 v20, v25, s[6:7] scale_offset
	s_mov_b64 s[2:3], 0
	v_mov_b32_e32 v23, v19
	s_wait_loadcnt 0x0
	v_subrev_nc_u32_e32 v20, s12, v20
	s_delay_alu instid0(VALU_DEP_1) | instskip(SKIP_1) | instid1(VALU_DEP_2)
	v_lshlrev_b32_e32 v22, 4, v20
	v_lshl_add_u64 v[20:21], v[18:19], 4, s[8:9]
	v_lshl_add_u64 v[22:23], v[22:23], 4, s[10:11]
.LBB301_16:                             ;   Parent Loop BB301_15 Depth=1
                                        ; =>  This Inner Loop Header: Depth=2
	s_delay_alu instid0(VALU_DEP_2) | instskip(NEXT) | instid1(VALU_DEP_2)
	v_add_nc_u64_e32 v[74:75], s[2:3], v[20:21]
	v_add_nc_u64_e32 v[76:77], s[2:3], v[22:23]
	s_add_nc_u64 s[2:3], s[2:3], 64
	global_load_b128 v[26:29], v[74:75], off
	global_load_b128 v[30:33], v[76:77], off
	s_clause 0x1
	global_load_b128 v[34:37], v[74:75], off offset:256
	global_load_b128 v[38:41], v[74:75], off offset:16
	global_load_b128 v[42:45], v[76:77], off offset:16
	s_clause 0x1
	global_load_b128 v[46:49], v[74:75], off offset:272
	global_load_b128 v[50:53], v[74:75], off offset:32
	global_load_b128 v[54:57], v[76:77], off offset:32
	;; [unrolled: 4-line block ×3, first 2 shown]
	global_load_b128 v[70:73], v[74:75], off offset:304
	s_cmp_eq_u32 s2, 0x100
	s_wait_loadcnt 0xa
	v_fmac_f64_e32 v[14:15], v[26:27], v[30:31]
	v_fmac_f64_e32 v[0:1], v[28:29], v[30:31]
	s_wait_loadcnt 0x9
	v_fmac_f64_e32 v[16:17], v[34:35], v[30:31]
	v_fmac_f64_e32 v[12:13], v[36:37], v[30:31]
	s_delay_alu instid0(VALU_DEP_4) | instskip(NEXT) | instid1(VALU_DEP_4)
	v_fma_f64 v[14:15], -v[28:29], v[32:33], v[14:15]
	v_fmac_f64_e32 v[0:1], v[26:27], v[32:33]
	s_delay_alu instid0(VALU_DEP_4) | instskip(NEXT) | instid1(VALU_DEP_4)
	v_fma_f64 v[16:17], -v[36:37], v[32:33], v[16:17]
	v_fmac_f64_e32 v[12:13], v[34:35], v[32:33]
	s_wait_loadcnt 0x7
	s_delay_alu instid0(VALU_DEP_4) | instskip(NEXT) | instid1(VALU_DEP_4)
	v_fmac_f64_e32 v[14:15], v[38:39], v[42:43]
	v_fmac_f64_e32 v[0:1], v[40:41], v[42:43]
	s_wait_loadcnt 0x6
	s_delay_alu instid0(VALU_DEP_4) | instskip(NEXT) | instid1(VALU_DEP_4)
	v_fmac_f64_e32 v[16:17], v[46:47], v[42:43]
	v_fmac_f64_e32 v[12:13], v[48:49], v[42:43]
	s_delay_alu instid0(VALU_DEP_4) | instskip(NEXT) | instid1(VALU_DEP_4)
	v_fma_f64 v[14:15], -v[40:41], v[44:45], v[14:15]
	v_fmac_f64_e32 v[0:1], v[38:39], v[44:45]
	s_delay_alu instid0(VALU_DEP_4) | instskip(NEXT) | instid1(VALU_DEP_4)
	v_fma_f64 v[16:17], -v[48:49], v[44:45], v[16:17]
	v_fmac_f64_e32 v[12:13], v[46:47], v[44:45]
	s_wait_loadcnt 0x4
	s_delay_alu instid0(VALU_DEP_4) | instskip(NEXT) | instid1(VALU_DEP_4)
	v_fmac_f64_e32 v[14:15], v[50:51], v[54:55]
	v_fmac_f64_e32 v[0:1], v[52:53], v[54:55]
	s_wait_loadcnt 0x3
	s_delay_alu instid0(VALU_DEP_4) | instskip(NEXT) | instid1(VALU_DEP_4)
	;; [unrolled: 14-line block ×3, first 2 shown]
	v_fmac_f64_e32 v[16:17], v[70:71], v[66:67]
	v_fmac_f64_e32 v[12:13], v[72:73], v[66:67]
	s_delay_alu instid0(VALU_DEP_4) | instskip(NEXT) | instid1(VALU_DEP_4)
	v_fma_f64 v[14:15], -v[64:65], v[68:69], v[14:15]
	v_fmac_f64_e32 v[0:1], v[62:63], v[68:69]
	s_delay_alu instid0(VALU_DEP_4) | instskip(NEXT) | instid1(VALU_DEP_4)
	v_fma_f64 v[16:17], -v[72:73], v[68:69], v[16:17]
	v_fmac_f64_e32 v[12:13], v[70:71], v[68:69]
	s_cbranch_scc0 .LBB301_16
; %bb.17:                               ;   in Loop: Header=BB301_15 Depth=1
	v_add_nc_u32_e32 v25, 32, v25
	v_add_nc_u32_e32 v18, 0x400, v18
	s_delay_alu instid0(VALU_DEP_2) | instskip(SKIP_1) | instid1(SALU_CYCLE_1)
	v_cmp_ge_i32_e32 vcc_lo, v25, v24
	s_or_b32 s5, vcc_lo, s5
	s_and_not1_b32 exec_lo, exec_lo, s5
	s_cbranch_execnz .LBB301_15
; %bb.18:
	s_or_b32 exec_lo, exec_lo, s5
.LBB301_19:
	s_delay_alu instid0(SALU_CYCLE_1)
	s_or_b32 exec_lo, exec_lo, s4
.LBB301_20:
	v_mbcnt_lo_u32_b32 v28, -1, 0
	s_delay_alu instid0(VALU_DEP_1) | instskip(NEXT) | instid1(VALU_DEP_1)
	v_xor_b32_e32 v18, 16, v28
	v_cmp_gt_i32_e32 vcc_lo, 32, v18
	v_cndmask_b32_e32 v18, v28, v18, vcc_lo
	s_delay_alu instid0(VALU_DEP_1)
	v_lshlrev_b32_e32 v25, 2, v18
	ds_bpermute_b32 v20, v25, v0
	ds_bpermute_b32 v21, v25, v1
	s_wait_dscnt 0x0
	v_add_f64_e32 v[0:1], v[0:1], v[20:21]
	ds_bpermute_b32 v18, v25, v14
	ds_bpermute_b32 v19, v25, v15
	;; [unrolled: 1-line block ×6, first 2 shown]
	s_wait_dscnt 0x4
	v_dual_add_f64 v[14:15], v[14:15], v[18:19] :: v_dual_bitop2_b32 v18, 8, v28 bitop3:0x14
	s_wait_dscnt 0x2
	v_add_f64_e32 v[16:17], v[16:17], v[22:23]
	s_delay_alu instid0(VALU_DEP_2) | instskip(SKIP_2) | instid1(VALU_DEP_1)
	v_cmp_gt_i32_e32 vcc_lo, 32, v18
	v_cndmask_b32_e32 v18, v28, v18, vcc_lo
	s_wait_dscnt 0x0
	v_dual_add_f64 v[12:13], v[12:13], v[24:25] :: v_dual_lshlrev_b32 v25, 2, v18
	ds_bpermute_b32 v20, v25, v0
	ds_bpermute_b32 v21, v25, v1
	;; [unrolled: 1-line block ×8, first 2 shown]
	s_wait_dscnt 0x4
	v_dual_add_f64 v[14:15], v[14:15], v[18:19] :: v_dual_bitop2_b32 v18, 4, v28 bitop3:0x14
	s_wait_dscnt 0x2
	v_add_f64_e32 v[16:17], v[16:17], v[22:23]
	s_delay_alu instid0(VALU_DEP_2) | instskip(SKIP_3) | instid1(VALU_DEP_2)
	v_cmp_gt_i32_e32 vcc_lo, 32, v18
	v_cndmask_b32_e32 v18, v28, v18, vcc_lo
	v_add_f64_e32 v[0:1], v[0:1], v[20:21]
	s_wait_dscnt 0x0
	v_dual_add_f64 v[12:13], v[12:13], v[24:25] :: v_dual_lshlrev_b32 v25, 2, v18
	ds_bpermute_b32 v18, v25, v14
	ds_bpermute_b32 v19, v25, v15
	;; [unrolled: 1-line block ×8, first 2 shown]
	s_wait_dscnt 0x6
	v_add_f64_e32 v[14:15], v[14:15], v[18:19]
	s_wait_dscnt 0x2
	v_add_f64_e32 v[18:19], v[0:1], v[20:21]
	v_add_f64_e32 v[20:21], v[16:17], v[22:23]
	s_wait_dscnt 0x0
	v_add_f64_e32 v[22:23], v[12:13], v[24:25]
	v_xor_b32_e32 v0, 2, v28
	s_delay_alu instid0(VALU_DEP_1) | instskip(SKIP_1) | instid1(VALU_DEP_1)
	v_cmp_gt_i32_e32 vcc_lo, 32, v0
	v_cndmask_b32_e32 v0, v28, v0, vcc_lo
	v_lshlrev_b32_e32 v16, 2, v0
	ds_bpermute_b32 v0, v16, v14
	ds_bpermute_b32 v1, v16, v15
	;; [unrolled: 1-line block ×8, first 2 shown]
	s_wait_dscnt 0x4
	v_add_f64_e32 v[16:17], v[18:19], v[12:13]
	v_xor_b32_e32 v18, 1, v28
	s_wait_dscnt 0x2
	v_add_f64_e32 v[12:13], v[20:21], v[24:25]
	s_delay_alu instid0(VALU_DEP_2)
	v_cmp_gt_i32_e32 vcc_lo, 32, v18
	v_add_f64_e32 v[0:1], v[14:15], v[0:1]
	s_wait_dscnt 0x0
	v_add_f64_e32 v[14:15], v[22:23], v[26:27]
	v_cndmask_b32_e32 v18, v28, v18, vcc_lo
	v_cmp_eq_u32_e32 vcc_lo, 31, v11
	s_delay_alu instid0(VALU_DEP_2)
	v_lshlrev_b32_e32 v21, 2, v18
	ds_bpermute_b32 v22, v21, v16
	ds_bpermute_b32 v23, v21, v17
	;; [unrolled: 1-line block ×8, first 2 shown]
	s_and_b32 exec_lo, exec_lo, vcc_lo
	s_cbranch_execz .LBB301_25
; %bb.21:
	v_cmp_eq_f64_e32 vcc_lo, 0, v[6:7]
	v_cmp_eq_f64_e64 s2, 0, v[8:9]
	s_wait_dscnt 0x2
	v_add_f64_e32 v[0:1], v[0:1], v[24:25]
	v_add_f64_e32 v[16:17], v[16:17], v[22:23]
	;; [unrolled: 1-line block ×3, first 2 shown]
	s_wait_dscnt 0x0
	v_add_f64_e32 v[14:15], v[14:15], v[20:21]
	s_load_b64 s[0:1], s[0:1], 0x48
	s_and_b32 s2, vcc_lo, s2
	s_delay_alu instid0(SALU_CYCLE_1) | instskip(NEXT) | instid1(SALU_CYCLE_1)
	s_and_saveexec_b32 s3, s2
	s_xor_b32 s2, exec_lo, s3
	s_cbranch_execz .LBB301_23
; %bb.22:
	s_delay_alu instid0(VALU_DEP_3) | instskip(SKIP_1) | instid1(VALU_DEP_3)
	v_mul_f64_e64 v[6:7], v[16:17], -v[4:5]
	v_mul_f64_e32 v[8:9], v[2:3], v[16:17]
	v_mul_f64_e64 v[16:17], v[14:15], -v[4:5]
	v_mul_f64_e32 v[18:19], v[2:3], v[14:15]
                                        ; implicit-def: $vgpr14_vgpr15
	s_delay_alu instid0(VALU_DEP_4) | instskip(NEXT) | instid1(VALU_DEP_4)
	v_fmac_f64_e32 v[6:7], v[2:3], v[0:1]
	v_fmac_f64_e32 v[8:9], v[4:5], v[0:1]
	s_delay_alu instid0(VALU_DEP_4) | instskip(NEXT) | instid1(VALU_DEP_4)
	v_fmac_f64_e32 v[16:17], v[2:3], v[12:13]
	v_fmac_f64_e32 v[18:19], v[4:5], v[12:13]
	v_lshlrev_b32_e32 v0, 1, v10
                                        ; implicit-def: $vgpr10
                                        ; implicit-def: $vgpr12_vgpr13
                                        ; implicit-def: $vgpr4_vgpr5
	s_wait_kmcnt 0x0
	s_clause 0x1
	global_store_b128 v0, v[6:9], s[0:1] scale_offset
	global_store_b128 v0, v[16:19], s[0:1] offset:16 scale_offset
                                        ; implicit-def: $vgpr0_vgpr1
                                        ; implicit-def: $vgpr16_vgpr17
                                        ; implicit-def: $vgpr8_vgpr9
.LBB301_23:
	s_wait_xcnt 0x0
	s_and_not1_saveexec_b32 s2, s2
	s_cbranch_execz .LBB301_25
; %bb.24:
	s_delay_alu instid0(VALU_DEP_3) | instskip(SKIP_1) | instid1(VALU_DEP_3)
	v_dual_mul_f64 v[26:27], v[16:17], -v[4:5] :: v_dual_lshlrev_b32 v30, 1, v10
	v_mul_f64_e32 v[16:17], v[2:3], v[16:17]
	v_mul_f64_e64 v[28:29], v[14:15], -v[4:5]
	v_mul_f64_e32 v[10:11], v[2:3], v[14:15]
	s_wait_kmcnt 0x0
	s_clause 0x1
	global_load_b128 v[18:21], v30, s[0:1] scale_offset
	global_load_b128 v[22:25], v30, s[0:1] offset:16 scale_offset
	v_fmac_f64_e32 v[26:27], v[2:3], v[0:1]
	v_fmac_f64_e32 v[16:17], v[4:5], v[0:1]
	;; [unrolled: 1-line block ×4, first 2 shown]
	s_wait_loadcnt 0x1
	s_delay_alu instid0(VALU_DEP_4) | instskip(NEXT) | instid1(VALU_DEP_4)
	v_fmac_f64_e32 v[26:27], v[6:7], v[18:19]
	v_fmac_f64_e32 v[16:17], v[8:9], v[18:19]
	s_wait_loadcnt 0x0
	s_delay_alu instid0(VALU_DEP_4) | instskip(NEXT) | instid1(VALU_DEP_4)
	v_fmac_f64_e32 v[28:29], v[6:7], v[22:23]
	v_fmac_f64_e32 v[10:11], v[8:9], v[22:23]
	s_delay_alu instid0(VALU_DEP_4) | instskip(NEXT) | instid1(VALU_DEP_4)
	v_fma_f64 v[14:15], -v[8:9], v[20:21], v[26:27]
	v_fmac_f64_e32 v[16:17], v[6:7], v[20:21]
	s_delay_alu instid0(VALU_DEP_4) | instskip(NEXT) | instid1(VALU_DEP_4)
	v_fma_f64 v[8:9], -v[8:9], v[24:25], v[28:29]
	v_fmac_f64_e32 v[10:11], v[6:7], v[24:25]
	s_clause 0x1
	global_store_b128 v30, v[14:17], s[0:1] scale_offset
	global_store_b128 v30, v[8:11], s[0:1] offset:16 scale_offset
.LBB301_25:
	s_sendmsg sendmsg(MSG_DEALLOC_VGPRS)
	s_endpgm
	.section	.rodata,"a",@progbits
	.p2align	6, 0x0
	.amdhsa_kernel _ZN9rocsparseL19gebsrmvn_2xn_kernelILj128ELj16ELj32E21rocsparse_complex_numIdEEEvi20rocsparse_direction_NS_24const_host_device_scalarIT2_EEPKiS8_PKS5_SA_S6_PS5_21rocsparse_index_base_b
		.amdhsa_group_segment_fixed_size 0
		.amdhsa_private_segment_fixed_size 0
		.amdhsa_kernarg_size 88
		.amdhsa_user_sgpr_count 2
		.amdhsa_user_sgpr_dispatch_ptr 0
		.amdhsa_user_sgpr_queue_ptr 0
		.amdhsa_user_sgpr_kernarg_segment_ptr 1
		.amdhsa_user_sgpr_dispatch_id 0
		.amdhsa_user_sgpr_kernarg_preload_length 0
		.amdhsa_user_sgpr_kernarg_preload_offset 0
		.amdhsa_user_sgpr_private_segment_size 0
		.amdhsa_wavefront_size32 1
		.amdhsa_uses_dynamic_stack 0
		.amdhsa_enable_private_segment 0
		.amdhsa_system_sgpr_workgroup_id_x 1
		.amdhsa_system_sgpr_workgroup_id_y 0
		.amdhsa_system_sgpr_workgroup_id_z 0
		.amdhsa_system_sgpr_workgroup_info 0
		.amdhsa_system_vgpr_workitem_id 0
		.amdhsa_next_free_vgpr 80
		.amdhsa_next_free_sgpr 16
		.amdhsa_named_barrier_count 0
		.amdhsa_reserve_vcc 1
		.amdhsa_float_round_mode_32 0
		.amdhsa_float_round_mode_16_64 0
		.amdhsa_float_denorm_mode_32 3
		.amdhsa_float_denorm_mode_16_64 3
		.amdhsa_fp16_overflow 0
		.amdhsa_memory_ordered 1
		.amdhsa_forward_progress 1
		.amdhsa_inst_pref_size 20
		.amdhsa_round_robin_scheduling 0
		.amdhsa_exception_fp_ieee_invalid_op 0
		.amdhsa_exception_fp_denorm_src 0
		.amdhsa_exception_fp_ieee_div_zero 0
		.amdhsa_exception_fp_ieee_overflow 0
		.amdhsa_exception_fp_ieee_underflow 0
		.amdhsa_exception_fp_ieee_inexact 0
		.amdhsa_exception_int_div_zero 0
	.end_amdhsa_kernel
	.section	.text._ZN9rocsparseL19gebsrmvn_2xn_kernelILj128ELj16ELj32E21rocsparse_complex_numIdEEEvi20rocsparse_direction_NS_24const_host_device_scalarIT2_EEPKiS8_PKS5_SA_S6_PS5_21rocsparse_index_base_b,"axG",@progbits,_ZN9rocsparseL19gebsrmvn_2xn_kernelILj128ELj16ELj32E21rocsparse_complex_numIdEEEvi20rocsparse_direction_NS_24const_host_device_scalarIT2_EEPKiS8_PKS5_SA_S6_PS5_21rocsparse_index_base_b,comdat
.Lfunc_end301:
	.size	_ZN9rocsparseL19gebsrmvn_2xn_kernelILj128ELj16ELj32E21rocsparse_complex_numIdEEEvi20rocsparse_direction_NS_24const_host_device_scalarIT2_EEPKiS8_PKS5_SA_S6_PS5_21rocsparse_index_base_b, .Lfunc_end301-_ZN9rocsparseL19gebsrmvn_2xn_kernelILj128ELj16ELj32E21rocsparse_complex_numIdEEEvi20rocsparse_direction_NS_24const_host_device_scalarIT2_EEPKiS8_PKS5_SA_S6_PS5_21rocsparse_index_base_b
                                        ; -- End function
	.set _ZN9rocsparseL19gebsrmvn_2xn_kernelILj128ELj16ELj32E21rocsparse_complex_numIdEEEvi20rocsparse_direction_NS_24const_host_device_scalarIT2_EEPKiS8_PKS5_SA_S6_PS5_21rocsparse_index_base_b.num_vgpr, 80
	.set _ZN9rocsparseL19gebsrmvn_2xn_kernelILj128ELj16ELj32E21rocsparse_complex_numIdEEEvi20rocsparse_direction_NS_24const_host_device_scalarIT2_EEPKiS8_PKS5_SA_S6_PS5_21rocsparse_index_base_b.num_agpr, 0
	.set _ZN9rocsparseL19gebsrmvn_2xn_kernelILj128ELj16ELj32E21rocsparse_complex_numIdEEEvi20rocsparse_direction_NS_24const_host_device_scalarIT2_EEPKiS8_PKS5_SA_S6_PS5_21rocsparse_index_base_b.numbered_sgpr, 16
	.set _ZN9rocsparseL19gebsrmvn_2xn_kernelILj128ELj16ELj32E21rocsparse_complex_numIdEEEvi20rocsparse_direction_NS_24const_host_device_scalarIT2_EEPKiS8_PKS5_SA_S6_PS5_21rocsparse_index_base_b.num_named_barrier, 0
	.set _ZN9rocsparseL19gebsrmvn_2xn_kernelILj128ELj16ELj32E21rocsparse_complex_numIdEEEvi20rocsparse_direction_NS_24const_host_device_scalarIT2_EEPKiS8_PKS5_SA_S6_PS5_21rocsparse_index_base_b.private_seg_size, 0
	.set _ZN9rocsparseL19gebsrmvn_2xn_kernelILj128ELj16ELj32E21rocsparse_complex_numIdEEEvi20rocsparse_direction_NS_24const_host_device_scalarIT2_EEPKiS8_PKS5_SA_S6_PS5_21rocsparse_index_base_b.uses_vcc, 1
	.set _ZN9rocsparseL19gebsrmvn_2xn_kernelILj128ELj16ELj32E21rocsparse_complex_numIdEEEvi20rocsparse_direction_NS_24const_host_device_scalarIT2_EEPKiS8_PKS5_SA_S6_PS5_21rocsparse_index_base_b.uses_flat_scratch, 0
	.set _ZN9rocsparseL19gebsrmvn_2xn_kernelILj128ELj16ELj32E21rocsparse_complex_numIdEEEvi20rocsparse_direction_NS_24const_host_device_scalarIT2_EEPKiS8_PKS5_SA_S6_PS5_21rocsparse_index_base_b.has_dyn_sized_stack, 0
	.set _ZN9rocsparseL19gebsrmvn_2xn_kernelILj128ELj16ELj32E21rocsparse_complex_numIdEEEvi20rocsparse_direction_NS_24const_host_device_scalarIT2_EEPKiS8_PKS5_SA_S6_PS5_21rocsparse_index_base_b.has_recursion, 0
	.set _ZN9rocsparseL19gebsrmvn_2xn_kernelILj128ELj16ELj32E21rocsparse_complex_numIdEEEvi20rocsparse_direction_NS_24const_host_device_scalarIT2_EEPKiS8_PKS5_SA_S6_PS5_21rocsparse_index_base_b.has_indirect_call, 0
	.section	.AMDGPU.csdata,"",@progbits
; Kernel info:
; codeLenInByte = 2480
; TotalNumSgprs: 18
; NumVgprs: 80
; ScratchSize: 0
; MemoryBound: 1
; FloatMode: 240
; IeeeMode: 1
; LDSByteSize: 0 bytes/workgroup (compile time only)
; SGPRBlocks: 0
; VGPRBlocks: 4
; NumSGPRsForWavesPerEU: 18
; NumVGPRsForWavesPerEU: 80
; NamedBarCnt: 0
; Occupancy: 12
; WaveLimiterHint : 1
; COMPUTE_PGM_RSRC2:SCRATCH_EN: 0
; COMPUTE_PGM_RSRC2:USER_SGPR: 2
; COMPUTE_PGM_RSRC2:TRAP_HANDLER: 0
; COMPUTE_PGM_RSRC2:TGID_X_EN: 1
; COMPUTE_PGM_RSRC2:TGID_Y_EN: 0
; COMPUTE_PGM_RSRC2:TGID_Z_EN: 0
; COMPUTE_PGM_RSRC2:TIDIG_COMP_CNT: 0
	.section	.text._ZN9rocsparseL19gebsrmvn_2xn_kernelILj128ELj16ELj64E21rocsparse_complex_numIdEEEvi20rocsparse_direction_NS_24const_host_device_scalarIT2_EEPKiS8_PKS5_SA_S6_PS5_21rocsparse_index_base_b,"axG",@progbits,_ZN9rocsparseL19gebsrmvn_2xn_kernelILj128ELj16ELj64E21rocsparse_complex_numIdEEEvi20rocsparse_direction_NS_24const_host_device_scalarIT2_EEPKiS8_PKS5_SA_S6_PS5_21rocsparse_index_base_b,comdat
	.globl	_ZN9rocsparseL19gebsrmvn_2xn_kernelILj128ELj16ELj64E21rocsparse_complex_numIdEEEvi20rocsparse_direction_NS_24const_host_device_scalarIT2_EEPKiS8_PKS5_SA_S6_PS5_21rocsparse_index_base_b ; -- Begin function _ZN9rocsparseL19gebsrmvn_2xn_kernelILj128ELj16ELj64E21rocsparse_complex_numIdEEEvi20rocsparse_direction_NS_24const_host_device_scalarIT2_EEPKiS8_PKS5_SA_S6_PS5_21rocsparse_index_base_b
	.p2align	8
	.type	_ZN9rocsparseL19gebsrmvn_2xn_kernelILj128ELj16ELj64E21rocsparse_complex_numIdEEEvi20rocsparse_direction_NS_24const_host_device_scalarIT2_EEPKiS8_PKS5_SA_S6_PS5_21rocsparse_index_base_b,@function
_ZN9rocsparseL19gebsrmvn_2xn_kernelILj128ELj16ELj64E21rocsparse_complex_numIdEEEvi20rocsparse_direction_NS_24const_host_device_scalarIT2_EEPKiS8_PKS5_SA_S6_PS5_21rocsparse_index_base_b: ; @_ZN9rocsparseL19gebsrmvn_2xn_kernelILj128ELj16ELj64E21rocsparse_complex_numIdEEEvi20rocsparse_direction_NS_24const_host_device_scalarIT2_EEPKiS8_PKS5_SA_S6_PS5_21rocsparse_index_base_b
; %bb.0:
	s_clause 0x1
	s_load_b64 s[12:13], s[0:1], 0x50
	s_load_b64 s[2:3], s[0:1], 0x8
	v_mov_b32_e32 v1, 0
	s_add_nc_u64 s[4:5], s[0:1], 8
	s_load_b64 s[6:7], s[0:1], 0x38
	s_wait_kmcnt 0x0
	s_bitcmp1_b32 s13, 0
	s_cselect_b32 s3, s5, s3
	s_cselect_b32 s2, s4, s2
	flat_load_b128 v[2:5], v1, s[2:3]
	s_wait_xcnt 0x0
	s_add_nc_u64 s[2:3], s[0:1], 56
	s_delay_alu instid0(SALU_CYCLE_1)
	s_cselect_b32 s3, s3, s7
	s_cselect_b32 s2, s2, s6
	flat_load_b128 v[6:9], v1, s[2:3]
	s_wait_loadcnt_dscnt 0x101
	v_cmp_eq_f64_e32 vcc_lo, 0, v[2:3]
	s_wait_xcnt 0x0
	v_cmp_eq_f64_e64 s2, 0, v[4:5]
	s_and_b32 s4, vcc_lo, s2
	s_mov_b32 s2, -1
	s_and_saveexec_b32 s3, s4
	s_cbranch_execz .LBB302_2
; %bb.1:
	s_wait_loadcnt_dscnt 0x0
	v_cmp_neq_f64_e32 vcc_lo, 1.0, v[6:7]
	v_cmp_neq_f64_e64 s2, 0, v[8:9]
	s_or_b32 s2, vcc_lo, s2
	s_delay_alu instid0(SALU_CYCLE_1)
	s_or_not1_b32 s2, s2, exec_lo
.LBB302_2:
	s_or_b32 exec_lo, exec_lo, s3
	s_and_saveexec_b32 s3, s2
	s_cbranch_execz .LBB302_25
; %bb.3:
	s_load_b64 s[2:3], s[0:1], 0x0
	s_bfe_u32 s4, ttmp6, 0x4000c
	s_and_b32 s5, ttmp6, 15
	s_add_co_i32 s4, s4, 1
	s_getreg_b32 s6, hwreg(HW_REG_IB_STS2, 6, 4)
	s_mul_i32 s4, ttmp9, s4
	v_lshrrev_b32_e32 v1, 6, v0
	s_add_co_i32 s5, s5, s4
	s_cmp_eq_u32 s6, 0
	s_cselect_b32 s4, ttmp9, s5
	s_delay_alu instid0(VALU_DEP_1) | instid1(SALU_CYCLE_1)
	v_lshl_or_b32 v10, s4, 1, v1
	s_wait_kmcnt 0x0
	s_delay_alu instid0(VALU_DEP_1)
	v_cmp_gt_i32_e32 vcc_lo, s2, v10
	s_and_b32 exec_lo, exec_lo, vcc_lo
	s_cbranch_execz .LBB302_25
; %bb.4:
	s_load_b256 s[4:11], s[0:1], 0x18
	v_ashrrev_i32_e32 v11, 31, v10
	s_cmp_lg_u32 s3, 0
	s_wait_kmcnt 0x0
	s_delay_alu instid0(VALU_DEP_1)
	v_lshl_add_u64 v[12:13], v[10:11], 2, s[4:5]
	v_and_b32_e32 v11, 63, v0
	global_load_b64 v[12:13], v[12:13], off
	s_wait_loadcnt 0x0
	v_subrev_nc_u32_e32 v0, s12, v12
	v_subrev_nc_u32_e32 v24, s12, v13
	s_delay_alu instid0(VALU_DEP_2) | instskip(NEXT) | instid1(VALU_DEP_1)
	v_add_nc_u32_e32 v25, v0, v11
	v_cmp_lt_i32_e64 s2, v25, v24
	s_cbranch_scc0 .LBB302_12
; %bb.5:
	v_mov_b64_e32 v[0:1], 0
	v_mov_b64_e32 v[14:15], 0
	;; [unrolled: 1-line block ×4, first 2 shown]
	s_and_saveexec_b32 s3, s2
	s_cbranch_execz .LBB302_11
; %bb.6:
	v_dual_mov_b32 v19, 0 :: v_dual_lshlrev_b32 v18, 5, v25
	v_mov_b64_e32 v[0:1], 0
	v_mov_b64_e32 v[14:15], 0
	;; [unrolled: 1-line block ×4, first 2 shown]
	v_dual_mov_b32 v27, v25 :: v_dual_bitop2_b32 v26, 6, v18 bitop3:0x54
	s_add_nc_u64 s[4:5], s[8:9], 16
	s_mov_b32 s13, 0
.LBB302_7:                              ; =>This Loop Header: Depth=1
                                        ;     Child Loop BB302_8 Depth 2
	global_load_b32 v20, v27, s[6:7] scale_offset
	v_mov_b32_e32 v28, v26
	s_mov_b64 s[14:15], 0
	s_wait_loadcnt 0x0
	v_subrev_nc_u32_e32 v20, s12, v20
	s_delay_alu instid0(VALU_DEP_1) | instskip(SKIP_1) | instid1(VALU_DEP_2)
	v_dual_mov_b32 v23, v19 :: v_dual_lshlrev_b32 v22, 4, v20
	v_lshl_add_u64 v[20:21], v[18:19], 4, s[4:5]
	v_lshl_add_u64 v[22:23], v[22:23], 4, s[10:11]
.LBB302_8:                              ;   Parent Loop BB302_7 Depth=1
                                        ; =>  This Inner Loop Header: Depth=2
	s_delay_alu instid0(VALU_DEP_1)
	v_add_nc_u64_e32 v[78:79], s[14:15], v[22:23]
	v_add_nc_u32_e32 v29, -4, v28
	s_add_nc_u64 s[14:15], s[14:15], 64
	s_clause 0x1
	global_load_b128 v[30:33], v[20:21], off
	global_load_b128 v[34:37], v[20:21], off offset:-16
	s_clause 0x1
	global_load_b128 v[38:41], v[78:79], off
	global_load_b128 v[42:45], v[78:79], off offset:16
	s_clause 0x1
	global_load_b128 v[46:49], v29, s[8:9] scale_offset
	global_load_b128 v[50:53], v29, s[8:9] offset:16 scale_offset
	s_wait_xcnt 0x0
	v_add_nc_u32_e32 v29, -2, v28
	v_add_nc_u64_e32 v[20:21], 0x80, v[20:21]
	s_cmp_eq_u32 s14, 0x100
	s_clause 0x1
	global_load_b128 v[54:57], v29, s[8:9] offset:16 scale_offset
	global_load_b128 v[58:61], v29, s[8:9] scale_offset
	s_clause 0x1
	global_load_b128 v[62:65], v[78:79], off offset:32
	global_load_b128 v[66:69], v[78:79], off offset:48
	s_clause 0x1
	global_load_b128 v[70:73], v28, s[8:9] scale_offset
	global_load_b128 v[74:77], v28, s[8:9] offset:16 scale_offset
	s_wait_xcnt 0x0
	v_add_nc_u32_e32 v28, 8, v28
	s_wait_loadcnt 0x9
	v_fmac_f64_e32 v[14:15], v[34:35], v[38:39]
	v_fmac_f64_e32 v[0:1], v[36:37], v[38:39]
	v_fmac_f64_e32 v[16:17], v[30:31], v[38:39]
	v_fmac_f64_e32 v[12:13], v[32:33], v[38:39]
	s_delay_alu instid0(VALU_DEP_4) | instskip(NEXT) | instid1(VALU_DEP_4)
	v_fma_f64 v[14:15], -v[36:37], v[40:41], v[14:15]
	v_fmac_f64_e32 v[0:1], v[34:35], v[40:41]
	s_delay_alu instid0(VALU_DEP_4) | instskip(NEXT) | instid1(VALU_DEP_4)
	v_fma_f64 v[16:17], -v[32:33], v[40:41], v[16:17]
	v_fmac_f64_e32 v[12:13], v[30:31], v[40:41]
	s_wait_loadcnt 0x7
	s_delay_alu instid0(VALU_DEP_4) | instskip(NEXT) | instid1(VALU_DEP_4)
	v_fmac_f64_e32 v[14:15], v[46:47], v[42:43]
	v_fmac_f64_e32 v[0:1], v[48:49], v[42:43]
	s_wait_loadcnt 0x6
	s_delay_alu instid0(VALU_DEP_4) | instskip(NEXT) | instid1(VALU_DEP_4)
	v_fmac_f64_e32 v[16:17], v[50:51], v[42:43]
	v_fmac_f64_e32 v[12:13], v[52:53], v[42:43]
	s_delay_alu instid0(VALU_DEP_4) | instskip(NEXT) | instid1(VALU_DEP_4)
	v_fma_f64 v[14:15], -v[48:49], v[44:45], v[14:15]
	v_fmac_f64_e32 v[0:1], v[46:47], v[44:45]
	s_delay_alu instid0(VALU_DEP_4) | instskip(NEXT) | instid1(VALU_DEP_4)
	v_fma_f64 v[16:17], -v[52:53], v[44:45], v[16:17]
	v_fmac_f64_e32 v[12:13], v[50:51], v[44:45]
	s_wait_loadcnt 0x3
	s_delay_alu instid0(VALU_DEP_4) | instskip(NEXT) | instid1(VALU_DEP_4)
	v_fmac_f64_e32 v[14:15], v[58:59], v[62:63]
	v_fmac_f64_e32 v[0:1], v[60:61], v[62:63]
	s_delay_alu instid0(VALU_DEP_4) | instskip(NEXT) | instid1(VALU_DEP_4)
	v_fmac_f64_e32 v[16:17], v[54:55], v[62:63]
	v_fmac_f64_e32 v[12:13], v[56:57], v[62:63]
	s_delay_alu instid0(VALU_DEP_4) | instskip(NEXT) | instid1(VALU_DEP_4)
	v_fma_f64 v[14:15], -v[60:61], v[64:65], v[14:15]
	v_fmac_f64_e32 v[0:1], v[58:59], v[64:65]
	s_delay_alu instid0(VALU_DEP_4) | instskip(NEXT) | instid1(VALU_DEP_4)
	v_fma_f64 v[16:17], -v[56:57], v[64:65], v[16:17]
	v_fmac_f64_e32 v[12:13], v[54:55], v[64:65]
	s_wait_loadcnt 0x1
	s_delay_alu instid0(VALU_DEP_4) | instskip(NEXT) | instid1(VALU_DEP_4)
	v_fmac_f64_e32 v[14:15], v[70:71], v[66:67]
	v_fmac_f64_e32 v[0:1], v[72:73], v[66:67]
	s_wait_loadcnt 0x0
	s_delay_alu instid0(VALU_DEP_4) | instskip(NEXT) | instid1(VALU_DEP_4)
	v_fmac_f64_e32 v[16:17], v[74:75], v[66:67]
	v_fmac_f64_e32 v[12:13], v[76:77], v[66:67]
	s_delay_alu instid0(VALU_DEP_4) | instskip(NEXT) | instid1(VALU_DEP_4)
	v_fma_f64 v[14:15], -v[72:73], v[68:69], v[14:15]
	v_fmac_f64_e32 v[0:1], v[70:71], v[68:69]
	s_delay_alu instid0(VALU_DEP_4) | instskip(NEXT) | instid1(VALU_DEP_4)
	v_fma_f64 v[16:17], -v[76:77], v[68:69], v[16:17]
	v_fmac_f64_e32 v[12:13], v[74:75], v[68:69]
	s_cbranch_scc0 .LBB302_8
; %bb.9:                                ;   in Loop: Header=BB302_7 Depth=1
	v_add_nc_u32_e32 v27, 64, v27
	v_add_nc_u32_e32 v26, 0x800, v26
	;; [unrolled: 1-line block ×3, first 2 shown]
	s_delay_alu instid0(VALU_DEP_3) | instskip(SKIP_1) | instid1(SALU_CYCLE_1)
	v_cmp_ge_i32_e32 vcc_lo, v27, v24
	s_or_b32 s13, vcc_lo, s13
	s_and_not1_b32 exec_lo, exec_lo, s13
	s_cbranch_execnz .LBB302_7
; %bb.10:
	s_or_b32 exec_lo, exec_lo, s13
.LBB302_11:
	s_delay_alu instid0(SALU_CYCLE_1)
	s_or_b32 exec_lo, exec_lo, s3
	s_cbranch_execz .LBB302_13
	s_branch .LBB302_20
.LBB302_12:
                                        ; implicit-def: $vgpr0_vgpr1
                                        ; implicit-def: $vgpr14_vgpr15
                                        ; implicit-def: $vgpr16_vgpr17
                                        ; implicit-def: $vgpr12_vgpr13
.LBB302_13:
	v_mov_b64_e32 v[0:1], 0
	v_mov_b64_e32 v[14:15], 0
	;; [unrolled: 1-line block ×4, first 2 shown]
	s_and_saveexec_b32 s4, s2
	s_cbranch_execz .LBB302_19
; %bb.14:
	v_mov_b64_e32 v[0:1], 0
	v_mov_b64_e32 v[14:15], 0
	;; [unrolled: 1-line block ×4, first 2 shown]
	v_dual_mov_b32 v19, 0 :: v_dual_lshlrev_b32 v18, 5, v25
	s_mov_b32 s5, 0
.LBB302_15:                             ; =>This Loop Header: Depth=1
                                        ;     Child Loop BB302_16 Depth 2
	global_load_b32 v20, v25, s[6:7] scale_offset
	s_mov_b64 s[2:3], 0
	v_mov_b32_e32 v23, v19
	s_wait_loadcnt 0x0
	v_subrev_nc_u32_e32 v20, s12, v20
	s_delay_alu instid0(VALU_DEP_1) | instskip(SKIP_1) | instid1(VALU_DEP_2)
	v_lshlrev_b32_e32 v22, 4, v20
	v_lshl_add_u64 v[20:21], v[18:19], 4, s[8:9]
	v_lshl_add_u64 v[22:23], v[22:23], 4, s[10:11]
.LBB302_16:                             ;   Parent Loop BB302_15 Depth=1
                                        ; =>  This Inner Loop Header: Depth=2
	s_delay_alu instid0(VALU_DEP_2) | instskip(NEXT) | instid1(VALU_DEP_2)
	v_add_nc_u64_e32 v[74:75], s[2:3], v[20:21]
	v_add_nc_u64_e32 v[76:77], s[2:3], v[22:23]
	s_add_nc_u64 s[2:3], s[2:3], 64
	global_load_b128 v[26:29], v[74:75], off
	global_load_b128 v[30:33], v[76:77], off
	s_clause 0x1
	global_load_b128 v[34:37], v[74:75], off offset:256
	global_load_b128 v[38:41], v[74:75], off offset:16
	global_load_b128 v[42:45], v[76:77], off offset:16
	s_clause 0x1
	global_load_b128 v[46:49], v[74:75], off offset:272
	global_load_b128 v[50:53], v[74:75], off offset:32
	global_load_b128 v[54:57], v[76:77], off offset:32
	;; [unrolled: 4-line block ×3, first 2 shown]
	global_load_b128 v[70:73], v[74:75], off offset:304
	s_cmp_eq_u32 s2, 0x100
	s_wait_loadcnt 0xa
	v_fmac_f64_e32 v[14:15], v[26:27], v[30:31]
	v_fmac_f64_e32 v[0:1], v[28:29], v[30:31]
	s_wait_loadcnt 0x9
	v_fmac_f64_e32 v[16:17], v[34:35], v[30:31]
	v_fmac_f64_e32 v[12:13], v[36:37], v[30:31]
	s_delay_alu instid0(VALU_DEP_4) | instskip(NEXT) | instid1(VALU_DEP_4)
	v_fma_f64 v[14:15], -v[28:29], v[32:33], v[14:15]
	v_fmac_f64_e32 v[0:1], v[26:27], v[32:33]
	s_delay_alu instid0(VALU_DEP_4) | instskip(NEXT) | instid1(VALU_DEP_4)
	v_fma_f64 v[16:17], -v[36:37], v[32:33], v[16:17]
	v_fmac_f64_e32 v[12:13], v[34:35], v[32:33]
	s_wait_loadcnt 0x7
	s_delay_alu instid0(VALU_DEP_4) | instskip(NEXT) | instid1(VALU_DEP_4)
	v_fmac_f64_e32 v[14:15], v[38:39], v[42:43]
	v_fmac_f64_e32 v[0:1], v[40:41], v[42:43]
	s_wait_loadcnt 0x6
	s_delay_alu instid0(VALU_DEP_4) | instskip(NEXT) | instid1(VALU_DEP_4)
	v_fmac_f64_e32 v[16:17], v[46:47], v[42:43]
	v_fmac_f64_e32 v[12:13], v[48:49], v[42:43]
	s_delay_alu instid0(VALU_DEP_4) | instskip(NEXT) | instid1(VALU_DEP_4)
	v_fma_f64 v[14:15], -v[40:41], v[44:45], v[14:15]
	v_fmac_f64_e32 v[0:1], v[38:39], v[44:45]
	s_delay_alu instid0(VALU_DEP_4) | instskip(NEXT) | instid1(VALU_DEP_4)
	v_fma_f64 v[16:17], -v[48:49], v[44:45], v[16:17]
	v_fmac_f64_e32 v[12:13], v[46:47], v[44:45]
	s_wait_loadcnt 0x4
	s_delay_alu instid0(VALU_DEP_4) | instskip(NEXT) | instid1(VALU_DEP_4)
	v_fmac_f64_e32 v[14:15], v[50:51], v[54:55]
	v_fmac_f64_e32 v[0:1], v[52:53], v[54:55]
	s_wait_loadcnt 0x3
	s_delay_alu instid0(VALU_DEP_4) | instskip(NEXT) | instid1(VALU_DEP_4)
	;; [unrolled: 14-line block ×3, first 2 shown]
	v_fmac_f64_e32 v[16:17], v[70:71], v[66:67]
	v_fmac_f64_e32 v[12:13], v[72:73], v[66:67]
	s_delay_alu instid0(VALU_DEP_4) | instskip(NEXT) | instid1(VALU_DEP_4)
	v_fma_f64 v[14:15], -v[64:65], v[68:69], v[14:15]
	v_fmac_f64_e32 v[0:1], v[62:63], v[68:69]
	s_delay_alu instid0(VALU_DEP_4) | instskip(NEXT) | instid1(VALU_DEP_4)
	v_fma_f64 v[16:17], -v[72:73], v[68:69], v[16:17]
	v_fmac_f64_e32 v[12:13], v[70:71], v[68:69]
	s_cbranch_scc0 .LBB302_16
; %bb.17:                               ;   in Loop: Header=BB302_15 Depth=1
	v_add_nc_u32_e32 v25, 64, v25
	v_add_nc_u32_e32 v18, 0x800, v18
	s_delay_alu instid0(VALU_DEP_2) | instskip(SKIP_1) | instid1(SALU_CYCLE_1)
	v_cmp_ge_i32_e32 vcc_lo, v25, v24
	s_or_b32 s5, vcc_lo, s5
	s_and_not1_b32 exec_lo, exec_lo, s5
	s_cbranch_execnz .LBB302_15
; %bb.18:
	s_or_b32 exec_lo, exec_lo, s5
.LBB302_19:
	s_delay_alu instid0(SALU_CYCLE_1)
	s_or_b32 exec_lo, exec_lo, s4
.LBB302_20:
	v_mbcnt_lo_u32_b32 v28, -1, 0
	s_delay_alu instid0(VALU_DEP_1) | instskip(NEXT) | instid1(VALU_DEP_1)
	v_or_b32_e32 v18, 32, v28
	v_cmp_gt_i32_e32 vcc_lo, 32, v18
	v_cndmask_b32_e32 v18, v28, v18, vcc_lo
	s_delay_alu instid0(VALU_DEP_1)
	v_lshlrev_b32_e32 v25, 2, v18
	ds_bpermute_b32 v20, v25, v0
	ds_bpermute_b32 v21, v25, v1
	s_wait_dscnt 0x0
	v_add_f64_e32 v[0:1], v[0:1], v[20:21]
	ds_bpermute_b32 v18, v25, v14
	ds_bpermute_b32 v19, v25, v15
	;; [unrolled: 1-line block ×6, first 2 shown]
	s_wait_dscnt 0x4
	v_dual_add_f64 v[14:15], v[14:15], v[18:19] :: v_dual_bitop2_b32 v18, 16, v28 bitop3:0x14
	s_wait_dscnt 0x2
	v_add_f64_e32 v[16:17], v[16:17], v[22:23]
	s_delay_alu instid0(VALU_DEP_2) | instskip(SKIP_2) | instid1(VALU_DEP_1)
	v_cmp_gt_i32_e32 vcc_lo, 32, v18
	v_cndmask_b32_e32 v18, v28, v18, vcc_lo
	s_wait_dscnt 0x0
	v_dual_add_f64 v[12:13], v[12:13], v[24:25] :: v_dual_lshlrev_b32 v25, 2, v18
	ds_bpermute_b32 v20, v25, v0
	ds_bpermute_b32 v21, v25, v1
	;; [unrolled: 1-line block ×8, first 2 shown]
	s_wait_dscnt 0x4
	v_dual_add_f64 v[14:15], v[14:15], v[18:19] :: v_dual_bitop2_b32 v18, 8, v28 bitop3:0x14
	s_wait_dscnt 0x2
	v_add_f64_e32 v[16:17], v[16:17], v[22:23]
	s_delay_alu instid0(VALU_DEP_2) | instskip(SKIP_3) | instid1(VALU_DEP_2)
	v_cmp_gt_i32_e32 vcc_lo, 32, v18
	v_cndmask_b32_e32 v18, v28, v18, vcc_lo
	v_add_f64_e32 v[0:1], v[0:1], v[20:21]
	s_wait_dscnt 0x0
	v_dual_add_f64 v[12:13], v[12:13], v[24:25] :: v_dual_lshlrev_b32 v25, 2, v18
	ds_bpermute_b32 v18, v25, v14
	ds_bpermute_b32 v19, v25, v15
	;; [unrolled: 1-line block ×5, first 2 shown]
	s_wait_dscnt 0x3
	v_dual_add_f64 v[14:15], v[14:15], v[18:19] :: v_dual_bitop2_b32 v18, 4, v28 bitop3:0x14
	ds_bpermute_b32 v22, v25, v16
	ds_bpermute_b32 v23, v25, v17
	;; [unrolled: 1-line block ×3, first 2 shown]
	v_cmp_gt_i32_e32 vcc_lo, 32, v18
	v_cndmask_b32_e32 v18, v28, v18, vcc_lo
	s_wait_dscnt 0x4
	v_add_f64_e32 v[0:1], v[0:1], v[20:21]
	s_wait_dscnt 0x1
	v_add_f64_e32 v[16:17], v[16:17], v[22:23]
	s_wait_dscnt 0x0
	v_dual_add_f64 v[12:13], v[12:13], v[24:25] :: v_dual_lshlrev_b32 v25, 2, v18
	ds_bpermute_b32 v18, v25, v14
	ds_bpermute_b32 v19, v25, v15
	;; [unrolled: 1-line block ×4, first 2 shown]
	s_wait_dscnt 0x2
	v_add_f64_e32 v[14:15], v[14:15], v[18:19]
	ds_bpermute_b32 v22, v25, v16
	ds_bpermute_b32 v23, v25, v17
	;; [unrolled: 1-line block ×4, first 2 shown]
	s_wait_dscnt 0x4
	v_add_f64_e32 v[18:19], v[0:1], v[20:21]
	v_xor_b32_e32 v0, 2, v28
	s_delay_alu instid0(VALU_DEP_1)
	v_cmp_gt_i32_e32 vcc_lo, 32, v0
	s_wait_dscnt 0x2
	v_add_f64_e32 v[20:21], v[16:17], v[22:23]
	v_cndmask_b32_e32 v0, v28, v0, vcc_lo
	s_wait_dscnt 0x0
	v_add_f64_e32 v[22:23], v[12:13], v[24:25]
	s_delay_alu instid0(VALU_DEP_2)
	v_lshlrev_b32_e32 v16, 2, v0
	ds_bpermute_b32 v0, v16, v14
	ds_bpermute_b32 v1, v16, v15
	;; [unrolled: 1-line block ×8, first 2 shown]
	s_wait_dscnt 0x6
	v_add_f64_e32 v[0:1], v[14:15], v[0:1]
	s_wait_dscnt 0x4
	v_add_f64_e32 v[16:17], v[18:19], v[12:13]
	v_xor_b32_e32 v18, 1, v28
	s_delay_alu instid0(VALU_DEP_1)
	v_cmp_gt_i32_e32 vcc_lo, 32, v18
	s_wait_dscnt 0x2
	v_add_f64_e32 v[12:13], v[20:21], v[24:25]
	v_cndmask_b32_e32 v18, v28, v18, vcc_lo
	s_wait_dscnt 0x0
	v_add_f64_e32 v[14:15], v[22:23], v[26:27]
	v_cmp_eq_u32_e32 vcc_lo, 63, v11
	s_delay_alu instid0(VALU_DEP_3)
	v_lshlrev_b32_e32 v21, 2, v18
	ds_bpermute_b32 v24, v21, v0
	ds_bpermute_b32 v25, v21, v1
	;; [unrolled: 1-line block ×8, first 2 shown]
	s_and_b32 exec_lo, exec_lo, vcc_lo
	s_cbranch_execz .LBB302_25
; %bb.21:
	v_cmp_eq_f64_e32 vcc_lo, 0, v[6:7]
	v_cmp_eq_f64_e64 s2, 0, v[8:9]
	s_wait_dscnt 0x6
	v_add_f64_e32 v[0:1], v[0:1], v[24:25]
	s_wait_dscnt 0x4
	v_add_f64_e32 v[16:17], v[16:17], v[22:23]
	;; [unrolled: 2-line block ×4, first 2 shown]
	s_load_b64 s[0:1], s[0:1], 0x48
	s_and_b32 s2, vcc_lo, s2
	s_delay_alu instid0(SALU_CYCLE_1) | instskip(NEXT) | instid1(SALU_CYCLE_1)
	s_and_saveexec_b32 s3, s2
	s_xor_b32 s2, exec_lo, s3
	s_cbranch_execz .LBB302_23
; %bb.22:
	s_delay_alu instid0(VALU_DEP_3) | instskip(SKIP_1) | instid1(VALU_DEP_3)
	v_mul_f64_e64 v[6:7], v[16:17], -v[4:5]
	v_mul_f64_e32 v[8:9], v[2:3], v[16:17]
	v_mul_f64_e64 v[16:17], v[14:15], -v[4:5]
	v_mul_f64_e32 v[18:19], v[2:3], v[14:15]
                                        ; implicit-def: $vgpr14_vgpr15
	s_delay_alu instid0(VALU_DEP_4) | instskip(NEXT) | instid1(VALU_DEP_4)
	v_fmac_f64_e32 v[6:7], v[2:3], v[0:1]
	v_fmac_f64_e32 v[8:9], v[4:5], v[0:1]
	s_delay_alu instid0(VALU_DEP_4) | instskip(NEXT) | instid1(VALU_DEP_4)
	v_fmac_f64_e32 v[16:17], v[2:3], v[12:13]
	v_fmac_f64_e32 v[18:19], v[4:5], v[12:13]
	v_lshlrev_b32_e32 v0, 1, v10
                                        ; implicit-def: $vgpr10
                                        ; implicit-def: $vgpr12_vgpr13
                                        ; implicit-def: $vgpr4_vgpr5
	s_wait_kmcnt 0x0
	s_clause 0x1
	global_store_b128 v0, v[6:9], s[0:1] scale_offset
	global_store_b128 v0, v[16:19], s[0:1] offset:16 scale_offset
                                        ; implicit-def: $vgpr0_vgpr1
                                        ; implicit-def: $vgpr16_vgpr17
                                        ; implicit-def: $vgpr8_vgpr9
.LBB302_23:
	s_wait_xcnt 0x0
	s_and_not1_saveexec_b32 s2, s2
	s_cbranch_execz .LBB302_25
; %bb.24:
	s_delay_alu instid0(VALU_DEP_3) | instskip(SKIP_1) | instid1(VALU_DEP_3)
	v_dual_mul_f64 v[26:27], v[16:17], -v[4:5] :: v_dual_lshlrev_b32 v30, 1, v10
	v_mul_f64_e32 v[16:17], v[2:3], v[16:17]
	v_mul_f64_e64 v[28:29], v[14:15], -v[4:5]
	v_mul_f64_e32 v[10:11], v[2:3], v[14:15]
	s_wait_kmcnt 0x0
	s_clause 0x1
	global_load_b128 v[18:21], v30, s[0:1] scale_offset
	global_load_b128 v[22:25], v30, s[0:1] offset:16 scale_offset
	v_fmac_f64_e32 v[26:27], v[2:3], v[0:1]
	v_fmac_f64_e32 v[16:17], v[4:5], v[0:1]
	;; [unrolled: 1-line block ×4, first 2 shown]
	s_wait_loadcnt 0x1
	s_delay_alu instid0(VALU_DEP_4) | instskip(NEXT) | instid1(VALU_DEP_4)
	v_fmac_f64_e32 v[26:27], v[6:7], v[18:19]
	v_fmac_f64_e32 v[16:17], v[8:9], v[18:19]
	s_wait_loadcnt 0x0
	s_delay_alu instid0(VALU_DEP_4) | instskip(NEXT) | instid1(VALU_DEP_4)
	v_fmac_f64_e32 v[28:29], v[6:7], v[22:23]
	v_fmac_f64_e32 v[10:11], v[8:9], v[22:23]
	s_delay_alu instid0(VALU_DEP_4) | instskip(NEXT) | instid1(VALU_DEP_4)
	v_fma_f64 v[14:15], -v[8:9], v[20:21], v[26:27]
	v_fmac_f64_e32 v[16:17], v[6:7], v[20:21]
	s_delay_alu instid0(VALU_DEP_4) | instskip(NEXT) | instid1(VALU_DEP_4)
	v_fma_f64 v[8:9], -v[8:9], v[24:25], v[28:29]
	v_fmac_f64_e32 v[10:11], v[6:7], v[24:25]
	s_clause 0x1
	global_store_b128 v30, v[14:17], s[0:1] scale_offset
	global_store_b128 v30, v[8:11], s[0:1] offset:16 scale_offset
.LBB302_25:
	s_sendmsg sendmsg(MSG_DEALLOC_VGPRS)
	s_endpgm
	.section	.rodata,"a",@progbits
	.p2align	6, 0x0
	.amdhsa_kernel _ZN9rocsparseL19gebsrmvn_2xn_kernelILj128ELj16ELj64E21rocsparse_complex_numIdEEEvi20rocsparse_direction_NS_24const_host_device_scalarIT2_EEPKiS8_PKS5_SA_S6_PS5_21rocsparse_index_base_b
		.amdhsa_group_segment_fixed_size 0
		.amdhsa_private_segment_fixed_size 0
		.amdhsa_kernarg_size 88
		.amdhsa_user_sgpr_count 2
		.amdhsa_user_sgpr_dispatch_ptr 0
		.amdhsa_user_sgpr_queue_ptr 0
		.amdhsa_user_sgpr_kernarg_segment_ptr 1
		.amdhsa_user_sgpr_dispatch_id 0
		.amdhsa_user_sgpr_kernarg_preload_length 0
		.amdhsa_user_sgpr_kernarg_preload_offset 0
		.amdhsa_user_sgpr_private_segment_size 0
		.amdhsa_wavefront_size32 1
		.amdhsa_uses_dynamic_stack 0
		.amdhsa_enable_private_segment 0
		.amdhsa_system_sgpr_workgroup_id_x 1
		.amdhsa_system_sgpr_workgroup_id_y 0
		.amdhsa_system_sgpr_workgroup_id_z 0
		.amdhsa_system_sgpr_workgroup_info 0
		.amdhsa_system_vgpr_workitem_id 0
		.amdhsa_next_free_vgpr 80
		.amdhsa_next_free_sgpr 16
		.amdhsa_named_barrier_count 0
		.amdhsa_reserve_vcc 1
		.amdhsa_float_round_mode_32 0
		.amdhsa_float_round_mode_16_64 0
		.amdhsa_float_denorm_mode_32 3
		.amdhsa_float_denorm_mode_16_64 3
		.amdhsa_fp16_overflow 0
		.amdhsa_memory_ordered 1
		.amdhsa_forward_progress 1
		.amdhsa_inst_pref_size 21
		.amdhsa_round_robin_scheduling 0
		.amdhsa_exception_fp_ieee_invalid_op 0
		.amdhsa_exception_fp_denorm_src 0
		.amdhsa_exception_fp_ieee_div_zero 0
		.amdhsa_exception_fp_ieee_overflow 0
		.amdhsa_exception_fp_ieee_underflow 0
		.amdhsa_exception_fp_ieee_inexact 0
		.amdhsa_exception_int_div_zero 0
	.end_amdhsa_kernel
	.section	.text._ZN9rocsparseL19gebsrmvn_2xn_kernelILj128ELj16ELj64E21rocsparse_complex_numIdEEEvi20rocsparse_direction_NS_24const_host_device_scalarIT2_EEPKiS8_PKS5_SA_S6_PS5_21rocsparse_index_base_b,"axG",@progbits,_ZN9rocsparseL19gebsrmvn_2xn_kernelILj128ELj16ELj64E21rocsparse_complex_numIdEEEvi20rocsparse_direction_NS_24const_host_device_scalarIT2_EEPKiS8_PKS5_SA_S6_PS5_21rocsparse_index_base_b,comdat
.Lfunc_end302:
	.size	_ZN9rocsparseL19gebsrmvn_2xn_kernelILj128ELj16ELj64E21rocsparse_complex_numIdEEEvi20rocsparse_direction_NS_24const_host_device_scalarIT2_EEPKiS8_PKS5_SA_S6_PS5_21rocsparse_index_base_b, .Lfunc_end302-_ZN9rocsparseL19gebsrmvn_2xn_kernelILj128ELj16ELj64E21rocsparse_complex_numIdEEEvi20rocsparse_direction_NS_24const_host_device_scalarIT2_EEPKiS8_PKS5_SA_S6_PS5_21rocsparse_index_base_b
                                        ; -- End function
	.set _ZN9rocsparseL19gebsrmvn_2xn_kernelILj128ELj16ELj64E21rocsparse_complex_numIdEEEvi20rocsparse_direction_NS_24const_host_device_scalarIT2_EEPKiS8_PKS5_SA_S6_PS5_21rocsparse_index_base_b.num_vgpr, 80
	.set _ZN9rocsparseL19gebsrmvn_2xn_kernelILj128ELj16ELj64E21rocsparse_complex_numIdEEEvi20rocsparse_direction_NS_24const_host_device_scalarIT2_EEPKiS8_PKS5_SA_S6_PS5_21rocsparse_index_base_b.num_agpr, 0
	.set _ZN9rocsparseL19gebsrmvn_2xn_kernelILj128ELj16ELj64E21rocsparse_complex_numIdEEEvi20rocsparse_direction_NS_24const_host_device_scalarIT2_EEPKiS8_PKS5_SA_S6_PS5_21rocsparse_index_base_b.numbered_sgpr, 16
	.set _ZN9rocsparseL19gebsrmvn_2xn_kernelILj128ELj16ELj64E21rocsparse_complex_numIdEEEvi20rocsparse_direction_NS_24const_host_device_scalarIT2_EEPKiS8_PKS5_SA_S6_PS5_21rocsparse_index_base_b.num_named_barrier, 0
	.set _ZN9rocsparseL19gebsrmvn_2xn_kernelILj128ELj16ELj64E21rocsparse_complex_numIdEEEvi20rocsparse_direction_NS_24const_host_device_scalarIT2_EEPKiS8_PKS5_SA_S6_PS5_21rocsparse_index_base_b.private_seg_size, 0
	.set _ZN9rocsparseL19gebsrmvn_2xn_kernelILj128ELj16ELj64E21rocsparse_complex_numIdEEEvi20rocsparse_direction_NS_24const_host_device_scalarIT2_EEPKiS8_PKS5_SA_S6_PS5_21rocsparse_index_base_b.uses_vcc, 1
	.set _ZN9rocsparseL19gebsrmvn_2xn_kernelILj128ELj16ELj64E21rocsparse_complex_numIdEEEvi20rocsparse_direction_NS_24const_host_device_scalarIT2_EEPKiS8_PKS5_SA_S6_PS5_21rocsparse_index_base_b.uses_flat_scratch, 0
	.set _ZN9rocsparseL19gebsrmvn_2xn_kernelILj128ELj16ELj64E21rocsparse_complex_numIdEEEvi20rocsparse_direction_NS_24const_host_device_scalarIT2_EEPKiS8_PKS5_SA_S6_PS5_21rocsparse_index_base_b.has_dyn_sized_stack, 0
	.set _ZN9rocsparseL19gebsrmvn_2xn_kernelILj128ELj16ELj64E21rocsparse_complex_numIdEEEvi20rocsparse_direction_NS_24const_host_device_scalarIT2_EEPKiS8_PKS5_SA_S6_PS5_21rocsparse_index_base_b.has_recursion, 0
	.set _ZN9rocsparseL19gebsrmvn_2xn_kernelILj128ELj16ELj64E21rocsparse_complex_numIdEEEvi20rocsparse_direction_NS_24const_host_device_scalarIT2_EEPKiS8_PKS5_SA_S6_PS5_21rocsparse_index_base_b.has_indirect_call, 0
	.section	.AMDGPU.csdata,"",@progbits
; Kernel info:
; codeLenInByte = 2620
; TotalNumSgprs: 18
; NumVgprs: 80
; ScratchSize: 0
; MemoryBound: 1
; FloatMode: 240
; IeeeMode: 1
; LDSByteSize: 0 bytes/workgroup (compile time only)
; SGPRBlocks: 0
; VGPRBlocks: 4
; NumSGPRsForWavesPerEU: 18
; NumVGPRsForWavesPerEU: 80
; NamedBarCnt: 0
; Occupancy: 12
; WaveLimiterHint : 1
; COMPUTE_PGM_RSRC2:SCRATCH_EN: 0
; COMPUTE_PGM_RSRC2:USER_SGPR: 2
; COMPUTE_PGM_RSRC2:TRAP_HANDLER: 0
; COMPUTE_PGM_RSRC2:TGID_X_EN: 1
; COMPUTE_PGM_RSRC2:TGID_Y_EN: 0
; COMPUTE_PGM_RSRC2:TGID_Z_EN: 0
; COMPUTE_PGM_RSRC2:TIDIG_COMP_CNT: 0
	.section	.text._ZN9rocsparseL23gebsrmvn_general_kernelILj32ELj32E21rocsparse_complex_numIdEEEvi20rocsparse_direction_NS_24const_host_device_scalarIT1_EEPKiS8_PKS5_iiSA_S6_PS5_21rocsparse_index_base_b,"axG",@progbits,_ZN9rocsparseL23gebsrmvn_general_kernelILj32ELj32E21rocsparse_complex_numIdEEEvi20rocsparse_direction_NS_24const_host_device_scalarIT1_EEPKiS8_PKS5_iiSA_S6_PS5_21rocsparse_index_base_b,comdat
	.globl	_ZN9rocsparseL23gebsrmvn_general_kernelILj32ELj32E21rocsparse_complex_numIdEEEvi20rocsparse_direction_NS_24const_host_device_scalarIT1_EEPKiS8_PKS5_iiSA_S6_PS5_21rocsparse_index_base_b ; -- Begin function _ZN9rocsparseL23gebsrmvn_general_kernelILj32ELj32E21rocsparse_complex_numIdEEEvi20rocsparse_direction_NS_24const_host_device_scalarIT1_EEPKiS8_PKS5_iiSA_S6_PS5_21rocsparse_index_base_b
	.p2align	8
	.type	_ZN9rocsparseL23gebsrmvn_general_kernelILj32ELj32E21rocsparse_complex_numIdEEEvi20rocsparse_direction_NS_24const_host_device_scalarIT1_EEPKiS8_PKS5_iiSA_S6_PS5_21rocsparse_index_base_b,@function
_ZN9rocsparseL23gebsrmvn_general_kernelILj32ELj32E21rocsparse_complex_numIdEEEvi20rocsparse_direction_NS_24const_host_device_scalarIT1_EEPKiS8_PKS5_iiSA_S6_PS5_21rocsparse_index_base_b: ; @_ZN9rocsparseL23gebsrmvn_general_kernelILj32ELj32E21rocsparse_complex_numIdEEEvi20rocsparse_direction_NS_24const_host_device_scalarIT1_EEPKiS8_PKS5_iiSA_S6_PS5_21rocsparse_index_base_b
; %bb.0:
	s_clause 0x1
	s_load_b64 s[8:9], s[0:1], 0x58
	s_load_b64 s[2:3], s[0:1], 0x8
	v_mov_b32_e32 v1, 0
	s_add_nc_u64 s[4:5], s[0:1], 8
	s_load_b64 s[6:7], s[0:1], 0x40
	s_wait_kmcnt 0x0
	s_bitcmp1_b32 s9, 0
	s_cselect_b32 s3, s5, s3
	s_cselect_b32 s2, s4, s2
	flat_load_b128 v[2:5], v1, s[2:3]
	s_wait_xcnt 0x0
	s_add_nc_u64 s[2:3], s[0:1], 64
	s_delay_alu instid0(SALU_CYCLE_1)
	s_cselect_b32 s3, s3, s7
	s_cselect_b32 s2, s2, s6
	flat_load_b128 v[6:9], v1, s[2:3]
	s_wait_loadcnt_dscnt 0x101
	v_cmp_eq_f64_e32 vcc_lo, 0, v[2:3]
	s_wait_xcnt 0x0
	v_cmp_eq_f64_e64 s2, 0, v[4:5]
	s_and_b32 s4, vcc_lo, s2
	s_mov_b32 s2, -1
	s_and_saveexec_b32 s3, s4
	s_cbranch_execz .LBB303_2
; %bb.1:
	s_wait_loadcnt_dscnt 0x0
	v_cmp_neq_f64_e32 vcc_lo, 1.0, v[6:7]
	v_cmp_neq_f64_e64 s2, 0, v[8:9]
	s_or_b32 s2, vcc_lo, s2
	s_delay_alu instid0(SALU_CYCLE_1)
	s_or_not1_b32 s2, s2, exec_lo
.LBB303_2:
	s_or_b32 exec_lo, exec_lo, s3
	s_and_saveexec_b32 s3, s2
	s_cbranch_execz .LBB303_22
; %bb.3:
	s_load_b64 s[10:11], s[0:1], 0x30
	s_mov_b32 s9, 0
	s_wait_kmcnt 0x0
	s_cmp_gt_i32 s10, 0
	s_cselect_b32 s2, -1, 0
	s_delay_alu instid0(SALU_CYCLE_1)
	s_and_b32 exec_lo, exec_lo, s2
	s_cbranch_execz .LBB303_22
; %bb.4:
	s_clause 0x1
	s_load_b128 s[4:7], s[0:1], 0x18
	s_load_b32 s20, s[0:1], 0x4
	s_bfe_u32 s2, ttmp6, 0x4000c
	s_and_b32 s3, ttmp6, 15
	s_add_co_i32 s2, s2, 1
	s_getreg_b32 s18, hwreg(HW_REG_IB_STS2, 6, 4)
	s_mul_i32 s2, ttmp9, s2
	v_mbcnt_lo_u32_b32 v10, -1, 0
	s_add_co_i32 s3, s3, s2
	s_cmp_eq_u32 s18, 0
	v_mov_b32_e32 v1, 0
	s_cselect_b32 s22, ttmp9, s3
	v_xor_b32_e32 v11, 16, v10
	s_ashr_i32 s23, s22, 31
	s_clause 0x2
	s_load_b64 s[12:13], s[0:1], 0x50
	s_load_b64 s[14:15], s[0:1], 0x28
	;; [unrolled: 1-line block ×3, first 2 shown]
	s_lshl_b64 s[2:3], s[22:23], 2
	s_wait_loadcnt_dscnt 0x0
	v_cmp_eq_f64_e32 vcc_lo, 0, v[6:7]
	s_wait_xcnt 0x0
	v_cmp_gt_i32_e64 s1, 32, v11
	v_xor_b32_e32 v12, 8, v10
	v_cmp_gt_i32_e64 s0, s11, v0
	s_wait_kmcnt 0x0
	s_add_nc_u64 s[2:3], s[4:5], s[2:3]
	s_mul_i32 s21, s10, s22
	s_load_b64 s[18:19], s[2:3], 0x0
	s_wait_xcnt 0x0
	v_cmp_eq_f64_e64 s2, 0, v[8:9]
	v_cndmask_b32_e64 v11, v10, v11, s1
	v_cmp_gt_i32_e64 s1, 32, v12
	v_xor_b32_e32 v13, 4, v10
	v_xor_b32_e32 v15, 1, v10
	s_mul_i32 s22, s11, s10
	v_dual_lshlrev_b32 v18, 2, v11 :: v_dual_cndmask_b32 v12, v10, v12, s1
	s_delay_alu instid0(VALU_DEP_3) | instskip(NEXT) | instid1(VALU_DEP_1)
	v_cmp_gt_i32_e64 s1, 32, v13
	v_dual_cndmask_b32 v13, v10, v13, s1 :: v_dual_bitop2_b32 v14, 2, v10 bitop3:0x14
	s_delay_alu instid0(VALU_DEP_1) | instskip(NEXT) | instid1(VALU_DEP_2)
	v_cmp_gt_i32_e64 s1, 32, v14
	v_dual_lshlrev_b32 v19, 2, v12 :: v_dual_lshlrev_b32 v20, 2, v13
	s_delay_alu instid0(VALU_DEP_2)
	v_cndmask_b32_e64 v14, v10, v14, s1
	v_cmp_gt_i32_e64 s1, 32, v15
	s_wait_kmcnt 0x0
	s_sub_co_i32 s4, s18, s8
	s_sub_co_i32 s5, s19, s8
	s_cmp_lt_i32 s18, s19
	v_cndmask_b32_e64 v10, v10, v15, s1
	s_mul_i32 s1, s10, s4
	s_cselect_b32 s18, -1, 0
	s_mul_i32 s3, s11, s1
	s_delay_alu instid0(SALU_CYCLE_1)
	v_dual_lshlrev_b32 v21, 2, v14 :: v_dual_mov_b32 v23, s3
	v_lshlrev_b32_e32 v22, 2, v10
	v_cmp_eq_u32_e64 s1, 31, v0
	s_cmp_lg_u32 s20, 0
	s_cselect_b32 s19, -1, 0
	s_and_b32 s20, vcc_lo, s2
	s_branch .LBB303_6
.LBB303_5:                              ;   in Loop: Header=BB303_6 Depth=1
	s_wait_xcnt 0x0
	s_or_b32 exec_lo, exec_lo, s2
	v_dual_add_nc_u32 v1, 1, v1 :: v_dual_add_nc_u32 v23, s11, v23
	s_delay_alu instid0(VALU_DEP_1) | instskip(SKIP_1) | instid1(SALU_CYCLE_1)
	v_cmp_le_i32_e32 vcc_lo, s10, v1
	s_or_b32 s9, vcc_lo, s9
	s_and_not1_b32 exec_lo, exec_lo, s9
	s_cbranch_execz .LBB303_22
.LBB303_6:                              ; =>This Loop Header: Depth=1
                                        ;     Child Loop BB303_10 Depth 2
                                        ;       Child Loop BB303_13 Depth 3
	v_mov_b64_e32 v[10:11], 0
	v_mov_b64_e32 v[12:13], 0
	s_and_not1_b32 vcc_lo, exec_lo, s18
	s_cbranch_vccnz .LBB303_17
; %bb.7:                                ;   in Loop: Header=BB303_6 Depth=1
	v_mov_b64_e32 v[10:11], 0
	v_mov_b64_e32 v[12:13], 0
	s_wait_dscnt 0x3
	v_mov_b32_e32 v14, v23
	s_mov_b32 s2, s4
	s_branch .LBB303_10
.LBB303_8:                              ;   in Loop: Header=BB303_10 Depth=2
	s_or_b32 exec_lo, exec_lo, s24
.LBB303_9:                              ;   in Loop: Header=BB303_10 Depth=2
	s_delay_alu instid0(SALU_CYCLE_1) | instskip(SKIP_2) | instid1(SALU_CYCLE_1)
	s_or_b32 exec_lo, exec_lo, s23
	v_add_nc_u32_e32 v14, s22, v14
	s_add_co_i32 s2, s2, 1
	s_cmp_ge_i32 s2, s5
	s_cbranch_scc1 .LBB303_17
.LBB303_10:                             ;   Parent Loop BB303_6 Depth=1
                                        ; =>  This Loop Header: Depth=2
                                        ;       Child Loop BB303_13 Depth 3
	s_and_saveexec_b32 s23, s0
	s_cbranch_execz .LBB303_9
; %bb.11:                               ;   in Loop: Header=BB303_10 Depth=2
	s_ashr_i32 s3, s2, 31
	s_wait_dscnt 0x2
	v_mov_b32_e32 v15, v0
	s_lshl_b64 s[24:25], s[2:3], 2
	s_delay_alu instid0(SALU_CYCLE_1)
	s_add_nc_u64 s[24:25], s[6:7], s[24:25]
	s_load_b32 s3, s[24:25], 0x0
	s_wait_xcnt 0x0
	s_mov_b32 s24, 0
	s_wait_kmcnt 0x0
	s_sub_co_i32 s25, s3, s8
	s_mul_i32 s3, s2, s11
	s_mul_i32 s25, s25, s11
	s_branch .LBB303_13
.LBB303_12:                             ;   in Loop: Header=BB303_13 Depth=3
	s_wait_dscnt 0x0
	v_dual_add_nc_u32 v17, s25, v15 :: v_dual_add_nc_u32 v15, 32, v15
	global_load_b128 v[24:27], v16, s[14:15] scale_offset
	global_load_b128 v[28:31], v17, s[16:17] scale_offset
	v_cmp_le_i32_e32 vcc_lo, s11, v15
	s_or_b32 s24, vcc_lo, s24
	s_wait_loadcnt 0x0
	v_fmac_f64_e32 v[12:13], v[24:25], v[28:29]
	v_fmac_f64_e32 v[10:11], v[26:27], v[28:29]
	s_delay_alu instid0(VALU_DEP_2) | instskip(NEXT) | instid1(VALU_DEP_2)
	v_fma_f64 v[12:13], -v[26:27], v[30:31], v[12:13]
	v_fmac_f64_e32 v[10:11], v[24:25], v[30:31]
	s_wait_xcnt 0x0
	s_and_not1_b32 exec_lo, exec_lo, s24
	s_cbranch_execz .LBB303_8
.LBB303_13:                             ;   Parent Loop BB303_6 Depth=1
                                        ;     Parent Loop BB303_10 Depth=2
                                        ; =>    This Inner Loop Header: Depth=3
	s_and_b32 vcc_lo, exec_lo, s19
	s_cbranch_vccz .LBB303_15
; %bb.14:                               ;   in Loop: Header=BB303_13 Depth=3
	s_wait_dscnt 0x1
	v_add_nc_u32_e32 v16, s3, v15
	s_delay_alu instid0(VALU_DEP_1)
	v_mad_u32 v16, v16, s10, v1
	s_cbranch_execnz .LBB303_12
	s_branch .LBB303_16
.LBB303_15:                             ;   in Loop: Header=BB303_13 Depth=3
                                        ; implicit-def: $vgpr16
.LBB303_16:                             ;   in Loop: Header=BB303_13 Depth=3
	s_wait_dscnt 0x1
	v_add_nc_u32_e32 v16, v14, v15
	s_branch .LBB303_12
.LBB303_17:                             ;   in Loop: Header=BB303_6 Depth=1
	s_wait_dscnt 0x3
	ds_bpermute_b32 v14, v18, v12
	s_wait_dscnt 0x3
	ds_bpermute_b32 v15, v18, v13
	;; [unrolled: 2-line block ×4, first 2 shown]
	s_wait_dscnt 0x2
	v_add_f64_e32 v[12:13], v[12:13], v[14:15]
	s_wait_dscnt 0x0
	v_add_f64_e32 v[10:11], v[10:11], v[16:17]
	ds_bpermute_b32 v14, v19, v12
	ds_bpermute_b32 v15, v19, v13
	ds_bpermute_b32 v16, v19, v10
	ds_bpermute_b32 v17, v19, v11
	s_wait_dscnt 0x2
	v_add_f64_e32 v[12:13], v[12:13], v[14:15]
	s_wait_dscnt 0x0
	v_add_f64_e32 v[10:11], v[10:11], v[16:17]
	ds_bpermute_b32 v14, v20, v12
	ds_bpermute_b32 v15, v20, v13
	ds_bpermute_b32 v16, v20, v10
	ds_bpermute_b32 v17, v20, v11
	;; [unrolled: 8-line block ×4, first 2 shown]
	s_and_saveexec_b32 s2, s1
	s_cbranch_execz .LBB303_5
; %bb.18:                               ;   in Loop: Header=BB303_6 Depth=1
	s_wait_dscnt 0x0
	v_add_f64_e32 v[12:13], v[12:13], v[16:17]
	v_add_f64_e32 v[14:15], v[10:11], v[14:15]
	s_delay_alu instid0(VALU_DEP_2) | instskip(SKIP_1) | instid1(VALU_DEP_2)
	v_mul_f64_e64 v[10:11], v[12:13], -v[4:5]
	v_mul_f64_e32 v[12:13], v[2:3], v[12:13]
	v_fmac_f64_e32 v[10:11], v[2:3], v[14:15]
	s_delay_alu instid0(VALU_DEP_2) | instskip(SKIP_2) | instid1(SALU_CYCLE_1)
	v_fmac_f64_e32 v[12:13], v[4:5], v[14:15]
	v_add_nc_u32_e32 v14, s21, v1
	s_and_saveexec_b32 s3, s20
	s_xor_b32 s3, exec_lo, s3
	s_cbranch_execz .LBB303_20
; %bb.19:                               ;   in Loop: Header=BB303_6 Depth=1
	global_store_b128 v14, v[10:13], s[12:13] scale_offset
                                        ; implicit-def: $vgpr14
                                        ; implicit-def: $vgpr10_vgpr11
.LBB303_20:                             ;   in Loop: Header=BB303_6 Depth=1
	s_wait_xcnt 0x0
	s_and_not1_saveexec_b32 s3, s3
	s_cbranch_execz .LBB303_5
; %bb.21:                               ;   in Loop: Header=BB303_6 Depth=1
	global_load_b128 v[24:27], v14, s[12:13] scale_offset
	s_wait_loadcnt 0x0
	v_fmac_f64_e32 v[10:11], v[6:7], v[24:25]
	v_fmac_f64_e32 v[12:13], v[8:9], v[24:25]
	s_delay_alu instid0(VALU_DEP_2) | instskip(NEXT) | instid1(VALU_DEP_2)
	v_fma_f64 v[10:11], -v[8:9], v[26:27], v[10:11]
	v_fmac_f64_e32 v[12:13], v[6:7], v[26:27]
	global_store_b128 v14, v[10:13], s[12:13] scale_offset
	s_branch .LBB303_5
.LBB303_22:
	s_endpgm
	.section	.rodata,"a",@progbits
	.p2align	6, 0x0
	.amdhsa_kernel _ZN9rocsparseL23gebsrmvn_general_kernelILj32ELj32E21rocsparse_complex_numIdEEEvi20rocsparse_direction_NS_24const_host_device_scalarIT1_EEPKiS8_PKS5_iiSA_S6_PS5_21rocsparse_index_base_b
		.amdhsa_group_segment_fixed_size 0
		.amdhsa_private_segment_fixed_size 0
		.amdhsa_kernarg_size 96
		.amdhsa_user_sgpr_count 2
		.amdhsa_user_sgpr_dispatch_ptr 0
		.amdhsa_user_sgpr_queue_ptr 0
		.amdhsa_user_sgpr_kernarg_segment_ptr 1
		.amdhsa_user_sgpr_dispatch_id 0
		.amdhsa_user_sgpr_kernarg_preload_length 0
		.amdhsa_user_sgpr_kernarg_preload_offset 0
		.amdhsa_user_sgpr_private_segment_size 0
		.amdhsa_wavefront_size32 1
		.amdhsa_uses_dynamic_stack 0
		.amdhsa_enable_private_segment 0
		.amdhsa_system_sgpr_workgroup_id_x 1
		.amdhsa_system_sgpr_workgroup_id_y 0
		.amdhsa_system_sgpr_workgroup_id_z 0
		.amdhsa_system_sgpr_workgroup_info 0
		.amdhsa_system_vgpr_workitem_id 0
		.amdhsa_next_free_vgpr 32
		.amdhsa_next_free_sgpr 26
		.amdhsa_named_barrier_count 0
		.amdhsa_reserve_vcc 1
		.amdhsa_float_round_mode_32 0
		.amdhsa_float_round_mode_16_64 0
		.amdhsa_float_denorm_mode_32 3
		.amdhsa_float_denorm_mode_16_64 3
		.amdhsa_fp16_overflow 0
		.amdhsa_memory_ordered 1
		.amdhsa_forward_progress 1
		.amdhsa_inst_pref_size 10
		.amdhsa_round_robin_scheduling 0
		.amdhsa_exception_fp_ieee_invalid_op 0
		.amdhsa_exception_fp_denorm_src 0
		.amdhsa_exception_fp_ieee_div_zero 0
		.amdhsa_exception_fp_ieee_overflow 0
		.amdhsa_exception_fp_ieee_underflow 0
		.amdhsa_exception_fp_ieee_inexact 0
		.amdhsa_exception_int_div_zero 0
	.end_amdhsa_kernel
	.section	.text._ZN9rocsparseL23gebsrmvn_general_kernelILj32ELj32E21rocsparse_complex_numIdEEEvi20rocsparse_direction_NS_24const_host_device_scalarIT1_EEPKiS8_PKS5_iiSA_S6_PS5_21rocsparse_index_base_b,"axG",@progbits,_ZN9rocsparseL23gebsrmvn_general_kernelILj32ELj32E21rocsparse_complex_numIdEEEvi20rocsparse_direction_NS_24const_host_device_scalarIT1_EEPKiS8_PKS5_iiSA_S6_PS5_21rocsparse_index_base_b,comdat
.Lfunc_end303:
	.size	_ZN9rocsparseL23gebsrmvn_general_kernelILj32ELj32E21rocsparse_complex_numIdEEEvi20rocsparse_direction_NS_24const_host_device_scalarIT1_EEPKiS8_PKS5_iiSA_S6_PS5_21rocsparse_index_base_b, .Lfunc_end303-_ZN9rocsparseL23gebsrmvn_general_kernelILj32ELj32E21rocsparse_complex_numIdEEEvi20rocsparse_direction_NS_24const_host_device_scalarIT1_EEPKiS8_PKS5_iiSA_S6_PS5_21rocsparse_index_base_b
                                        ; -- End function
	.set _ZN9rocsparseL23gebsrmvn_general_kernelILj32ELj32E21rocsparse_complex_numIdEEEvi20rocsparse_direction_NS_24const_host_device_scalarIT1_EEPKiS8_PKS5_iiSA_S6_PS5_21rocsparse_index_base_b.num_vgpr, 32
	.set _ZN9rocsparseL23gebsrmvn_general_kernelILj32ELj32E21rocsparse_complex_numIdEEEvi20rocsparse_direction_NS_24const_host_device_scalarIT1_EEPKiS8_PKS5_iiSA_S6_PS5_21rocsparse_index_base_b.num_agpr, 0
	.set _ZN9rocsparseL23gebsrmvn_general_kernelILj32ELj32E21rocsparse_complex_numIdEEEvi20rocsparse_direction_NS_24const_host_device_scalarIT1_EEPKiS8_PKS5_iiSA_S6_PS5_21rocsparse_index_base_b.numbered_sgpr, 26
	.set _ZN9rocsparseL23gebsrmvn_general_kernelILj32ELj32E21rocsparse_complex_numIdEEEvi20rocsparse_direction_NS_24const_host_device_scalarIT1_EEPKiS8_PKS5_iiSA_S6_PS5_21rocsparse_index_base_b.num_named_barrier, 0
	.set _ZN9rocsparseL23gebsrmvn_general_kernelILj32ELj32E21rocsparse_complex_numIdEEEvi20rocsparse_direction_NS_24const_host_device_scalarIT1_EEPKiS8_PKS5_iiSA_S6_PS5_21rocsparse_index_base_b.private_seg_size, 0
	.set _ZN9rocsparseL23gebsrmvn_general_kernelILj32ELj32E21rocsparse_complex_numIdEEEvi20rocsparse_direction_NS_24const_host_device_scalarIT1_EEPKiS8_PKS5_iiSA_S6_PS5_21rocsparse_index_base_b.uses_vcc, 1
	.set _ZN9rocsparseL23gebsrmvn_general_kernelILj32ELj32E21rocsparse_complex_numIdEEEvi20rocsparse_direction_NS_24const_host_device_scalarIT1_EEPKiS8_PKS5_iiSA_S6_PS5_21rocsparse_index_base_b.uses_flat_scratch, 0
	.set _ZN9rocsparseL23gebsrmvn_general_kernelILj32ELj32E21rocsparse_complex_numIdEEEvi20rocsparse_direction_NS_24const_host_device_scalarIT1_EEPKiS8_PKS5_iiSA_S6_PS5_21rocsparse_index_base_b.has_dyn_sized_stack, 0
	.set _ZN9rocsparseL23gebsrmvn_general_kernelILj32ELj32E21rocsparse_complex_numIdEEEvi20rocsparse_direction_NS_24const_host_device_scalarIT1_EEPKiS8_PKS5_iiSA_S6_PS5_21rocsparse_index_base_b.has_recursion, 0
	.set _ZN9rocsparseL23gebsrmvn_general_kernelILj32ELj32E21rocsparse_complex_numIdEEEvi20rocsparse_direction_NS_24const_host_device_scalarIT1_EEPKiS8_PKS5_iiSA_S6_PS5_21rocsparse_index_base_b.has_indirect_call, 0
	.section	.AMDGPU.csdata,"",@progbits
; Kernel info:
; codeLenInByte = 1268
; TotalNumSgprs: 28
; NumVgprs: 32
; ScratchSize: 0
; MemoryBound: 0
; FloatMode: 240
; IeeeMode: 1
; LDSByteSize: 0 bytes/workgroup (compile time only)
; SGPRBlocks: 0
; VGPRBlocks: 1
; NumSGPRsForWavesPerEU: 28
; NumVGPRsForWavesPerEU: 32
; NamedBarCnt: 0
; Occupancy: 16
; WaveLimiterHint : 1
; COMPUTE_PGM_RSRC2:SCRATCH_EN: 0
; COMPUTE_PGM_RSRC2:USER_SGPR: 2
; COMPUTE_PGM_RSRC2:TRAP_HANDLER: 0
; COMPUTE_PGM_RSRC2:TGID_X_EN: 1
; COMPUTE_PGM_RSRC2:TGID_Y_EN: 0
; COMPUTE_PGM_RSRC2:TGID_Z_EN: 0
; COMPUTE_PGM_RSRC2:TIDIG_COMP_CNT: 0
	.section	.AMDGPU.gpr_maximums,"",@progbits
	.set amdgpu.max_num_vgpr, 0
	.set amdgpu.max_num_agpr, 0
	.set amdgpu.max_num_sgpr, 0
	.section	.AMDGPU.csdata,"",@progbits
	.type	__hip_cuid_93b753fb0e5f336,@object ; @__hip_cuid_93b753fb0e5f336
	.section	.bss,"aw",@nobits
	.globl	__hip_cuid_93b753fb0e5f336
__hip_cuid_93b753fb0e5f336:
	.byte	0                               ; 0x0
	.size	__hip_cuid_93b753fb0e5f336, 1

	.ident	"AMD clang version 22.0.0git (https://github.com/RadeonOpenCompute/llvm-project roc-7.2.4 26084 f58b06dce1f9c15707c5f808fd002e18c2accf7e)"
	.section	".note.GNU-stack","",@progbits
	.addrsig
	.addrsig_sym __hip_cuid_93b753fb0e5f336
	.amdgpu_metadata
---
amdhsa.kernels:
  - .args:
      - .offset:         0
        .size:           4
        .value_kind:     by_value
      - .offset:         4
        .size:           4
        .value_kind:     by_value
      - .offset:         8
        .size:           8
        .value_kind:     by_value
      - .actual_access:  read_only
        .address_space:  global
        .offset:         16
        .size:           8
        .value_kind:     global_buffer
      - .actual_access:  read_only
        .address_space:  global
        .offset:         24
        .size:           8
        .value_kind:     global_buffer
      - .actual_access:  read_only
        .address_space:  global
        .offset:         32
        .size:           8
        .value_kind:     global_buffer
      - .actual_access:  read_only
        .address_space:  global
        .offset:         40
        .size:           8
        .value_kind:     global_buffer
      - .offset:         48
        .size:           8
        .value_kind:     by_value
      - .address_space:  global
        .offset:         56
        .size:           8
        .value_kind:     global_buffer
      - .offset:         64
        .size:           4
        .value_kind:     by_value
      - .offset:         68
        .size:           1
        .value_kind:     by_value
    .group_segment_fixed_size: 0
    .kernarg_segment_align: 8
    .kernarg_segment_size: 72
    .language:       OpenCL C
    .language_version:
      - 2
      - 0
    .max_flat_workgroup_size: 128
    .name:           _ZN9rocsparseL19gebsrmvn_2xn_kernelILj128ELj1ELj4EfEEvi20rocsparse_direction_NS_24const_host_device_scalarIT2_EEPKiS6_PKS3_S8_S4_PS3_21rocsparse_index_base_b
    .private_segment_fixed_size: 0
    .sgpr_count:     20
    .sgpr_spill_count: 0
    .symbol:         _ZN9rocsparseL19gebsrmvn_2xn_kernelILj128ELj1ELj4EfEEvi20rocsparse_direction_NS_24const_host_device_scalarIT2_EEPKiS6_PKS3_S8_S4_PS3_21rocsparse_index_base_b.kd
    .uniform_work_group_size: 1
    .uses_dynamic_stack: false
    .vgpr_count:     16
    .vgpr_spill_count: 0
    .wavefront_size: 32
  - .args:
      - .offset:         0
        .size:           4
        .value_kind:     by_value
      - .offset:         4
        .size:           4
        .value_kind:     by_value
      - .offset:         8
        .size:           8
        .value_kind:     by_value
      - .actual_access:  read_only
        .address_space:  global
        .offset:         16
        .size:           8
        .value_kind:     global_buffer
      - .actual_access:  read_only
        .address_space:  global
        .offset:         24
        .size:           8
        .value_kind:     global_buffer
      - .actual_access:  read_only
        .address_space:  global
        .offset:         32
        .size:           8
        .value_kind:     global_buffer
      - .actual_access:  read_only
        .address_space:  global
        .offset:         40
        .size:           8
        .value_kind:     global_buffer
      - .offset:         48
        .size:           8
        .value_kind:     by_value
      - .address_space:  global
        .offset:         56
        .size:           8
        .value_kind:     global_buffer
      - .offset:         64
        .size:           4
        .value_kind:     by_value
      - .offset:         68
        .size:           1
        .value_kind:     by_value
    .group_segment_fixed_size: 0
    .kernarg_segment_align: 8
    .kernarg_segment_size: 72
    .language:       OpenCL C
    .language_version:
      - 2
      - 0
    .max_flat_workgroup_size: 128
    .name:           _ZN9rocsparseL19gebsrmvn_2xn_kernelILj128ELj1ELj8EfEEvi20rocsparse_direction_NS_24const_host_device_scalarIT2_EEPKiS6_PKS3_S8_S4_PS3_21rocsparse_index_base_b
    .private_segment_fixed_size: 0
    .sgpr_count:     20
    .sgpr_spill_count: 0
    .symbol:         _ZN9rocsparseL19gebsrmvn_2xn_kernelILj128ELj1ELj8EfEEvi20rocsparse_direction_NS_24const_host_device_scalarIT2_EEPKiS6_PKS3_S8_S4_PS3_21rocsparse_index_base_b.kd
    .uniform_work_group_size: 1
    .uses_dynamic_stack: false
    .vgpr_count:     16
    .vgpr_spill_count: 0
    .wavefront_size: 32
  - .args:
      - .offset:         0
        .size:           4
        .value_kind:     by_value
      - .offset:         4
        .size:           4
        .value_kind:     by_value
      - .offset:         8
        .size:           8
        .value_kind:     by_value
      - .actual_access:  read_only
        .address_space:  global
        .offset:         16
        .size:           8
        .value_kind:     global_buffer
      - .actual_access:  read_only
        .address_space:  global
        .offset:         24
        .size:           8
        .value_kind:     global_buffer
      - .actual_access:  read_only
        .address_space:  global
        .offset:         32
        .size:           8
        .value_kind:     global_buffer
      - .actual_access:  read_only
        .address_space:  global
        .offset:         40
        .size:           8
        .value_kind:     global_buffer
      - .offset:         48
        .size:           8
        .value_kind:     by_value
      - .address_space:  global
        .offset:         56
        .size:           8
        .value_kind:     global_buffer
      - .offset:         64
        .size:           4
        .value_kind:     by_value
      - .offset:         68
        .size:           1
        .value_kind:     by_value
    .group_segment_fixed_size: 0
    .kernarg_segment_align: 8
    .kernarg_segment_size: 72
    .language:       OpenCL C
    .language_version:
      - 2
      - 0
    .max_flat_workgroup_size: 128
    .name:           _ZN9rocsparseL19gebsrmvn_2xn_kernelILj128ELj1ELj16EfEEvi20rocsparse_direction_NS_24const_host_device_scalarIT2_EEPKiS6_PKS3_S8_S4_PS3_21rocsparse_index_base_b
    .private_segment_fixed_size: 0
    .sgpr_count:     20
    .sgpr_spill_count: 0
    .symbol:         _ZN9rocsparseL19gebsrmvn_2xn_kernelILj128ELj1ELj16EfEEvi20rocsparse_direction_NS_24const_host_device_scalarIT2_EEPKiS6_PKS3_S8_S4_PS3_21rocsparse_index_base_b.kd
    .uniform_work_group_size: 1
    .uses_dynamic_stack: false
    .vgpr_count:     16
    .vgpr_spill_count: 0
    .wavefront_size: 32
  - .args:
      - .offset:         0
        .size:           4
        .value_kind:     by_value
      - .offset:         4
        .size:           4
        .value_kind:     by_value
      - .offset:         8
        .size:           8
        .value_kind:     by_value
      - .actual_access:  read_only
        .address_space:  global
        .offset:         16
        .size:           8
        .value_kind:     global_buffer
      - .actual_access:  read_only
        .address_space:  global
        .offset:         24
        .size:           8
        .value_kind:     global_buffer
      - .actual_access:  read_only
        .address_space:  global
        .offset:         32
        .size:           8
        .value_kind:     global_buffer
      - .actual_access:  read_only
        .address_space:  global
        .offset:         40
        .size:           8
        .value_kind:     global_buffer
      - .offset:         48
        .size:           8
        .value_kind:     by_value
      - .address_space:  global
        .offset:         56
        .size:           8
        .value_kind:     global_buffer
      - .offset:         64
        .size:           4
        .value_kind:     by_value
      - .offset:         68
        .size:           1
        .value_kind:     by_value
    .group_segment_fixed_size: 0
    .kernarg_segment_align: 8
    .kernarg_segment_size: 72
    .language:       OpenCL C
    .language_version:
      - 2
      - 0
    .max_flat_workgroup_size: 128
    .name:           _ZN9rocsparseL19gebsrmvn_2xn_kernelILj128ELj1ELj32EfEEvi20rocsparse_direction_NS_24const_host_device_scalarIT2_EEPKiS6_PKS3_S8_S4_PS3_21rocsparse_index_base_b
    .private_segment_fixed_size: 0
    .sgpr_count:     20
    .sgpr_spill_count: 0
    .symbol:         _ZN9rocsparseL19gebsrmvn_2xn_kernelILj128ELj1ELj32EfEEvi20rocsparse_direction_NS_24const_host_device_scalarIT2_EEPKiS6_PKS3_S8_S4_PS3_21rocsparse_index_base_b.kd
    .uniform_work_group_size: 1
    .uses_dynamic_stack: false
    .vgpr_count:     16
    .vgpr_spill_count: 0
    .wavefront_size: 32
  - .args:
      - .offset:         0
        .size:           4
        .value_kind:     by_value
      - .offset:         4
        .size:           4
        .value_kind:     by_value
      - .offset:         8
        .size:           8
        .value_kind:     by_value
      - .actual_access:  read_only
        .address_space:  global
        .offset:         16
        .size:           8
        .value_kind:     global_buffer
      - .actual_access:  read_only
        .address_space:  global
        .offset:         24
        .size:           8
        .value_kind:     global_buffer
      - .actual_access:  read_only
        .address_space:  global
        .offset:         32
        .size:           8
        .value_kind:     global_buffer
      - .actual_access:  read_only
        .address_space:  global
        .offset:         40
        .size:           8
        .value_kind:     global_buffer
      - .offset:         48
        .size:           8
        .value_kind:     by_value
      - .address_space:  global
        .offset:         56
        .size:           8
        .value_kind:     global_buffer
      - .offset:         64
        .size:           4
        .value_kind:     by_value
      - .offset:         68
        .size:           1
        .value_kind:     by_value
    .group_segment_fixed_size: 0
    .kernarg_segment_align: 8
    .kernarg_segment_size: 72
    .language:       OpenCL C
    .language_version:
      - 2
      - 0
    .max_flat_workgroup_size: 128
    .name:           _ZN9rocsparseL19gebsrmvn_2xn_kernelILj128ELj1ELj64EfEEvi20rocsparse_direction_NS_24const_host_device_scalarIT2_EEPKiS6_PKS3_S8_S4_PS3_21rocsparse_index_base_b
    .private_segment_fixed_size: 0
    .sgpr_count:     20
    .sgpr_spill_count: 0
    .symbol:         _ZN9rocsparseL19gebsrmvn_2xn_kernelILj128ELj1ELj64EfEEvi20rocsparse_direction_NS_24const_host_device_scalarIT2_EEPKiS6_PKS3_S8_S4_PS3_21rocsparse_index_base_b.kd
    .uniform_work_group_size: 1
    .uses_dynamic_stack: false
    .vgpr_count:     16
    .vgpr_spill_count: 0
    .wavefront_size: 32
  - .args:
      - .offset:         0
        .size:           4
        .value_kind:     by_value
      - .offset:         4
        .size:           4
        .value_kind:     by_value
      - .offset:         8
        .size:           8
        .value_kind:     by_value
      - .actual_access:  read_only
        .address_space:  global
        .offset:         16
        .size:           8
        .value_kind:     global_buffer
      - .actual_access:  read_only
        .address_space:  global
        .offset:         24
        .size:           8
        .value_kind:     global_buffer
      - .actual_access:  read_only
        .address_space:  global
        .offset:         32
        .size:           8
        .value_kind:     global_buffer
      - .actual_access:  read_only
        .address_space:  global
        .offset:         40
        .size:           8
        .value_kind:     global_buffer
      - .offset:         48
        .size:           8
        .value_kind:     by_value
      - .address_space:  global
        .offset:         56
        .size:           8
        .value_kind:     global_buffer
      - .offset:         64
        .size:           4
        .value_kind:     by_value
      - .offset:         68
        .size:           1
        .value_kind:     by_value
    .group_segment_fixed_size: 0
    .kernarg_segment_align: 8
    .kernarg_segment_size: 72
    .language:       OpenCL C
    .language_version:
      - 2
      - 0
    .max_flat_workgroup_size: 128
    .name:           _ZN9rocsparseL19gebsrmvn_2xn_kernelILj128ELj3ELj4EfEEvi20rocsparse_direction_NS_24const_host_device_scalarIT2_EEPKiS6_PKS3_S8_S4_PS3_21rocsparse_index_base_b
    .private_segment_fixed_size: 0
    .sgpr_count:     20
    .sgpr_spill_count: 0
    .symbol:         _ZN9rocsparseL19gebsrmvn_2xn_kernelILj128ELj3ELj4EfEEvi20rocsparse_direction_NS_24const_host_device_scalarIT2_EEPKiS6_PKS3_S8_S4_PS3_21rocsparse_index_base_b.kd
    .uniform_work_group_size: 1
    .uses_dynamic_stack: false
    .vgpr_count:     24
    .vgpr_spill_count: 0
    .wavefront_size: 32
  - .args:
      - .offset:         0
        .size:           4
        .value_kind:     by_value
      - .offset:         4
        .size:           4
        .value_kind:     by_value
      - .offset:         8
        .size:           8
        .value_kind:     by_value
      - .actual_access:  read_only
        .address_space:  global
        .offset:         16
        .size:           8
        .value_kind:     global_buffer
      - .actual_access:  read_only
        .address_space:  global
        .offset:         24
        .size:           8
        .value_kind:     global_buffer
      - .actual_access:  read_only
        .address_space:  global
        .offset:         32
        .size:           8
        .value_kind:     global_buffer
      - .actual_access:  read_only
        .address_space:  global
        .offset:         40
        .size:           8
        .value_kind:     global_buffer
      - .offset:         48
        .size:           8
        .value_kind:     by_value
      - .address_space:  global
        .offset:         56
        .size:           8
        .value_kind:     global_buffer
      - .offset:         64
        .size:           4
        .value_kind:     by_value
      - .offset:         68
        .size:           1
        .value_kind:     by_value
    .group_segment_fixed_size: 0
    .kernarg_segment_align: 8
    .kernarg_segment_size: 72
    .language:       OpenCL C
    .language_version:
      - 2
      - 0
    .max_flat_workgroup_size: 128
    .name:           _ZN9rocsparseL19gebsrmvn_2xn_kernelILj128ELj3ELj8EfEEvi20rocsparse_direction_NS_24const_host_device_scalarIT2_EEPKiS6_PKS3_S8_S4_PS3_21rocsparse_index_base_b
    .private_segment_fixed_size: 0
    .sgpr_count:     20
    .sgpr_spill_count: 0
    .symbol:         _ZN9rocsparseL19gebsrmvn_2xn_kernelILj128ELj3ELj8EfEEvi20rocsparse_direction_NS_24const_host_device_scalarIT2_EEPKiS6_PKS3_S8_S4_PS3_21rocsparse_index_base_b.kd
    .uniform_work_group_size: 1
    .uses_dynamic_stack: false
    .vgpr_count:     24
    .vgpr_spill_count: 0
    .wavefront_size: 32
  - .args:
      - .offset:         0
        .size:           4
        .value_kind:     by_value
      - .offset:         4
        .size:           4
        .value_kind:     by_value
      - .offset:         8
        .size:           8
        .value_kind:     by_value
      - .actual_access:  read_only
        .address_space:  global
        .offset:         16
        .size:           8
        .value_kind:     global_buffer
      - .actual_access:  read_only
        .address_space:  global
        .offset:         24
        .size:           8
        .value_kind:     global_buffer
      - .actual_access:  read_only
        .address_space:  global
        .offset:         32
        .size:           8
        .value_kind:     global_buffer
      - .actual_access:  read_only
        .address_space:  global
        .offset:         40
        .size:           8
        .value_kind:     global_buffer
      - .offset:         48
        .size:           8
        .value_kind:     by_value
      - .address_space:  global
        .offset:         56
        .size:           8
        .value_kind:     global_buffer
      - .offset:         64
        .size:           4
        .value_kind:     by_value
      - .offset:         68
        .size:           1
        .value_kind:     by_value
    .group_segment_fixed_size: 0
    .kernarg_segment_align: 8
    .kernarg_segment_size: 72
    .language:       OpenCL C
    .language_version:
      - 2
      - 0
    .max_flat_workgroup_size: 128
    .name:           _ZN9rocsparseL19gebsrmvn_2xn_kernelILj128ELj3ELj16EfEEvi20rocsparse_direction_NS_24const_host_device_scalarIT2_EEPKiS6_PKS3_S8_S4_PS3_21rocsparse_index_base_b
    .private_segment_fixed_size: 0
    .sgpr_count:     20
    .sgpr_spill_count: 0
    .symbol:         _ZN9rocsparseL19gebsrmvn_2xn_kernelILj128ELj3ELj16EfEEvi20rocsparse_direction_NS_24const_host_device_scalarIT2_EEPKiS6_PKS3_S8_S4_PS3_21rocsparse_index_base_b.kd
    .uniform_work_group_size: 1
    .uses_dynamic_stack: false
    .vgpr_count:     24
    .vgpr_spill_count: 0
    .wavefront_size: 32
  - .args:
      - .offset:         0
        .size:           4
        .value_kind:     by_value
      - .offset:         4
        .size:           4
        .value_kind:     by_value
      - .offset:         8
        .size:           8
        .value_kind:     by_value
      - .actual_access:  read_only
        .address_space:  global
        .offset:         16
        .size:           8
        .value_kind:     global_buffer
      - .actual_access:  read_only
        .address_space:  global
        .offset:         24
        .size:           8
        .value_kind:     global_buffer
      - .actual_access:  read_only
        .address_space:  global
        .offset:         32
        .size:           8
        .value_kind:     global_buffer
      - .actual_access:  read_only
        .address_space:  global
        .offset:         40
        .size:           8
        .value_kind:     global_buffer
      - .offset:         48
        .size:           8
        .value_kind:     by_value
      - .address_space:  global
        .offset:         56
        .size:           8
        .value_kind:     global_buffer
      - .offset:         64
        .size:           4
        .value_kind:     by_value
      - .offset:         68
        .size:           1
        .value_kind:     by_value
    .group_segment_fixed_size: 0
    .kernarg_segment_align: 8
    .kernarg_segment_size: 72
    .language:       OpenCL C
    .language_version:
      - 2
      - 0
    .max_flat_workgroup_size: 128
    .name:           _ZN9rocsparseL19gebsrmvn_2xn_kernelILj128ELj3ELj32EfEEvi20rocsparse_direction_NS_24const_host_device_scalarIT2_EEPKiS6_PKS3_S8_S4_PS3_21rocsparse_index_base_b
    .private_segment_fixed_size: 0
    .sgpr_count:     20
    .sgpr_spill_count: 0
    .symbol:         _ZN9rocsparseL19gebsrmvn_2xn_kernelILj128ELj3ELj32EfEEvi20rocsparse_direction_NS_24const_host_device_scalarIT2_EEPKiS6_PKS3_S8_S4_PS3_21rocsparse_index_base_b.kd
    .uniform_work_group_size: 1
    .uses_dynamic_stack: false
    .vgpr_count:     24
    .vgpr_spill_count: 0
    .wavefront_size: 32
  - .args:
      - .offset:         0
        .size:           4
        .value_kind:     by_value
      - .offset:         4
        .size:           4
        .value_kind:     by_value
      - .offset:         8
        .size:           8
        .value_kind:     by_value
      - .actual_access:  read_only
        .address_space:  global
        .offset:         16
        .size:           8
        .value_kind:     global_buffer
      - .actual_access:  read_only
        .address_space:  global
        .offset:         24
        .size:           8
        .value_kind:     global_buffer
      - .actual_access:  read_only
        .address_space:  global
        .offset:         32
        .size:           8
        .value_kind:     global_buffer
      - .actual_access:  read_only
        .address_space:  global
        .offset:         40
        .size:           8
        .value_kind:     global_buffer
      - .offset:         48
        .size:           8
        .value_kind:     by_value
      - .address_space:  global
        .offset:         56
        .size:           8
        .value_kind:     global_buffer
      - .offset:         64
        .size:           4
        .value_kind:     by_value
      - .offset:         68
        .size:           1
        .value_kind:     by_value
    .group_segment_fixed_size: 0
    .kernarg_segment_align: 8
    .kernarg_segment_size: 72
    .language:       OpenCL C
    .language_version:
      - 2
      - 0
    .max_flat_workgroup_size: 128
    .name:           _ZN9rocsparseL19gebsrmvn_2xn_kernelILj128ELj3ELj64EfEEvi20rocsparse_direction_NS_24const_host_device_scalarIT2_EEPKiS6_PKS3_S8_S4_PS3_21rocsparse_index_base_b
    .private_segment_fixed_size: 0
    .sgpr_count:     20
    .sgpr_spill_count: 0
    .symbol:         _ZN9rocsparseL19gebsrmvn_2xn_kernelILj128ELj3ELj64EfEEvi20rocsparse_direction_NS_24const_host_device_scalarIT2_EEPKiS6_PKS3_S8_S4_PS3_21rocsparse_index_base_b.kd
    .uniform_work_group_size: 1
    .uses_dynamic_stack: false
    .vgpr_count:     24
    .vgpr_spill_count: 0
    .wavefront_size: 32
  - .args:
      - .offset:         0
        .size:           4
        .value_kind:     by_value
      - .offset:         4
        .size:           4
        .value_kind:     by_value
      - .offset:         8
        .size:           8
        .value_kind:     by_value
      - .actual_access:  read_only
        .address_space:  global
        .offset:         16
        .size:           8
        .value_kind:     global_buffer
      - .actual_access:  read_only
        .address_space:  global
        .offset:         24
        .size:           8
        .value_kind:     global_buffer
      - .actual_access:  read_only
        .address_space:  global
        .offset:         32
        .size:           8
        .value_kind:     global_buffer
      - .actual_access:  read_only
        .address_space:  global
        .offset:         40
        .size:           8
        .value_kind:     global_buffer
      - .offset:         48
        .size:           8
        .value_kind:     by_value
      - .address_space:  global
        .offset:         56
        .size:           8
        .value_kind:     global_buffer
      - .offset:         64
        .size:           4
        .value_kind:     by_value
      - .offset:         68
        .size:           1
        .value_kind:     by_value
    .group_segment_fixed_size: 0
    .kernarg_segment_align: 8
    .kernarg_segment_size: 72
    .language:       OpenCL C
    .language_version:
      - 2
      - 0
    .max_flat_workgroup_size: 128
    .name:           _ZN9rocsparseL19gebsrmvn_2xn_kernelILj128ELj4ELj4EfEEvi20rocsparse_direction_NS_24const_host_device_scalarIT2_EEPKiS6_PKS3_S8_S4_PS3_21rocsparse_index_base_b
    .private_segment_fixed_size: 0
    .sgpr_count:     20
    .sgpr_spill_count: 0
    .symbol:         _ZN9rocsparseL19gebsrmvn_2xn_kernelILj128ELj4ELj4EfEEvi20rocsparse_direction_NS_24const_host_device_scalarIT2_EEPKiS6_PKS3_S8_S4_PS3_21rocsparse_index_base_b.kd
    .uniform_work_group_size: 1
    .uses_dynamic_stack: false
    .vgpr_count:     26
    .vgpr_spill_count: 0
    .wavefront_size: 32
  - .args:
      - .offset:         0
        .size:           4
        .value_kind:     by_value
      - .offset:         4
        .size:           4
        .value_kind:     by_value
      - .offset:         8
        .size:           8
        .value_kind:     by_value
      - .actual_access:  read_only
        .address_space:  global
        .offset:         16
        .size:           8
        .value_kind:     global_buffer
      - .actual_access:  read_only
        .address_space:  global
        .offset:         24
        .size:           8
        .value_kind:     global_buffer
      - .actual_access:  read_only
        .address_space:  global
        .offset:         32
        .size:           8
        .value_kind:     global_buffer
      - .actual_access:  read_only
        .address_space:  global
        .offset:         40
        .size:           8
        .value_kind:     global_buffer
      - .offset:         48
        .size:           8
        .value_kind:     by_value
      - .address_space:  global
        .offset:         56
        .size:           8
        .value_kind:     global_buffer
      - .offset:         64
        .size:           4
        .value_kind:     by_value
      - .offset:         68
        .size:           1
        .value_kind:     by_value
    .group_segment_fixed_size: 0
    .kernarg_segment_align: 8
    .kernarg_segment_size: 72
    .language:       OpenCL C
    .language_version:
      - 2
      - 0
    .max_flat_workgroup_size: 128
    .name:           _ZN9rocsparseL19gebsrmvn_2xn_kernelILj128ELj4ELj8EfEEvi20rocsparse_direction_NS_24const_host_device_scalarIT2_EEPKiS6_PKS3_S8_S4_PS3_21rocsparse_index_base_b
    .private_segment_fixed_size: 0
    .sgpr_count:     20
    .sgpr_spill_count: 0
    .symbol:         _ZN9rocsparseL19gebsrmvn_2xn_kernelILj128ELj4ELj8EfEEvi20rocsparse_direction_NS_24const_host_device_scalarIT2_EEPKiS6_PKS3_S8_S4_PS3_21rocsparse_index_base_b.kd
    .uniform_work_group_size: 1
    .uses_dynamic_stack: false
    .vgpr_count:     26
    .vgpr_spill_count: 0
    .wavefront_size: 32
  - .args:
      - .offset:         0
        .size:           4
        .value_kind:     by_value
      - .offset:         4
        .size:           4
        .value_kind:     by_value
      - .offset:         8
        .size:           8
        .value_kind:     by_value
      - .actual_access:  read_only
        .address_space:  global
        .offset:         16
        .size:           8
        .value_kind:     global_buffer
      - .actual_access:  read_only
        .address_space:  global
        .offset:         24
        .size:           8
        .value_kind:     global_buffer
      - .actual_access:  read_only
        .address_space:  global
        .offset:         32
        .size:           8
        .value_kind:     global_buffer
      - .actual_access:  read_only
        .address_space:  global
        .offset:         40
        .size:           8
        .value_kind:     global_buffer
      - .offset:         48
        .size:           8
        .value_kind:     by_value
      - .address_space:  global
        .offset:         56
        .size:           8
        .value_kind:     global_buffer
      - .offset:         64
        .size:           4
        .value_kind:     by_value
      - .offset:         68
        .size:           1
        .value_kind:     by_value
    .group_segment_fixed_size: 0
    .kernarg_segment_align: 8
    .kernarg_segment_size: 72
    .language:       OpenCL C
    .language_version:
      - 2
      - 0
    .max_flat_workgroup_size: 128
    .name:           _ZN9rocsparseL19gebsrmvn_2xn_kernelILj128ELj4ELj16EfEEvi20rocsparse_direction_NS_24const_host_device_scalarIT2_EEPKiS6_PKS3_S8_S4_PS3_21rocsparse_index_base_b
    .private_segment_fixed_size: 0
    .sgpr_count:     20
    .sgpr_spill_count: 0
    .symbol:         _ZN9rocsparseL19gebsrmvn_2xn_kernelILj128ELj4ELj16EfEEvi20rocsparse_direction_NS_24const_host_device_scalarIT2_EEPKiS6_PKS3_S8_S4_PS3_21rocsparse_index_base_b.kd
    .uniform_work_group_size: 1
    .uses_dynamic_stack: false
    .vgpr_count:     26
    .vgpr_spill_count: 0
    .wavefront_size: 32
  - .args:
      - .offset:         0
        .size:           4
        .value_kind:     by_value
      - .offset:         4
        .size:           4
        .value_kind:     by_value
      - .offset:         8
        .size:           8
        .value_kind:     by_value
      - .actual_access:  read_only
        .address_space:  global
        .offset:         16
        .size:           8
        .value_kind:     global_buffer
      - .actual_access:  read_only
        .address_space:  global
        .offset:         24
        .size:           8
        .value_kind:     global_buffer
      - .actual_access:  read_only
        .address_space:  global
        .offset:         32
        .size:           8
        .value_kind:     global_buffer
      - .actual_access:  read_only
        .address_space:  global
        .offset:         40
        .size:           8
        .value_kind:     global_buffer
      - .offset:         48
        .size:           8
        .value_kind:     by_value
      - .address_space:  global
        .offset:         56
        .size:           8
        .value_kind:     global_buffer
      - .offset:         64
        .size:           4
        .value_kind:     by_value
      - .offset:         68
        .size:           1
        .value_kind:     by_value
    .group_segment_fixed_size: 0
    .kernarg_segment_align: 8
    .kernarg_segment_size: 72
    .language:       OpenCL C
    .language_version:
      - 2
      - 0
    .max_flat_workgroup_size: 128
    .name:           _ZN9rocsparseL19gebsrmvn_2xn_kernelILj128ELj4ELj32EfEEvi20rocsparse_direction_NS_24const_host_device_scalarIT2_EEPKiS6_PKS3_S8_S4_PS3_21rocsparse_index_base_b
    .private_segment_fixed_size: 0
    .sgpr_count:     20
    .sgpr_spill_count: 0
    .symbol:         _ZN9rocsparseL19gebsrmvn_2xn_kernelILj128ELj4ELj32EfEEvi20rocsparse_direction_NS_24const_host_device_scalarIT2_EEPKiS6_PKS3_S8_S4_PS3_21rocsparse_index_base_b.kd
    .uniform_work_group_size: 1
    .uses_dynamic_stack: false
    .vgpr_count:     26
    .vgpr_spill_count: 0
    .wavefront_size: 32
  - .args:
      - .offset:         0
        .size:           4
        .value_kind:     by_value
      - .offset:         4
        .size:           4
        .value_kind:     by_value
      - .offset:         8
        .size:           8
        .value_kind:     by_value
      - .actual_access:  read_only
        .address_space:  global
        .offset:         16
        .size:           8
        .value_kind:     global_buffer
      - .actual_access:  read_only
        .address_space:  global
        .offset:         24
        .size:           8
        .value_kind:     global_buffer
      - .actual_access:  read_only
        .address_space:  global
        .offset:         32
        .size:           8
        .value_kind:     global_buffer
      - .actual_access:  read_only
        .address_space:  global
        .offset:         40
        .size:           8
        .value_kind:     global_buffer
      - .offset:         48
        .size:           8
        .value_kind:     by_value
      - .address_space:  global
        .offset:         56
        .size:           8
        .value_kind:     global_buffer
      - .offset:         64
        .size:           4
        .value_kind:     by_value
      - .offset:         68
        .size:           1
        .value_kind:     by_value
    .group_segment_fixed_size: 0
    .kernarg_segment_align: 8
    .kernarg_segment_size: 72
    .language:       OpenCL C
    .language_version:
      - 2
      - 0
    .max_flat_workgroup_size: 128
    .name:           _ZN9rocsparseL19gebsrmvn_2xn_kernelILj128ELj4ELj64EfEEvi20rocsparse_direction_NS_24const_host_device_scalarIT2_EEPKiS6_PKS3_S8_S4_PS3_21rocsparse_index_base_b
    .private_segment_fixed_size: 0
    .sgpr_count:     20
    .sgpr_spill_count: 0
    .symbol:         _ZN9rocsparseL19gebsrmvn_2xn_kernelILj128ELj4ELj64EfEEvi20rocsparse_direction_NS_24const_host_device_scalarIT2_EEPKiS6_PKS3_S8_S4_PS3_21rocsparse_index_base_b.kd
    .uniform_work_group_size: 1
    .uses_dynamic_stack: false
    .vgpr_count:     26
    .vgpr_spill_count: 0
    .wavefront_size: 32
  - .args:
      - .offset:         0
        .size:           4
        .value_kind:     by_value
      - .offset:         4
        .size:           4
        .value_kind:     by_value
      - .offset:         8
        .size:           8
        .value_kind:     by_value
      - .actual_access:  read_only
        .address_space:  global
        .offset:         16
        .size:           8
        .value_kind:     global_buffer
      - .actual_access:  read_only
        .address_space:  global
        .offset:         24
        .size:           8
        .value_kind:     global_buffer
      - .actual_access:  read_only
        .address_space:  global
        .offset:         32
        .size:           8
        .value_kind:     global_buffer
      - .actual_access:  read_only
        .address_space:  global
        .offset:         40
        .size:           8
        .value_kind:     global_buffer
      - .offset:         48
        .size:           8
        .value_kind:     by_value
      - .address_space:  global
        .offset:         56
        .size:           8
        .value_kind:     global_buffer
      - .offset:         64
        .size:           4
        .value_kind:     by_value
      - .offset:         68
        .size:           1
        .value_kind:     by_value
    .group_segment_fixed_size: 0
    .kernarg_segment_align: 8
    .kernarg_segment_size: 72
    .language:       OpenCL C
    .language_version:
      - 2
      - 0
    .max_flat_workgroup_size: 128
    .name:           _ZN9rocsparseL19gebsrmvn_2xn_kernelILj128ELj5ELj4EfEEvi20rocsparse_direction_NS_24const_host_device_scalarIT2_EEPKiS6_PKS3_S8_S4_PS3_21rocsparse_index_base_b
    .private_segment_fixed_size: 0
    .sgpr_count:     20
    .sgpr_spill_count: 0
    .symbol:         _ZN9rocsparseL19gebsrmvn_2xn_kernelILj128ELj5ELj4EfEEvi20rocsparse_direction_NS_24const_host_device_scalarIT2_EEPKiS6_PKS3_S8_S4_PS3_21rocsparse_index_base_b.kd
    .uniform_work_group_size: 1
    .uses_dynamic_stack: false
    .vgpr_count:     32
    .vgpr_spill_count: 0
    .wavefront_size: 32
  - .args:
      - .offset:         0
        .size:           4
        .value_kind:     by_value
      - .offset:         4
        .size:           4
        .value_kind:     by_value
      - .offset:         8
        .size:           8
        .value_kind:     by_value
      - .actual_access:  read_only
        .address_space:  global
        .offset:         16
        .size:           8
        .value_kind:     global_buffer
      - .actual_access:  read_only
        .address_space:  global
        .offset:         24
        .size:           8
        .value_kind:     global_buffer
      - .actual_access:  read_only
        .address_space:  global
        .offset:         32
        .size:           8
        .value_kind:     global_buffer
      - .actual_access:  read_only
        .address_space:  global
        .offset:         40
        .size:           8
        .value_kind:     global_buffer
      - .offset:         48
        .size:           8
        .value_kind:     by_value
      - .address_space:  global
        .offset:         56
        .size:           8
        .value_kind:     global_buffer
      - .offset:         64
        .size:           4
        .value_kind:     by_value
      - .offset:         68
        .size:           1
        .value_kind:     by_value
    .group_segment_fixed_size: 0
    .kernarg_segment_align: 8
    .kernarg_segment_size: 72
    .language:       OpenCL C
    .language_version:
      - 2
      - 0
    .max_flat_workgroup_size: 128
    .name:           _ZN9rocsparseL19gebsrmvn_2xn_kernelILj128ELj5ELj8EfEEvi20rocsparse_direction_NS_24const_host_device_scalarIT2_EEPKiS6_PKS3_S8_S4_PS3_21rocsparse_index_base_b
    .private_segment_fixed_size: 0
    .sgpr_count:     20
    .sgpr_spill_count: 0
    .symbol:         _ZN9rocsparseL19gebsrmvn_2xn_kernelILj128ELj5ELj8EfEEvi20rocsparse_direction_NS_24const_host_device_scalarIT2_EEPKiS6_PKS3_S8_S4_PS3_21rocsparse_index_base_b.kd
    .uniform_work_group_size: 1
    .uses_dynamic_stack: false
    .vgpr_count:     32
    .vgpr_spill_count: 0
    .wavefront_size: 32
  - .args:
      - .offset:         0
        .size:           4
        .value_kind:     by_value
      - .offset:         4
        .size:           4
        .value_kind:     by_value
      - .offset:         8
        .size:           8
        .value_kind:     by_value
      - .actual_access:  read_only
        .address_space:  global
        .offset:         16
        .size:           8
        .value_kind:     global_buffer
      - .actual_access:  read_only
        .address_space:  global
        .offset:         24
        .size:           8
        .value_kind:     global_buffer
      - .actual_access:  read_only
        .address_space:  global
        .offset:         32
        .size:           8
        .value_kind:     global_buffer
      - .actual_access:  read_only
        .address_space:  global
        .offset:         40
        .size:           8
        .value_kind:     global_buffer
      - .offset:         48
        .size:           8
        .value_kind:     by_value
      - .address_space:  global
        .offset:         56
        .size:           8
        .value_kind:     global_buffer
      - .offset:         64
        .size:           4
        .value_kind:     by_value
      - .offset:         68
        .size:           1
        .value_kind:     by_value
    .group_segment_fixed_size: 0
    .kernarg_segment_align: 8
    .kernarg_segment_size: 72
    .language:       OpenCL C
    .language_version:
      - 2
      - 0
    .max_flat_workgroup_size: 128
    .name:           _ZN9rocsparseL19gebsrmvn_2xn_kernelILj128ELj5ELj16EfEEvi20rocsparse_direction_NS_24const_host_device_scalarIT2_EEPKiS6_PKS3_S8_S4_PS3_21rocsparse_index_base_b
    .private_segment_fixed_size: 0
    .sgpr_count:     20
    .sgpr_spill_count: 0
    .symbol:         _ZN9rocsparseL19gebsrmvn_2xn_kernelILj128ELj5ELj16EfEEvi20rocsparse_direction_NS_24const_host_device_scalarIT2_EEPKiS6_PKS3_S8_S4_PS3_21rocsparse_index_base_b.kd
    .uniform_work_group_size: 1
    .uses_dynamic_stack: false
    .vgpr_count:     32
    .vgpr_spill_count: 0
    .wavefront_size: 32
  - .args:
      - .offset:         0
        .size:           4
        .value_kind:     by_value
      - .offset:         4
        .size:           4
        .value_kind:     by_value
      - .offset:         8
        .size:           8
        .value_kind:     by_value
      - .actual_access:  read_only
        .address_space:  global
        .offset:         16
        .size:           8
        .value_kind:     global_buffer
      - .actual_access:  read_only
        .address_space:  global
        .offset:         24
        .size:           8
        .value_kind:     global_buffer
      - .actual_access:  read_only
        .address_space:  global
        .offset:         32
        .size:           8
        .value_kind:     global_buffer
      - .actual_access:  read_only
        .address_space:  global
        .offset:         40
        .size:           8
        .value_kind:     global_buffer
      - .offset:         48
        .size:           8
        .value_kind:     by_value
      - .address_space:  global
        .offset:         56
        .size:           8
        .value_kind:     global_buffer
      - .offset:         64
        .size:           4
        .value_kind:     by_value
      - .offset:         68
        .size:           1
        .value_kind:     by_value
    .group_segment_fixed_size: 0
    .kernarg_segment_align: 8
    .kernarg_segment_size: 72
    .language:       OpenCL C
    .language_version:
      - 2
      - 0
    .max_flat_workgroup_size: 128
    .name:           _ZN9rocsparseL19gebsrmvn_2xn_kernelILj128ELj5ELj32EfEEvi20rocsparse_direction_NS_24const_host_device_scalarIT2_EEPKiS6_PKS3_S8_S4_PS3_21rocsparse_index_base_b
    .private_segment_fixed_size: 0
    .sgpr_count:     20
    .sgpr_spill_count: 0
    .symbol:         _ZN9rocsparseL19gebsrmvn_2xn_kernelILj128ELj5ELj32EfEEvi20rocsparse_direction_NS_24const_host_device_scalarIT2_EEPKiS6_PKS3_S8_S4_PS3_21rocsparse_index_base_b.kd
    .uniform_work_group_size: 1
    .uses_dynamic_stack: false
    .vgpr_count:     32
    .vgpr_spill_count: 0
    .wavefront_size: 32
  - .args:
      - .offset:         0
        .size:           4
        .value_kind:     by_value
      - .offset:         4
        .size:           4
        .value_kind:     by_value
      - .offset:         8
        .size:           8
        .value_kind:     by_value
      - .actual_access:  read_only
        .address_space:  global
        .offset:         16
        .size:           8
        .value_kind:     global_buffer
      - .actual_access:  read_only
        .address_space:  global
        .offset:         24
        .size:           8
        .value_kind:     global_buffer
      - .actual_access:  read_only
        .address_space:  global
        .offset:         32
        .size:           8
        .value_kind:     global_buffer
      - .actual_access:  read_only
        .address_space:  global
        .offset:         40
        .size:           8
        .value_kind:     global_buffer
      - .offset:         48
        .size:           8
        .value_kind:     by_value
      - .address_space:  global
        .offset:         56
        .size:           8
        .value_kind:     global_buffer
      - .offset:         64
        .size:           4
        .value_kind:     by_value
      - .offset:         68
        .size:           1
        .value_kind:     by_value
    .group_segment_fixed_size: 0
    .kernarg_segment_align: 8
    .kernarg_segment_size: 72
    .language:       OpenCL C
    .language_version:
      - 2
      - 0
    .max_flat_workgroup_size: 128
    .name:           _ZN9rocsparseL19gebsrmvn_2xn_kernelILj128ELj5ELj64EfEEvi20rocsparse_direction_NS_24const_host_device_scalarIT2_EEPKiS6_PKS3_S8_S4_PS3_21rocsparse_index_base_b
    .private_segment_fixed_size: 0
    .sgpr_count:     20
    .sgpr_spill_count: 0
    .symbol:         _ZN9rocsparseL19gebsrmvn_2xn_kernelILj128ELj5ELj64EfEEvi20rocsparse_direction_NS_24const_host_device_scalarIT2_EEPKiS6_PKS3_S8_S4_PS3_21rocsparse_index_base_b.kd
    .uniform_work_group_size: 1
    .uses_dynamic_stack: false
    .vgpr_count:     32
    .vgpr_spill_count: 0
    .wavefront_size: 32
  - .args:
      - .offset:         0
        .size:           4
        .value_kind:     by_value
      - .offset:         4
        .size:           4
        .value_kind:     by_value
      - .offset:         8
        .size:           8
        .value_kind:     by_value
      - .actual_access:  read_only
        .address_space:  global
        .offset:         16
        .size:           8
        .value_kind:     global_buffer
      - .actual_access:  read_only
        .address_space:  global
        .offset:         24
        .size:           8
        .value_kind:     global_buffer
      - .actual_access:  read_only
        .address_space:  global
        .offset:         32
        .size:           8
        .value_kind:     global_buffer
      - .actual_access:  read_only
        .address_space:  global
        .offset:         40
        .size:           8
        .value_kind:     global_buffer
      - .offset:         48
        .size:           8
        .value_kind:     by_value
      - .address_space:  global
        .offset:         56
        .size:           8
        .value_kind:     global_buffer
      - .offset:         64
        .size:           4
        .value_kind:     by_value
      - .offset:         68
        .size:           1
        .value_kind:     by_value
    .group_segment_fixed_size: 0
    .kernarg_segment_align: 8
    .kernarg_segment_size: 72
    .language:       OpenCL C
    .language_version:
      - 2
      - 0
    .max_flat_workgroup_size: 128
    .name:           _ZN9rocsparseL19gebsrmvn_2xn_kernelILj128ELj6ELj4EfEEvi20rocsparse_direction_NS_24const_host_device_scalarIT2_EEPKiS6_PKS3_S8_S4_PS3_21rocsparse_index_base_b
    .private_segment_fixed_size: 0
    .sgpr_count:     20
    .sgpr_spill_count: 0
    .symbol:         _ZN9rocsparseL19gebsrmvn_2xn_kernelILj128ELj6ELj4EfEEvi20rocsparse_direction_NS_24const_host_device_scalarIT2_EEPKiS6_PKS3_S8_S4_PS3_21rocsparse_index_base_b.kd
    .uniform_work_group_size: 1
    .uses_dynamic_stack: false
    .vgpr_count:     36
    .vgpr_spill_count: 0
    .wavefront_size: 32
  - .args:
      - .offset:         0
        .size:           4
        .value_kind:     by_value
      - .offset:         4
        .size:           4
        .value_kind:     by_value
      - .offset:         8
        .size:           8
        .value_kind:     by_value
      - .actual_access:  read_only
        .address_space:  global
        .offset:         16
        .size:           8
        .value_kind:     global_buffer
      - .actual_access:  read_only
        .address_space:  global
        .offset:         24
        .size:           8
        .value_kind:     global_buffer
      - .actual_access:  read_only
        .address_space:  global
        .offset:         32
        .size:           8
        .value_kind:     global_buffer
      - .actual_access:  read_only
        .address_space:  global
        .offset:         40
        .size:           8
        .value_kind:     global_buffer
      - .offset:         48
        .size:           8
        .value_kind:     by_value
      - .address_space:  global
        .offset:         56
        .size:           8
        .value_kind:     global_buffer
      - .offset:         64
        .size:           4
        .value_kind:     by_value
      - .offset:         68
        .size:           1
        .value_kind:     by_value
    .group_segment_fixed_size: 0
    .kernarg_segment_align: 8
    .kernarg_segment_size: 72
    .language:       OpenCL C
    .language_version:
      - 2
      - 0
    .max_flat_workgroup_size: 128
    .name:           _ZN9rocsparseL19gebsrmvn_2xn_kernelILj128ELj6ELj8EfEEvi20rocsparse_direction_NS_24const_host_device_scalarIT2_EEPKiS6_PKS3_S8_S4_PS3_21rocsparse_index_base_b
    .private_segment_fixed_size: 0
    .sgpr_count:     20
    .sgpr_spill_count: 0
    .symbol:         _ZN9rocsparseL19gebsrmvn_2xn_kernelILj128ELj6ELj8EfEEvi20rocsparse_direction_NS_24const_host_device_scalarIT2_EEPKiS6_PKS3_S8_S4_PS3_21rocsparse_index_base_b.kd
    .uniform_work_group_size: 1
    .uses_dynamic_stack: false
    .vgpr_count:     36
    .vgpr_spill_count: 0
    .wavefront_size: 32
  - .args:
      - .offset:         0
        .size:           4
        .value_kind:     by_value
      - .offset:         4
        .size:           4
        .value_kind:     by_value
      - .offset:         8
        .size:           8
        .value_kind:     by_value
      - .actual_access:  read_only
        .address_space:  global
        .offset:         16
        .size:           8
        .value_kind:     global_buffer
      - .actual_access:  read_only
        .address_space:  global
        .offset:         24
        .size:           8
        .value_kind:     global_buffer
      - .actual_access:  read_only
        .address_space:  global
        .offset:         32
        .size:           8
        .value_kind:     global_buffer
      - .actual_access:  read_only
        .address_space:  global
        .offset:         40
        .size:           8
        .value_kind:     global_buffer
      - .offset:         48
        .size:           8
        .value_kind:     by_value
      - .address_space:  global
        .offset:         56
        .size:           8
        .value_kind:     global_buffer
      - .offset:         64
        .size:           4
        .value_kind:     by_value
      - .offset:         68
        .size:           1
        .value_kind:     by_value
    .group_segment_fixed_size: 0
    .kernarg_segment_align: 8
    .kernarg_segment_size: 72
    .language:       OpenCL C
    .language_version:
      - 2
      - 0
    .max_flat_workgroup_size: 128
    .name:           _ZN9rocsparseL19gebsrmvn_2xn_kernelILj128ELj6ELj16EfEEvi20rocsparse_direction_NS_24const_host_device_scalarIT2_EEPKiS6_PKS3_S8_S4_PS3_21rocsparse_index_base_b
    .private_segment_fixed_size: 0
    .sgpr_count:     20
    .sgpr_spill_count: 0
    .symbol:         _ZN9rocsparseL19gebsrmvn_2xn_kernelILj128ELj6ELj16EfEEvi20rocsparse_direction_NS_24const_host_device_scalarIT2_EEPKiS6_PKS3_S8_S4_PS3_21rocsparse_index_base_b.kd
    .uniform_work_group_size: 1
    .uses_dynamic_stack: false
    .vgpr_count:     36
    .vgpr_spill_count: 0
    .wavefront_size: 32
  - .args:
      - .offset:         0
        .size:           4
        .value_kind:     by_value
      - .offset:         4
        .size:           4
        .value_kind:     by_value
      - .offset:         8
        .size:           8
        .value_kind:     by_value
      - .actual_access:  read_only
        .address_space:  global
        .offset:         16
        .size:           8
        .value_kind:     global_buffer
      - .actual_access:  read_only
        .address_space:  global
        .offset:         24
        .size:           8
        .value_kind:     global_buffer
      - .actual_access:  read_only
        .address_space:  global
        .offset:         32
        .size:           8
        .value_kind:     global_buffer
      - .actual_access:  read_only
        .address_space:  global
        .offset:         40
        .size:           8
        .value_kind:     global_buffer
      - .offset:         48
        .size:           8
        .value_kind:     by_value
      - .address_space:  global
        .offset:         56
        .size:           8
        .value_kind:     global_buffer
      - .offset:         64
        .size:           4
        .value_kind:     by_value
      - .offset:         68
        .size:           1
        .value_kind:     by_value
    .group_segment_fixed_size: 0
    .kernarg_segment_align: 8
    .kernarg_segment_size: 72
    .language:       OpenCL C
    .language_version:
      - 2
      - 0
    .max_flat_workgroup_size: 128
    .name:           _ZN9rocsparseL19gebsrmvn_2xn_kernelILj128ELj6ELj32EfEEvi20rocsparse_direction_NS_24const_host_device_scalarIT2_EEPKiS6_PKS3_S8_S4_PS3_21rocsparse_index_base_b
    .private_segment_fixed_size: 0
    .sgpr_count:     20
    .sgpr_spill_count: 0
    .symbol:         _ZN9rocsparseL19gebsrmvn_2xn_kernelILj128ELj6ELj32EfEEvi20rocsparse_direction_NS_24const_host_device_scalarIT2_EEPKiS6_PKS3_S8_S4_PS3_21rocsparse_index_base_b.kd
    .uniform_work_group_size: 1
    .uses_dynamic_stack: false
    .vgpr_count:     36
    .vgpr_spill_count: 0
    .wavefront_size: 32
  - .args:
      - .offset:         0
        .size:           4
        .value_kind:     by_value
      - .offset:         4
        .size:           4
        .value_kind:     by_value
      - .offset:         8
        .size:           8
        .value_kind:     by_value
      - .actual_access:  read_only
        .address_space:  global
        .offset:         16
        .size:           8
        .value_kind:     global_buffer
      - .actual_access:  read_only
        .address_space:  global
        .offset:         24
        .size:           8
        .value_kind:     global_buffer
      - .actual_access:  read_only
        .address_space:  global
        .offset:         32
        .size:           8
        .value_kind:     global_buffer
      - .actual_access:  read_only
        .address_space:  global
        .offset:         40
        .size:           8
        .value_kind:     global_buffer
      - .offset:         48
        .size:           8
        .value_kind:     by_value
      - .address_space:  global
        .offset:         56
        .size:           8
        .value_kind:     global_buffer
      - .offset:         64
        .size:           4
        .value_kind:     by_value
      - .offset:         68
        .size:           1
        .value_kind:     by_value
    .group_segment_fixed_size: 0
    .kernarg_segment_align: 8
    .kernarg_segment_size: 72
    .language:       OpenCL C
    .language_version:
      - 2
      - 0
    .max_flat_workgroup_size: 128
    .name:           _ZN9rocsparseL19gebsrmvn_2xn_kernelILj128ELj6ELj64EfEEvi20rocsparse_direction_NS_24const_host_device_scalarIT2_EEPKiS6_PKS3_S8_S4_PS3_21rocsparse_index_base_b
    .private_segment_fixed_size: 0
    .sgpr_count:     20
    .sgpr_spill_count: 0
    .symbol:         _ZN9rocsparseL19gebsrmvn_2xn_kernelILj128ELj6ELj64EfEEvi20rocsparse_direction_NS_24const_host_device_scalarIT2_EEPKiS6_PKS3_S8_S4_PS3_21rocsparse_index_base_b.kd
    .uniform_work_group_size: 1
    .uses_dynamic_stack: false
    .vgpr_count:     36
    .vgpr_spill_count: 0
    .wavefront_size: 32
  - .args:
      - .offset:         0
        .size:           4
        .value_kind:     by_value
      - .offset:         4
        .size:           4
        .value_kind:     by_value
      - .offset:         8
        .size:           8
        .value_kind:     by_value
      - .actual_access:  read_only
        .address_space:  global
        .offset:         16
        .size:           8
        .value_kind:     global_buffer
      - .actual_access:  read_only
        .address_space:  global
        .offset:         24
        .size:           8
        .value_kind:     global_buffer
      - .actual_access:  read_only
        .address_space:  global
        .offset:         32
        .size:           8
        .value_kind:     global_buffer
      - .actual_access:  read_only
        .address_space:  global
        .offset:         40
        .size:           8
        .value_kind:     global_buffer
      - .offset:         48
        .size:           8
        .value_kind:     by_value
      - .address_space:  global
        .offset:         56
        .size:           8
        .value_kind:     global_buffer
      - .offset:         64
        .size:           4
        .value_kind:     by_value
      - .offset:         68
        .size:           1
        .value_kind:     by_value
    .group_segment_fixed_size: 0
    .kernarg_segment_align: 8
    .kernarg_segment_size: 72
    .language:       OpenCL C
    .language_version:
      - 2
      - 0
    .max_flat_workgroup_size: 128
    .name:           _ZN9rocsparseL19gebsrmvn_2xn_kernelILj128ELj7ELj4EfEEvi20rocsparse_direction_NS_24const_host_device_scalarIT2_EEPKiS6_PKS3_S8_S4_PS3_21rocsparse_index_base_b
    .private_segment_fixed_size: 0
    .sgpr_count:     20
    .sgpr_spill_count: 0
    .symbol:         _ZN9rocsparseL19gebsrmvn_2xn_kernelILj128ELj7ELj4EfEEvi20rocsparse_direction_NS_24const_host_device_scalarIT2_EEPKiS6_PKS3_S8_S4_PS3_21rocsparse_index_base_b.kd
    .uniform_work_group_size: 1
    .uses_dynamic_stack: false
    .vgpr_count:     40
    .vgpr_spill_count: 0
    .wavefront_size: 32
  - .args:
      - .offset:         0
        .size:           4
        .value_kind:     by_value
      - .offset:         4
        .size:           4
        .value_kind:     by_value
      - .offset:         8
        .size:           8
        .value_kind:     by_value
      - .actual_access:  read_only
        .address_space:  global
        .offset:         16
        .size:           8
        .value_kind:     global_buffer
      - .actual_access:  read_only
        .address_space:  global
        .offset:         24
        .size:           8
        .value_kind:     global_buffer
      - .actual_access:  read_only
        .address_space:  global
        .offset:         32
        .size:           8
        .value_kind:     global_buffer
      - .actual_access:  read_only
        .address_space:  global
        .offset:         40
        .size:           8
        .value_kind:     global_buffer
      - .offset:         48
        .size:           8
        .value_kind:     by_value
      - .address_space:  global
        .offset:         56
        .size:           8
        .value_kind:     global_buffer
      - .offset:         64
        .size:           4
        .value_kind:     by_value
      - .offset:         68
        .size:           1
        .value_kind:     by_value
    .group_segment_fixed_size: 0
    .kernarg_segment_align: 8
    .kernarg_segment_size: 72
    .language:       OpenCL C
    .language_version:
      - 2
      - 0
    .max_flat_workgroup_size: 128
    .name:           _ZN9rocsparseL19gebsrmvn_2xn_kernelILj128ELj7ELj8EfEEvi20rocsparse_direction_NS_24const_host_device_scalarIT2_EEPKiS6_PKS3_S8_S4_PS3_21rocsparse_index_base_b
    .private_segment_fixed_size: 0
    .sgpr_count:     20
    .sgpr_spill_count: 0
    .symbol:         _ZN9rocsparseL19gebsrmvn_2xn_kernelILj128ELj7ELj8EfEEvi20rocsparse_direction_NS_24const_host_device_scalarIT2_EEPKiS6_PKS3_S8_S4_PS3_21rocsparse_index_base_b.kd
    .uniform_work_group_size: 1
    .uses_dynamic_stack: false
    .vgpr_count:     40
    .vgpr_spill_count: 0
    .wavefront_size: 32
  - .args:
      - .offset:         0
        .size:           4
        .value_kind:     by_value
      - .offset:         4
        .size:           4
        .value_kind:     by_value
      - .offset:         8
        .size:           8
        .value_kind:     by_value
      - .actual_access:  read_only
        .address_space:  global
        .offset:         16
        .size:           8
        .value_kind:     global_buffer
      - .actual_access:  read_only
        .address_space:  global
        .offset:         24
        .size:           8
        .value_kind:     global_buffer
      - .actual_access:  read_only
        .address_space:  global
        .offset:         32
        .size:           8
        .value_kind:     global_buffer
      - .actual_access:  read_only
        .address_space:  global
        .offset:         40
        .size:           8
        .value_kind:     global_buffer
      - .offset:         48
        .size:           8
        .value_kind:     by_value
      - .address_space:  global
        .offset:         56
        .size:           8
        .value_kind:     global_buffer
      - .offset:         64
        .size:           4
        .value_kind:     by_value
      - .offset:         68
        .size:           1
        .value_kind:     by_value
    .group_segment_fixed_size: 0
    .kernarg_segment_align: 8
    .kernarg_segment_size: 72
    .language:       OpenCL C
    .language_version:
      - 2
      - 0
    .max_flat_workgroup_size: 128
    .name:           _ZN9rocsparseL19gebsrmvn_2xn_kernelILj128ELj7ELj16EfEEvi20rocsparse_direction_NS_24const_host_device_scalarIT2_EEPKiS6_PKS3_S8_S4_PS3_21rocsparse_index_base_b
    .private_segment_fixed_size: 0
    .sgpr_count:     20
    .sgpr_spill_count: 0
    .symbol:         _ZN9rocsparseL19gebsrmvn_2xn_kernelILj128ELj7ELj16EfEEvi20rocsparse_direction_NS_24const_host_device_scalarIT2_EEPKiS6_PKS3_S8_S4_PS3_21rocsparse_index_base_b.kd
    .uniform_work_group_size: 1
    .uses_dynamic_stack: false
    .vgpr_count:     40
    .vgpr_spill_count: 0
    .wavefront_size: 32
  - .args:
      - .offset:         0
        .size:           4
        .value_kind:     by_value
      - .offset:         4
        .size:           4
        .value_kind:     by_value
      - .offset:         8
        .size:           8
        .value_kind:     by_value
      - .actual_access:  read_only
        .address_space:  global
        .offset:         16
        .size:           8
        .value_kind:     global_buffer
      - .actual_access:  read_only
        .address_space:  global
        .offset:         24
        .size:           8
        .value_kind:     global_buffer
      - .actual_access:  read_only
        .address_space:  global
        .offset:         32
        .size:           8
        .value_kind:     global_buffer
      - .actual_access:  read_only
        .address_space:  global
        .offset:         40
        .size:           8
        .value_kind:     global_buffer
      - .offset:         48
        .size:           8
        .value_kind:     by_value
      - .address_space:  global
        .offset:         56
        .size:           8
        .value_kind:     global_buffer
      - .offset:         64
        .size:           4
        .value_kind:     by_value
      - .offset:         68
        .size:           1
        .value_kind:     by_value
    .group_segment_fixed_size: 0
    .kernarg_segment_align: 8
    .kernarg_segment_size: 72
    .language:       OpenCL C
    .language_version:
      - 2
      - 0
    .max_flat_workgroup_size: 128
    .name:           _ZN9rocsparseL19gebsrmvn_2xn_kernelILj128ELj7ELj32EfEEvi20rocsparse_direction_NS_24const_host_device_scalarIT2_EEPKiS6_PKS3_S8_S4_PS3_21rocsparse_index_base_b
    .private_segment_fixed_size: 0
    .sgpr_count:     20
    .sgpr_spill_count: 0
    .symbol:         _ZN9rocsparseL19gebsrmvn_2xn_kernelILj128ELj7ELj32EfEEvi20rocsparse_direction_NS_24const_host_device_scalarIT2_EEPKiS6_PKS3_S8_S4_PS3_21rocsparse_index_base_b.kd
    .uniform_work_group_size: 1
    .uses_dynamic_stack: false
    .vgpr_count:     40
    .vgpr_spill_count: 0
    .wavefront_size: 32
  - .args:
      - .offset:         0
        .size:           4
        .value_kind:     by_value
      - .offset:         4
        .size:           4
        .value_kind:     by_value
      - .offset:         8
        .size:           8
        .value_kind:     by_value
      - .actual_access:  read_only
        .address_space:  global
        .offset:         16
        .size:           8
        .value_kind:     global_buffer
      - .actual_access:  read_only
        .address_space:  global
        .offset:         24
        .size:           8
        .value_kind:     global_buffer
      - .actual_access:  read_only
        .address_space:  global
        .offset:         32
        .size:           8
        .value_kind:     global_buffer
      - .actual_access:  read_only
        .address_space:  global
        .offset:         40
        .size:           8
        .value_kind:     global_buffer
      - .offset:         48
        .size:           8
        .value_kind:     by_value
      - .address_space:  global
        .offset:         56
        .size:           8
        .value_kind:     global_buffer
      - .offset:         64
        .size:           4
        .value_kind:     by_value
      - .offset:         68
        .size:           1
        .value_kind:     by_value
    .group_segment_fixed_size: 0
    .kernarg_segment_align: 8
    .kernarg_segment_size: 72
    .language:       OpenCL C
    .language_version:
      - 2
      - 0
    .max_flat_workgroup_size: 128
    .name:           _ZN9rocsparseL19gebsrmvn_2xn_kernelILj128ELj7ELj64EfEEvi20rocsparse_direction_NS_24const_host_device_scalarIT2_EEPKiS6_PKS3_S8_S4_PS3_21rocsparse_index_base_b
    .private_segment_fixed_size: 0
    .sgpr_count:     20
    .sgpr_spill_count: 0
    .symbol:         _ZN9rocsparseL19gebsrmvn_2xn_kernelILj128ELj7ELj64EfEEvi20rocsparse_direction_NS_24const_host_device_scalarIT2_EEPKiS6_PKS3_S8_S4_PS3_21rocsparse_index_base_b.kd
    .uniform_work_group_size: 1
    .uses_dynamic_stack: false
    .vgpr_count:     40
    .vgpr_spill_count: 0
    .wavefront_size: 32
  - .args:
      - .offset:         0
        .size:           4
        .value_kind:     by_value
      - .offset:         4
        .size:           4
        .value_kind:     by_value
      - .offset:         8
        .size:           8
        .value_kind:     by_value
      - .actual_access:  read_only
        .address_space:  global
        .offset:         16
        .size:           8
        .value_kind:     global_buffer
      - .actual_access:  read_only
        .address_space:  global
        .offset:         24
        .size:           8
        .value_kind:     global_buffer
      - .actual_access:  read_only
        .address_space:  global
        .offset:         32
        .size:           8
        .value_kind:     global_buffer
      - .actual_access:  read_only
        .address_space:  global
        .offset:         40
        .size:           8
        .value_kind:     global_buffer
      - .offset:         48
        .size:           8
        .value_kind:     by_value
      - .address_space:  global
        .offset:         56
        .size:           8
        .value_kind:     global_buffer
      - .offset:         64
        .size:           4
        .value_kind:     by_value
      - .offset:         68
        .size:           1
        .value_kind:     by_value
    .group_segment_fixed_size: 0
    .kernarg_segment_align: 8
    .kernarg_segment_size: 72
    .language:       OpenCL C
    .language_version:
      - 2
      - 0
    .max_flat_workgroup_size: 128
    .name:           _ZN9rocsparseL19gebsrmvn_2xn_kernelILj128ELj8ELj4EfEEvi20rocsparse_direction_NS_24const_host_device_scalarIT2_EEPKiS6_PKS3_S8_S4_PS3_21rocsparse_index_base_b
    .private_segment_fixed_size: 0
    .sgpr_count:     20
    .sgpr_spill_count: 0
    .symbol:         _ZN9rocsparseL19gebsrmvn_2xn_kernelILj128ELj8ELj4EfEEvi20rocsparse_direction_NS_24const_host_device_scalarIT2_EEPKiS6_PKS3_S8_S4_PS3_21rocsparse_index_base_b.kd
    .uniform_work_group_size: 1
    .uses_dynamic_stack: false
    .vgpr_count:     38
    .vgpr_spill_count: 0
    .wavefront_size: 32
  - .args:
      - .offset:         0
        .size:           4
        .value_kind:     by_value
      - .offset:         4
        .size:           4
        .value_kind:     by_value
      - .offset:         8
        .size:           8
        .value_kind:     by_value
      - .actual_access:  read_only
        .address_space:  global
        .offset:         16
        .size:           8
        .value_kind:     global_buffer
      - .actual_access:  read_only
        .address_space:  global
        .offset:         24
        .size:           8
        .value_kind:     global_buffer
      - .actual_access:  read_only
        .address_space:  global
        .offset:         32
        .size:           8
        .value_kind:     global_buffer
      - .actual_access:  read_only
        .address_space:  global
        .offset:         40
        .size:           8
        .value_kind:     global_buffer
      - .offset:         48
        .size:           8
        .value_kind:     by_value
      - .address_space:  global
        .offset:         56
        .size:           8
        .value_kind:     global_buffer
      - .offset:         64
        .size:           4
        .value_kind:     by_value
      - .offset:         68
        .size:           1
        .value_kind:     by_value
    .group_segment_fixed_size: 0
    .kernarg_segment_align: 8
    .kernarg_segment_size: 72
    .language:       OpenCL C
    .language_version:
      - 2
      - 0
    .max_flat_workgroup_size: 128
    .name:           _ZN9rocsparseL19gebsrmvn_2xn_kernelILj128ELj8ELj8EfEEvi20rocsparse_direction_NS_24const_host_device_scalarIT2_EEPKiS6_PKS3_S8_S4_PS3_21rocsparse_index_base_b
    .private_segment_fixed_size: 0
    .sgpr_count:     20
    .sgpr_spill_count: 0
    .symbol:         _ZN9rocsparseL19gebsrmvn_2xn_kernelILj128ELj8ELj8EfEEvi20rocsparse_direction_NS_24const_host_device_scalarIT2_EEPKiS6_PKS3_S8_S4_PS3_21rocsparse_index_base_b.kd
    .uniform_work_group_size: 1
    .uses_dynamic_stack: false
    .vgpr_count:     38
    .vgpr_spill_count: 0
    .wavefront_size: 32
  - .args:
      - .offset:         0
        .size:           4
        .value_kind:     by_value
      - .offset:         4
        .size:           4
        .value_kind:     by_value
      - .offset:         8
        .size:           8
        .value_kind:     by_value
      - .actual_access:  read_only
        .address_space:  global
        .offset:         16
        .size:           8
        .value_kind:     global_buffer
      - .actual_access:  read_only
        .address_space:  global
        .offset:         24
        .size:           8
        .value_kind:     global_buffer
      - .actual_access:  read_only
        .address_space:  global
        .offset:         32
        .size:           8
        .value_kind:     global_buffer
      - .actual_access:  read_only
        .address_space:  global
        .offset:         40
        .size:           8
        .value_kind:     global_buffer
      - .offset:         48
        .size:           8
        .value_kind:     by_value
      - .address_space:  global
        .offset:         56
        .size:           8
        .value_kind:     global_buffer
      - .offset:         64
        .size:           4
        .value_kind:     by_value
      - .offset:         68
        .size:           1
        .value_kind:     by_value
    .group_segment_fixed_size: 0
    .kernarg_segment_align: 8
    .kernarg_segment_size: 72
    .language:       OpenCL C
    .language_version:
      - 2
      - 0
    .max_flat_workgroup_size: 128
    .name:           _ZN9rocsparseL19gebsrmvn_2xn_kernelILj128ELj8ELj16EfEEvi20rocsparse_direction_NS_24const_host_device_scalarIT2_EEPKiS6_PKS3_S8_S4_PS3_21rocsparse_index_base_b
    .private_segment_fixed_size: 0
    .sgpr_count:     20
    .sgpr_spill_count: 0
    .symbol:         _ZN9rocsparseL19gebsrmvn_2xn_kernelILj128ELj8ELj16EfEEvi20rocsparse_direction_NS_24const_host_device_scalarIT2_EEPKiS6_PKS3_S8_S4_PS3_21rocsparse_index_base_b.kd
    .uniform_work_group_size: 1
    .uses_dynamic_stack: false
    .vgpr_count:     38
    .vgpr_spill_count: 0
    .wavefront_size: 32
  - .args:
      - .offset:         0
        .size:           4
        .value_kind:     by_value
      - .offset:         4
        .size:           4
        .value_kind:     by_value
      - .offset:         8
        .size:           8
        .value_kind:     by_value
      - .actual_access:  read_only
        .address_space:  global
        .offset:         16
        .size:           8
        .value_kind:     global_buffer
      - .actual_access:  read_only
        .address_space:  global
        .offset:         24
        .size:           8
        .value_kind:     global_buffer
      - .actual_access:  read_only
        .address_space:  global
        .offset:         32
        .size:           8
        .value_kind:     global_buffer
      - .actual_access:  read_only
        .address_space:  global
        .offset:         40
        .size:           8
        .value_kind:     global_buffer
      - .offset:         48
        .size:           8
        .value_kind:     by_value
      - .address_space:  global
        .offset:         56
        .size:           8
        .value_kind:     global_buffer
      - .offset:         64
        .size:           4
        .value_kind:     by_value
      - .offset:         68
        .size:           1
        .value_kind:     by_value
    .group_segment_fixed_size: 0
    .kernarg_segment_align: 8
    .kernarg_segment_size: 72
    .language:       OpenCL C
    .language_version:
      - 2
      - 0
    .max_flat_workgroup_size: 128
    .name:           _ZN9rocsparseL19gebsrmvn_2xn_kernelILj128ELj8ELj32EfEEvi20rocsparse_direction_NS_24const_host_device_scalarIT2_EEPKiS6_PKS3_S8_S4_PS3_21rocsparse_index_base_b
    .private_segment_fixed_size: 0
    .sgpr_count:     20
    .sgpr_spill_count: 0
    .symbol:         _ZN9rocsparseL19gebsrmvn_2xn_kernelILj128ELj8ELj32EfEEvi20rocsparse_direction_NS_24const_host_device_scalarIT2_EEPKiS6_PKS3_S8_S4_PS3_21rocsparse_index_base_b.kd
    .uniform_work_group_size: 1
    .uses_dynamic_stack: false
    .vgpr_count:     38
    .vgpr_spill_count: 0
    .wavefront_size: 32
  - .args:
      - .offset:         0
        .size:           4
        .value_kind:     by_value
      - .offset:         4
        .size:           4
        .value_kind:     by_value
      - .offset:         8
        .size:           8
        .value_kind:     by_value
      - .actual_access:  read_only
        .address_space:  global
        .offset:         16
        .size:           8
        .value_kind:     global_buffer
      - .actual_access:  read_only
        .address_space:  global
        .offset:         24
        .size:           8
        .value_kind:     global_buffer
      - .actual_access:  read_only
        .address_space:  global
        .offset:         32
        .size:           8
        .value_kind:     global_buffer
      - .actual_access:  read_only
        .address_space:  global
        .offset:         40
        .size:           8
        .value_kind:     global_buffer
      - .offset:         48
        .size:           8
        .value_kind:     by_value
      - .address_space:  global
        .offset:         56
        .size:           8
        .value_kind:     global_buffer
      - .offset:         64
        .size:           4
        .value_kind:     by_value
      - .offset:         68
        .size:           1
        .value_kind:     by_value
    .group_segment_fixed_size: 0
    .kernarg_segment_align: 8
    .kernarg_segment_size: 72
    .language:       OpenCL C
    .language_version:
      - 2
      - 0
    .max_flat_workgroup_size: 128
    .name:           _ZN9rocsparseL19gebsrmvn_2xn_kernelILj128ELj8ELj64EfEEvi20rocsparse_direction_NS_24const_host_device_scalarIT2_EEPKiS6_PKS3_S8_S4_PS3_21rocsparse_index_base_b
    .private_segment_fixed_size: 0
    .sgpr_count:     20
    .sgpr_spill_count: 0
    .symbol:         _ZN9rocsparseL19gebsrmvn_2xn_kernelILj128ELj8ELj64EfEEvi20rocsparse_direction_NS_24const_host_device_scalarIT2_EEPKiS6_PKS3_S8_S4_PS3_21rocsparse_index_base_b.kd
    .uniform_work_group_size: 1
    .uses_dynamic_stack: false
    .vgpr_count:     38
    .vgpr_spill_count: 0
    .wavefront_size: 32
  - .args:
      - .offset:         0
        .size:           4
        .value_kind:     by_value
      - .offset:         4
        .size:           4
        .value_kind:     by_value
      - .offset:         8
        .size:           8
        .value_kind:     by_value
      - .actual_access:  read_only
        .address_space:  global
        .offset:         16
        .size:           8
        .value_kind:     global_buffer
      - .actual_access:  read_only
        .address_space:  global
        .offset:         24
        .size:           8
        .value_kind:     global_buffer
      - .actual_access:  read_only
        .address_space:  global
        .offset:         32
        .size:           8
        .value_kind:     global_buffer
      - .actual_access:  read_only
        .address_space:  global
        .offset:         40
        .size:           8
        .value_kind:     global_buffer
      - .offset:         48
        .size:           8
        .value_kind:     by_value
      - .address_space:  global
        .offset:         56
        .size:           8
        .value_kind:     global_buffer
      - .offset:         64
        .size:           4
        .value_kind:     by_value
      - .offset:         68
        .size:           1
        .value_kind:     by_value
    .group_segment_fixed_size: 0
    .kernarg_segment_align: 8
    .kernarg_segment_size: 72
    .language:       OpenCL C
    .language_version:
      - 2
      - 0
    .max_flat_workgroup_size: 128
    .name:           _ZN9rocsparseL19gebsrmvn_2xn_kernelILj128ELj9ELj4EfEEvi20rocsparse_direction_NS_24const_host_device_scalarIT2_EEPKiS6_PKS3_S8_S4_PS3_21rocsparse_index_base_b
    .private_segment_fixed_size: 0
    .sgpr_count:     20
    .sgpr_spill_count: 0
    .symbol:         _ZN9rocsparseL19gebsrmvn_2xn_kernelILj128ELj9ELj4EfEEvi20rocsparse_direction_NS_24const_host_device_scalarIT2_EEPKiS6_PKS3_S8_S4_PS3_21rocsparse_index_base_b.kd
    .uniform_work_group_size: 1
    .uses_dynamic_stack: false
    .vgpr_count:     48
    .vgpr_spill_count: 0
    .wavefront_size: 32
  - .args:
      - .offset:         0
        .size:           4
        .value_kind:     by_value
      - .offset:         4
        .size:           4
        .value_kind:     by_value
      - .offset:         8
        .size:           8
        .value_kind:     by_value
      - .actual_access:  read_only
        .address_space:  global
        .offset:         16
        .size:           8
        .value_kind:     global_buffer
      - .actual_access:  read_only
        .address_space:  global
        .offset:         24
        .size:           8
        .value_kind:     global_buffer
      - .actual_access:  read_only
        .address_space:  global
        .offset:         32
        .size:           8
        .value_kind:     global_buffer
      - .actual_access:  read_only
        .address_space:  global
        .offset:         40
        .size:           8
        .value_kind:     global_buffer
      - .offset:         48
        .size:           8
        .value_kind:     by_value
      - .address_space:  global
        .offset:         56
        .size:           8
        .value_kind:     global_buffer
      - .offset:         64
        .size:           4
        .value_kind:     by_value
      - .offset:         68
        .size:           1
        .value_kind:     by_value
    .group_segment_fixed_size: 0
    .kernarg_segment_align: 8
    .kernarg_segment_size: 72
    .language:       OpenCL C
    .language_version:
      - 2
      - 0
    .max_flat_workgroup_size: 128
    .name:           _ZN9rocsparseL19gebsrmvn_2xn_kernelILj128ELj9ELj8EfEEvi20rocsparse_direction_NS_24const_host_device_scalarIT2_EEPKiS6_PKS3_S8_S4_PS3_21rocsparse_index_base_b
    .private_segment_fixed_size: 0
    .sgpr_count:     20
    .sgpr_spill_count: 0
    .symbol:         _ZN9rocsparseL19gebsrmvn_2xn_kernelILj128ELj9ELj8EfEEvi20rocsparse_direction_NS_24const_host_device_scalarIT2_EEPKiS6_PKS3_S8_S4_PS3_21rocsparse_index_base_b.kd
    .uniform_work_group_size: 1
    .uses_dynamic_stack: false
    .vgpr_count:     48
    .vgpr_spill_count: 0
    .wavefront_size: 32
  - .args:
      - .offset:         0
        .size:           4
        .value_kind:     by_value
      - .offset:         4
        .size:           4
        .value_kind:     by_value
      - .offset:         8
        .size:           8
        .value_kind:     by_value
      - .actual_access:  read_only
        .address_space:  global
        .offset:         16
        .size:           8
        .value_kind:     global_buffer
      - .actual_access:  read_only
        .address_space:  global
        .offset:         24
        .size:           8
        .value_kind:     global_buffer
      - .actual_access:  read_only
        .address_space:  global
        .offset:         32
        .size:           8
        .value_kind:     global_buffer
      - .actual_access:  read_only
        .address_space:  global
        .offset:         40
        .size:           8
        .value_kind:     global_buffer
      - .offset:         48
        .size:           8
        .value_kind:     by_value
      - .address_space:  global
        .offset:         56
        .size:           8
        .value_kind:     global_buffer
      - .offset:         64
        .size:           4
        .value_kind:     by_value
      - .offset:         68
        .size:           1
        .value_kind:     by_value
    .group_segment_fixed_size: 0
    .kernarg_segment_align: 8
    .kernarg_segment_size: 72
    .language:       OpenCL C
    .language_version:
      - 2
      - 0
    .max_flat_workgroup_size: 128
    .name:           _ZN9rocsparseL19gebsrmvn_2xn_kernelILj128ELj9ELj16EfEEvi20rocsparse_direction_NS_24const_host_device_scalarIT2_EEPKiS6_PKS3_S8_S4_PS3_21rocsparse_index_base_b
    .private_segment_fixed_size: 0
    .sgpr_count:     20
    .sgpr_spill_count: 0
    .symbol:         _ZN9rocsparseL19gebsrmvn_2xn_kernelILj128ELj9ELj16EfEEvi20rocsparse_direction_NS_24const_host_device_scalarIT2_EEPKiS6_PKS3_S8_S4_PS3_21rocsparse_index_base_b.kd
    .uniform_work_group_size: 1
    .uses_dynamic_stack: false
    .vgpr_count:     48
    .vgpr_spill_count: 0
    .wavefront_size: 32
  - .args:
      - .offset:         0
        .size:           4
        .value_kind:     by_value
      - .offset:         4
        .size:           4
        .value_kind:     by_value
      - .offset:         8
        .size:           8
        .value_kind:     by_value
      - .actual_access:  read_only
        .address_space:  global
        .offset:         16
        .size:           8
        .value_kind:     global_buffer
      - .actual_access:  read_only
        .address_space:  global
        .offset:         24
        .size:           8
        .value_kind:     global_buffer
      - .actual_access:  read_only
        .address_space:  global
        .offset:         32
        .size:           8
        .value_kind:     global_buffer
      - .actual_access:  read_only
        .address_space:  global
        .offset:         40
        .size:           8
        .value_kind:     global_buffer
      - .offset:         48
        .size:           8
        .value_kind:     by_value
      - .address_space:  global
        .offset:         56
        .size:           8
        .value_kind:     global_buffer
      - .offset:         64
        .size:           4
        .value_kind:     by_value
      - .offset:         68
        .size:           1
        .value_kind:     by_value
    .group_segment_fixed_size: 0
    .kernarg_segment_align: 8
    .kernarg_segment_size: 72
    .language:       OpenCL C
    .language_version:
      - 2
      - 0
    .max_flat_workgroup_size: 128
    .name:           _ZN9rocsparseL19gebsrmvn_2xn_kernelILj128ELj9ELj32EfEEvi20rocsparse_direction_NS_24const_host_device_scalarIT2_EEPKiS6_PKS3_S8_S4_PS3_21rocsparse_index_base_b
    .private_segment_fixed_size: 0
    .sgpr_count:     20
    .sgpr_spill_count: 0
    .symbol:         _ZN9rocsparseL19gebsrmvn_2xn_kernelILj128ELj9ELj32EfEEvi20rocsparse_direction_NS_24const_host_device_scalarIT2_EEPKiS6_PKS3_S8_S4_PS3_21rocsparse_index_base_b.kd
    .uniform_work_group_size: 1
    .uses_dynamic_stack: false
    .vgpr_count:     48
    .vgpr_spill_count: 0
    .wavefront_size: 32
  - .args:
      - .offset:         0
        .size:           4
        .value_kind:     by_value
      - .offset:         4
        .size:           4
        .value_kind:     by_value
      - .offset:         8
        .size:           8
        .value_kind:     by_value
      - .actual_access:  read_only
        .address_space:  global
        .offset:         16
        .size:           8
        .value_kind:     global_buffer
      - .actual_access:  read_only
        .address_space:  global
        .offset:         24
        .size:           8
        .value_kind:     global_buffer
      - .actual_access:  read_only
        .address_space:  global
        .offset:         32
        .size:           8
        .value_kind:     global_buffer
      - .actual_access:  read_only
        .address_space:  global
        .offset:         40
        .size:           8
        .value_kind:     global_buffer
      - .offset:         48
        .size:           8
        .value_kind:     by_value
      - .address_space:  global
        .offset:         56
        .size:           8
        .value_kind:     global_buffer
      - .offset:         64
        .size:           4
        .value_kind:     by_value
      - .offset:         68
        .size:           1
        .value_kind:     by_value
    .group_segment_fixed_size: 0
    .kernarg_segment_align: 8
    .kernarg_segment_size: 72
    .language:       OpenCL C
    .language_version:
      - 2
      - 0
    .max_flat_workgroup_size: 128
    .name:           _ZN9rocsparseL19gebsrmvn_2xn_kernelILj128ELj9ELj64EfEEvi20rocsparse_direction_NS_24const_host_device_scalarIT2_EEPKiS6_PKS3_S8_S4_PS3_21rocsparse_index_base_b
    .private_segment_fixed_size: 0
    .sgpr_count:     20
    .sgpr_spill_count: 0
    .symbol:         _ZN9rocsparseL19gebsrmvn_2xn_kernelILj128ELj9ELj64EfEEvi20rocsparse_direction_NS_24const_host_device_scalarIT2_EEPKiS6_PKS3_S8_S4_PS3_21rocsparse_index_base_b.kd
    .uniform_work_group_size: 1
    .uses_dynamic_stack: false
    .vgpr_count:     48
    .vgpr_spill_count: 0
    .wavefront_size: 32
  - .args:
      - .offset:         0
        .size:           4
        .value_kind:     by_value
      - .offset:         4
        .size:           4
        .value_kind:     by_value
      - .offset:         8
        .size:           8
        .value_kind:     by_value
      - .actual_access:  read_only
        .address_space:  global
        .offset:         16
        .size:           8
        .value_kind:     global_buffer
      - .actual_access:  read_only
        .address_space:  global
        .offset:         24
        .size:           8
        .value_kind:     global_buffer
      - .actual_access:  read_only
        .address_space:  global
        .offset:         32
        .size:           8
        .value_kind:     global_buffer
      - .actual_access:  read_only
        .address_space:  global
        .offset:         40
        .size:           8
        .value_kind:     global_buffer
      - .offset:         48
        .size:           8
        .value_kind:     by_value
      - .address_space:  global
        .offset:         56
        .size:           8
        .value_kind:     global_buffer
      - .offset:         64
        .size:           4
        .value_kind:     by_value
      - .offset:         68
        .size:           1
        .value_kind:     by_value
    .group_segment_fixed_size: 0
    .kernarg_segment_align: 8
    .kernarg_segment_size: 72
    .language:       OpenCL C
    .language_version:
      - 2
      - 0
    .max_flat_workgroup_size: 128
    .name:           _ZN9rocsparseL19gebsrmvn_2xn_kernelILj128ELj10ELj4EfEEvi20rocsparse_direction_NS_24const_host_device_scalarIT2_EEPKiS6_PKS3_S8_S4_PS3_21rocsparse_index_base_b
    .private_segment_fixed_size: 0
    .sgpr_count:     20
    .sgpr_spill_count: 0
    .symbol:         _ZN9rocsparseL19gebsrmvn_2xn_kernelILj128ELj10ELj4EfEEvi20rocsparse_direction_NS_24const_host_device_scalarIT2_EEPKiS6_PKS3_S8_S4_PS3_21rocsparse_index_base_b.kd
    .uniform_work_group_size: 1
    .uses_dynamic_stack: false
    .vgpr_count:     48
    .vgpr_spill_count: 0
    .wavefront_size: 32
  - .args:
      - .offset:         0
        .size:           4
        .value_kind:     by_value
      - .offset:         4
        .size:           4
        .value_kind:     by_value
      - .offset:         8
        .size:           8
        .value_kind:     by_value
      - .actual_access:  read_only
        .address_space:  global
        .offset:         16
        .size:           8
        .value_kind:     global_buffer
      - .actual_access:  read_only
        .address_space:  global
        .offset:         24
        .size:           8
        .value_kind:     global_buffer
      - .actual_access:  read_only
        .address_space:  global
        .offset:         32
        .size:           8
        .value_kind:     global_buffer
      - .actual_access:  read_only
        .address_space:  global
        .offset:         40
        .size:           8
        .value_kind:     global_buffer
      - .offset:         48
        .size:           8
        .value_kind:     by_value
      - .address_space:  global
        .offset:         56
        .size:           8
        .value_kind:     global_buffer
      - .offset:         64
        .size:           4
        .value_kind:     by_value
      - .offset:         68
        .size:           1
        .value_kind:     by_value
    .group_segment_fixed_size: 0
    .kernarg_segment_align: 8
    .kernarg_segment_size: 72
    .language:       OpenCL C
    .language_version:
      - 2
      - 0
    .max_flat_workgroup_size: 128
    .name:           _ZN9rocsparseL19gebsrmvn_2xn_kernelILj128ELj10ELj8EfEEvi20rocsparse_direction_NS_24const_host_device_scalarIT2_EEPKiS6_PKS3_S8_S4_PS3_21rocsparse_index_base_b
    .private_segment_fixed_size: 0
    .sgpr_count:     20
    .sgpr_spill_count: 0
    .symbol:         _ZN9rocsparseL19gebsrmvn_2xn_kernelILj128ELj10ELj8EfEEvi20rocsparse_direction_NS_24const_host_device_scalarIT2_EEPKiS6_PKS3_S8_S4_PS3_21rocsparse_index_base_b.kd
    .uniform_work_group_size: 1
    .uses_dynamic_stack: false
    .vgpr_count:     48
    .vgpr_spill_count: 0
    .wavefront_size: 32
  - .args:
      - .offset:         0
        .size:           4
        .value_kind:     by_value
      - .offset:         4
        .size:           4
        .value_kind:     by_value
      - .offset:         8
        .size:           8
        .value_kind:     by_value
      - .actual_access:  read_only
        .address_space:  global
        .offset:         16
        .size:           8
        .value_kind:     global_buffer
      - .actual_access:  read_only
        .address_space:  global
        .offset:         24
        .size:           8
        .value_kind:     global_buffer
      - .actual_access:  read_only
        .address_space:  global
        .offset:         32
        .size:           8
        .value_kind:     global_buffer
      - .actual_access:  read_only
        .address_space:  global
        .offset:         40
        .size:           8
        .value_kind:     global_buffer
      - .offset:         48
        .size:           8
        .value_kind:     by_value
      - .address_space:  global
        .offset:         56
        .size:           8
        .value_kind:     global_buffer
      - .offset:         64
        .size:           4
        .value_kind:     by_value
      - .offset:         68
        .size:           1
        .value_kind:     by_value
    .group_segment_fixed_size: 0
    .kernarg_segment_align: 8
    .kernarg_segment_size: 72
    .language:       OpenCL C
    .language_version:
      - 2
      - 0
    .max_flat_workgroup_size: 128
    .name:           _ZN9rocsparseL19gebsrmvn_2xn_kernelILj128ELj10ELj16EfEEvi20rocsparse_direction_NS_24const_host_device_scalarIT2_EEPKiS6_PKS3_S8_S4_PS3_21rocsparse_index_base_b
    .private_segment_fixed_size: 0
    .sgpr_count:     20
    .sgpr_spill_count: 0
    .symbol:         _ZN9rocsparseL19gebsrmvn_2xn_kernelILj128ELj10ELj16EfEEvi20rocsparse_direction_NS_24const_host_device_scalarIT2_EEPKiS6_PKS3_S8_S4_PS3_21rocsparse_index_base_b.kd
    .uniform_work_group_size: 1
    .uses_dynamic_stack: false
    .vgpr_count:     48
    .vgpr_spill_count: 0
    .wavefront_size: 32
  - .args:
      - .offset:         0
        .size:           4
        .value_kind:     by_value
      - .offset:         4
        .size:           4
        .value_kind:     by_value
      - .offset:         8
        .size:           8
        .value_kind:     by_value
      - .actual_access:  read_only
        .address_space:  global
        .offset:         16
        .size:           8
        .value_kind:     global_buffer
      - .actual_access:  read_only
        .address_space:  global
        .offset:         24
        .size:           8
        .value_kind:     global_buffer
      - .actual_access:  read_only
        .address_space:  global
        .offset:         32
        .size:           8
        .value_kind:     global_buffer
      - .actual_access:  read_only
        .address_space:  global
        .offset:         40
        .size:           8
        .value_kind:     global_buffer
      - .offset:         48
        .size:           8
        .value_kind:     by_value
      - .address_space:  global
        .offset:         56
        .size:           8
        .value_kind:     global_buffer
      - .offset:         64
        .size:           4
        .value_kind:     by_value
      - .offset:         68
        .size:           1
        .value_kind:     by_value
    .group_segment_fixed_size: 0
    .kernarg_segment_align: 8
    .kernarg_segment_size: 72
    .language:       OpenCL C
    .language_version:
      - 2
      - 0
    .max_flat_workgroup_size: 128
    .name:           _ZN9rocsparseL19gebsrmvn_2xn_kernelILj128ELj10ELj32EfEEvi20rocsparse_direction_NS_24const_host_device_scalarIT2_EEPKiS6_PKS3_S8_S4_PS3_21rocsparse_index_base_b
    .private_segment_fixed_size: 0
    .sgpr_count:     20
    .sgpr_spill_count: 0
    .symbol:         _ZN9rocsparseL19gebsrmvn_2xn_kernelILj128ELj10ELj32EfEEvi20rocsparse_direction_NS_24const_host_device_scalarIT2_EEPKiS6_PKS3_S8_S4_PS3_21rocsparse_index_base_b.kd
    .uniform_work_group_size: 1
    .uses_dynamic_stack: false
    .vgpr_count:     48
    .vgpr_spill_count: 0
    .wavefront_size: 32
  - .args:
      - .offset:         0
        .size:           4
        .value_kind:     by_value
      - .offset:         4
        .size:           4
        .value_kind:     by_value
      - .offset:         8
        .size:           8
        .value_kind:     by_value
      - .actual_access:  read_only
        .address_space:  global
        .offset:         16
        .size:           8
        .value_kind:     global_buffer
      - .actual_access:  read_only
        .address_space:  global
        .offset:         24
        .size:           8
        .value_kind:     global_buffer
      - .actual_access:  read_only
        .address_space:  global
        .offset:         32
        .size:           8
        .value_kind:     global_buffer
      - .actual_access:  read_only
        .address_space:  global
        .offset:         40
        .size:           8
        .value_kind:     global_buffer
      - .offset:         48
        .size:           8
        .value_kind:     by_value
      - .address_space:  global
        .offset:         56
        .size:           8
        .value_kind:     global_buffer
      - .offset:         64
        .size:           4
        .value_kind:     by_value
      - .offset:         68
        .size:           1
        .value_kind:     by_value
    .group_segment_fixed_size: 0
    .kernarg_segment_align: 8
    .kernarg_segment_size: 72
    .language:       OpenCL C
    .language_version:
      - 2
      - 0
    .max_flat_workgroup_size: 128
    .name:           _ZN9rocsparseL19gebsrmvn_2xn_kernelILj128ELj10ELj64EfEEvi20rocsparse_direction_NS_24const_host_device_scalarIT2_EEPKiS6_PKS3_S8_S4_PS3_21rocsparse_index_base_b
    .private_segment_fixed_size: 0
    .sgpr_count:     20
    .sgpr_spill_count: 0
    .symbol:         _ZN9rocsparseL19gebsrmvn_2xn_kernelILj128ELj10ELj64EfEEvi20rocsparse_direction_NS_24const_host_device_scalarIT2_EEPKiS6_PKS3_S8_S4_PS3_21rocsparse_index_base_b.kd
    .uniform_work_group_size: 1
    .uses_dynamic_stack: false
    .vgpr_count:     48
    .vgpr_spill_count: 0
    .wavefront_size: 32
  - .args:
      - .offset:         0
        .size:           4
        .value_kind:     by_value
      - .offset:         4
        .size:           4
        .value_kind:     by_value
      - .offset:         8
        .size:           8
        .value_kind:     by_value
      - .actual_access:  read_only
        .address_space:  global
        .offset:         16
        .size:           8
        .value_kind:     global_buffer
      - .actual_access:  read_only
        .address_space:  global
        .offset:         24
        .size:           8
        .value_kind:     global_buffer
      - .actual_access:  read_only
        .address_space:  global
        .offset:         32
        .size:           8
        .value_kind:     global_buffer
      - .actual_access:  read_only
        .address_space:  global
        .offset:         40
        .size:           8
        .value_kind:     global_buffer
      - .offset:         48
        .size:           8
        .value_kind:     by_value
      - .address_space:  global
        .offset:         56
        .size:           8
        .value_kind:     global_buffer
      - .offset:         64
        .size:           4
        .value_kind:     by_value
      - .offset:         68
        .size:           1
        .value_kind:     by_value
    .group_segment_fixed_size: 0
    .kernarg_segment_align: 8
    .kernarg_segment_size: 72
    .language:       OpenCL C
    .language_version:
      - 2
      - 0
    .max_flat_workgroup_size: 128
    .name:           _ZN9rocsparseL19gebsrmvn_2xn_kernelILj128ELj11ELj4EfEEvi20rocsparse_direction_NS_24const_host_device_scalarIT2_EEPKiS6_PKS3_S8_S4_PS3_21rocsparse_index_base_b
    .private_segment_fixed_size: 0
    .sgpr_count:     20
    .sgpr_spill_count: 0
    .symbol:         _ZN9rocsparseL19gebsrmvn_2xn_kernelILj128ELj11ELj4EfEEvi20rocsparse_direction_NS_24const_host_device_scalarIT2_EEPKiS6_PKS3_S8_S4_PS3_21rocsparse_index_base_b.kd
    .uniform_work_group_size: 1
    .uses_dynamic_stack: false
    .vgpr_count:     56
    .vgpr_spill_count: 0
    .wavefront_size: 32
  - .args:
      - .offset:         0
        .size:           4
        .value_kind:     by_value
      - .offset:         4
        .size:           4
        .value_kind:     by_value
      - .offset:         8
        .size:           8
        .value_kind:     by_value
      - .actual_access:  read_only
        .address_space:  global
        .offset:         16
        .size:           8
        .value_kind:     global_buffer
      - .actual_access:  read_only
        .address_space:  global
        .offset:         24
        .size:           8
        .value_kind:     global_buffer
      - .actual_access:  read_only
        .address_space:  global
        .offset:         32
        .size:           8
        .value_kind:     global_buffer
      - .actual_access:  read_only
        .address_space:  global
        .offset:         40
        .size:           8
        .value_kind:     global_buffer
      - .offset:         48
        .size:           8
        .value_kind:     by_value
      - .address_space:  global
        .offset:         56
        .size:           8
        .value_kind:     global_buffer
      - .offset:         64
        .size:           4
        .value_kind:     by_value
      - .offset:         68
        .size:           1
        .value_kind:     by_value
    .group_segment_fixed_size: 0
    .kernarg_segment_align: 8
    .kernarg_segment_size: 72
    .language:       OpenCL C
    .language_version:
      - 2
      - 0
    .max_flat_workgroup_size: 128
    .name:           _ZN9rocsparseL19gebsrmvn_2xn_kernelILj128ELj11ELj8EfEEvi20rocsparse_direction_NS_24const_host_device_scalarIT2_EEPKiS6_PKS3_S8_S4_PS3_21rocsparse_index_base_b
    .private_segment_fixed_size: 0
    .sgpr_count:     20
    .sgpr_spill_count: 0
    .symbol:         _ZN9rocsparseL19gebsrmvn_2xn_kernelILj128ELj11ELj8EfEEvi20rocsparse_direction_NS_24const_host_device_scalarIT2_EEPKiS6_PKS3_S8_S4_PS3_21rocsparse_index_base_b.kd
    .uniform_work_group_size: 1
    .uses_dynamic_stack: false
    .vgpr_count:     56
    .vgpr_spill_count: 0
    .wavefront_size: 32
  - .args:
      - .offset:         0
        .size:           4
        .value_kind:     by_value
      - .offset:         4
        .size:           4
        .value_kind:     by_value
      - .offset:         8
        .size:           8
        .value_kind:     by_value
      - .actual_access:  read_only
        .address_space:  global
        .offset:         16
        .size:           8
        .value_kind:     global_buffer
      - .actual_access:  read_only
        .address_space:  global
        .offset:         24
        .size:           8
        .value_kind:     global_buffer
      - .actual_access:  read_only
        .address_space:  global
        .offset:         32
        .size:           8
        .value_kind:     global_buffer
      - .actual_access:  read_only
        .address_space:  global
        .offset:         40
        .size:           8
        .value_kind:     global_buffer
      - .offset:         48
        .size:           8
        .value_kind:     by_value
      - .address_space:  global
        .offset:         56
        .size:           8
        .value_kind:     global_buffer
      - .offset:         64
        .size:           4
        .value_kind:     by_value
      - .offset:         68
        .size:           1
        .value_kind:     by_value
    .group_segment_fixed_size: 0
    .kernarg_segment_align: 8
    .kernarg_segment_size: 72
    .language:       OpenCL C
    .language_version:
      - 2
      - 0
    .max_flat_workgroup_size: 128
    .name:           _ZN9rocsparseL19gebsrmvn_2xn_kernelILj128ELj11ELj16EfEEvi20rocsparse_direction_NS_24const_host_device_scalarIT2_EEPKiS6_PKS3_S8_S4_PS3_21rocsparse_index_base_b
    .private_segment_fixed_size: 0
    .sgpr_count:     20
    .sgpr_spill_count: 0
    .symbol:         _ZN9rocsparseL19gebsrmvn_2xn_kernelILj128ELj11ELj16EfEEvi20rocsparse_direction_NS_24const_host_device_scalarIT2_EEPKiS6_PKS3_S8_S4_PS3_21rocsparse_index_base_b.kd
    .uniform_work_group_size: 1
    .uses_dynamic_stack: false
    .vgpr_count:     56
    .vgpr_spill_count: 0
    .wavefront_size: 32
  - .args:
      - .offset:         0
        .size:           4
        .value_kind:     by_value
      - .offset:         4
        .size:           4
        .value_kind:     by_value
      - .offset:         8
        .size:           8
        .value_kind:     by_value
      - .actual_access:  read_only
        .address_space:  global
        .offset:         16
        .size:           8
        .value_kind:     global_buffer
      - .actual_access:  read_only
        .address_space:  global
        .offset:         24
        .size:           8
        .value_kind:     global_buffer
      - .actual_access:  read_only
        .address_space:  global
        .offset:         32
        .size:           8
        .value_kind:     global_buffer
      - .actual_access:  read_only
        .address_space:  global
        .offset:         40
        .size:           8
        .value_kind:     global_buffer
      - .offset:         48
        .size:           8
        .value_kind:     by_value
      - .address_space:  global
        .offset:         56
        .size:           8
        .value_kind:     global_buffer
      - .offset:         64
        .size:           4
        .value_kind:     by_value
      - .offset:         68
        .size:           1
        .value_kind:     by_value
    .group_segment_fixed_size: 0
    .kernarg_segment_align: 8
    .kernarg_segment_size: 72
    .language:       OpenCL C
    .language_version:
      - 2
      - 0
    .max_flat_workgroup_size: 128
    .name:           _ZN9rocsparseL19gebsrmvn_2xn_kernelILj128ELj11ELj32EfEEvi20rocsparse_direction_NS_24const_host_device_scalarIT2_EEPKiS6_PKS3_S8_S4_PS3_21rocsparse_index_base_b
    .private_segment_fixed_size: 0
    .sgpr_count:     20
    .sgpr_spill_count: 0
    .symbol:         _ZN9rocsparseL19gebsrmvn_2xn_kernelILj128ELj11ELj32EfEEvi20rocsparse_direction_NS_24const_host_device_scalarIT2_EEPKiS6_PKS3_S8_S4_PS3_21rocsparse_index_base_b.kd
    .uniform_work_group_size: 1
    .uses_dynamic_stack: false
    .vgpr_count:     56
    .vgpr_spill_count: 0
    .wavefront_size: 32
  - .args:
      - .offset:         0
        .size:           4
        .value_kind:     by_value
      - .offset:         4
        .size:           4
        .value_kind:     by_value
      - .offset:         8
        .size:           8
        .value_kind:     by_value
      - .actual_access:  read_only
        .address_space:  global
        .offset:         16
        .size:           8
        .value_kind:     global_buffer
      - .actual_access:  read_only
        .address_space:  global
        .offset:         24
        .size:           8
        .value_kind:     global_buffer
      - .actual_access:  read_only
        .address_space:  global
        .offset:         32
        .size:           8
        .value_kind:     global_buffer
      - .actual_access:  read_only
        .address_space:  global
        .offset:         40
        .size:           8
        .value_kind:     global_buffer
      - .offset:         48
        .size:           8
        .value_kind:     by_value
      - .address_space:  global
        .offset:         56
        .size:           8
        .value_kind:     global_buffer
      - .offset:         64
        .size:           4
        .value_kind:     by_value
      - .offset:         68
        .size:           1
        .value_kind:     by_value
    .group_segment_fixed_size: 0
    .kernarg_segment_align: 8
    .kernarg_segment_size: 72
    .language:       OpenCL C
    .language_version:
      - 2
      - 0
    .max_flat_workgroup_size: 128
    .name:           _ZN9rocsparseL19gebsrmvn_2xn_kernelILj128ELj11ELj64EfEEvi20rocsparse_direction_NS_24const_host_device_scalarIT2_EEPKiS6_PKS3_S8_S4_PS3_21rocsparse_index_base_b
    .private_segment_fixed_size: 0
    .sgpr_count:     20
    .sgpr_spill_count: 0
    .symbol:         _ZN9rocsparseL19gebsrmvn_2xn_kernelILj128ELj11ELj64EfEEvi20rocsparse_direction_NS_24const_host_device_scalarIT2_EEPKiS6_PKS3_S8_S4_PS3_21rocsparse_index_base_b.kd
    .uniform_work_group_size: 1
    .uses_dynamic_stack: false
    .vgpr_count:     56
    .vgpr_spill_count: 0
    .wavefront_size: 32
  - .args:
      - .offset:         0
        .size:           4
        .value_kind:     by_value
      - .offset:         4
        .size:           4
        .value_kind:     by_value
      - .offset:         8
        .size:           8
        .value_kind:     by_value
      - .actual_access:  read_only
        .address_space:  global
        .offset:         16
        .size:           8
        .value_kind:     global_buffer
      - .actual_access:  read_only
        .address_space:  global
        .offset:         24
        .size:           8
        .value_kind:     global_buffer
      - .actual_access:  read_only
        .address_space:  global
        .offset:         32
        .size:           8
        .value_kind:     global_buffer
      - .actual_access:  read_only
        .address_space:  global
        .offset:         40
        .size:           8
        .value_kind:     global_buffer
      - .offset:         48
        .size:           8
        .value_kind:     by_value
      - .address_space:  global
        .offset:         56
        .size:           8
        .value_kind:     global_buffer
      - .offset:         64
        .size:           4
        .value_kind:     by_value
      - .offset:         68
        .size:           1
        .value_kind:     by_value
    .group_segment_fixed_size: 0
    .kernarg_segment_align: 8
    .kernarg_segment_size: 72
    .language:       OpenCL C
    .language_version:
      - 2
      - 0
    .max_flat_workgroup_size: 128
    .name:           _ZN9rocsparseL19gebsrmvn_2xn_kernelILj128ELj12ELj4EfEEvi20rocsparse_direction_NS_24const_host_device_scalarIT2_EEPKiS6_PKS3_S8_S4_PS3_21rocsparse_index_base_b
    .private_segment_fixed_size: 0
    .sgpr_count:     20
    .sgpr_spill_count: 0
    .symbol:         _ZN9rocsparseL19gebsrmvn_2xn_kernelILj128ELj12ELj4EfEEvi20rocsparse_direction_NS_24const_host_device_scalarIT2_EEPKiS6_PKS3_S8_S4_PS3_21rocsparse_index_base_b.kd
    .uniform_work_group_size: 1
    .uses_dynamic_stack: false
    .vgpr_count:     54
    .vgpr_spill_count: 0
    .wavefront_size: 32
  - .args:
      - .offset:         0
        .size:           4
        .value_kind:     by_value
      - .offset:         4
        .size:           4
        .value_kind:     by_value
      - .offset:         8
        .size:           8
        .value_kind:     by_value
      - .actual_access:  read_only
        .address_space:  global
        .offset:         16
        .size:           8
        .value_kind:     global_buffer
      - .actual_access:  read_only
        .address_space:  global
        .offset:         24
        .size:           8
        .value_kind:     global_buffer
      - .actual_access:  read_only
        .address_space:  global
        .offset:         32
        .size:           8
        .value_kind:     global_buffer
      - .actual_access:  read_only
        .address_space:  global
        .offset:         40
        .size:           8
        .value_kind:     global_buffer
      - .offset:         48
        .size:           8
        .value_kind:     by_value
      - .address_space:  global
        .offset:         56
        .size:           8
        .value_kind:     global_buffer
      - .offset:         64
        .size:           4
        .value_kind:     by_value
      - .offset:         68
        .size:           1
        .value_kind:     by_value
    .group_segment_fixed_size: 0
    .kernarg_segment_align: 8
    .kernarg_segment_size: 72
    .language:       OpenCL C
    .language_version:
      - 2
      - 0
    .max_flat_workgroup_size: 128
    .name:           _ZN9rocsparseL19gebsrmvn_2xn_kernelILj128ELj12ELj8EfEEvi20rocsparse_direction_NS_24const_host_device_scalarIT2_EEPKiS6_PKS3_S8_S4_PS3_21rocsparse_index_base_b
    .private_segment_fixed_size: 0
    .sgpr_count:     20
    .sgpr_spill_count: 0
    .symbol:         _ZN9rocsparseL19gebsrmvn_2xn_kernelILj128ELj12ELj8EfEEvi20rocsparse_direction_NS_24const_host_device_scalarIT2_EEPKiS6_PKS3_S8_S4_PS3_21rocsparse_index_base_b.kd
    .uniform_work_group_size: 1
    .uses_dynamic_stack: false
    .vgpr_count:     54
    .vgpr_spill_count: 0
    .wavefront_size: 32
  - .args:
      - .offset:         0
        .size:           4
        .value_kind:     by_value
      - .offset:         4
        .size:           4
        .value_kind:     by_value
      - .offset:         8
        .size:           8
        .value_kind:     by_value
      - .actual_access:  read_only
        .address_space:  global
        .offset:         16
        .size:           8
        .value_kind:     global_buffer
      - .actual_access:  read_only
        .address_space:  global
        .offset:         24
        .size:           8
        .value_kind:     global_buffer
      - .actual_access:  read_only
        .address_space:  global
        .offset:         32
        .size:           8
        .value_kind:     global_buffer
      - .actual_access:  read_only
        .address_space:  global
        .offset:         40
        .size:           8
        .value_kind:     global_buffer
      - .offset:         48
        .size:           8
        .value_kind:     by_value
      - .address_space:  global
        .offset:         56
        .size:           8
        .value_kind:     global_buffer
      - .offset:         64
        .size:           4
        .value_kind:     by_value
      - .offset:         68
        .size:           1
        .value_kind:     by_value
    .group_segment_fixed_size: 0
    .kernarg_segment_align: 8
    .kernarg_segment_size: 72
    .language:       OpenCL C
    .language_version:
      - 2
      - 0
    .max_flat_workgroup_size: 128
    .name:           _ZN9rocsparseL19gebsrmvn_2xn_kernelILj128ELj12ELj16EfEEvi20rocsparse_direction_NS_24const_host_device_scalarIT2_EEPKiS6_PKS3_S8_S4_PS3_21rocsparse_index_base_b
    .private_segment_fixed_size: 0
    .sgpr_count:     20
    .sgpr_spill_count: 0
    .symbol:         _ZN9rocsparseL19gebsrmvn_2xn_kernelILj128ELj12ELj16EfEEvi20rocsparse_direction_NS_24const_host_device_scalarIT2_EEPKiS6_PKS3_S8_S4_PS3_21rocsparse_index_base_b.kd
    .uniform_work_group_size: 1
    .uses_dynamic_stack: false
    .vgpr_count:     54
    .vgpr_spill_count: 0
    .wavefront_size: 32
  - .args:
      - .offset:         0
        .size:           4
        .value_kind:     by_value
      - .offset:         4
        .size:           4
        .value_kind:     by_value
      - .offset:         8
        .size:           8
        .value_kind:     by_value
      - .actual_access:  read_only
        .address_space:  global
        .offset:         16
        .size:           8
        .value_kind:     global_buffer
      - .actual_access:  read_only
        .address_space:  global
        .offset:         24
        .size:           8
        .value_kind:     global_buffer
      - .actual_access:  read_only
        .address_space:  global
        .offset:         32
        .size:           8
        .value_kind:     global_buffer
      - .actual_access:  read_only
        .address_space:  global
        .offset:         40
        .size:           8
        .value_kind:     global_buffer
      - .offset:         48
        .size:           8
        .value_kind:     by_value
      - .address_space:  global
        .offset:         56
        .size:           8
        .value_kind:     global_buffer
      - .offset:         64
        .size:           4
        .value_kind:     by_value
      - .offset:         68
        .size:           1
        .value_kind:     by_value
    .group_segment_fixed_size: 0
    .kernarg_segment_align: 8
    .kernarg_segment_size: 72
    .language:       OpenCL C
    .language_version:
      - 2
      - 0
    .max_flat_workgroup_size: 128
    .name:           _ZN9rocsparseL19gebsrmvn_2xn_kernelILj128ELj12ELj32EfEEvi20rocsparse_direction_NS_24const_host_device_scalarIT2_EEPKiS6_PKS3_S8_S4_PS3_21rocsparse_index_base_b
    .private_segment_fixed_size: 0
    .sgpr_count:     20
    .sgpr_spill_count: 0
    .symbol:         _ZN9rocsparseL19gebsrmvn_2xn_kernelILj128ELj12ELj32EfEEvi20rocsparse_direction_NS_24const_host_device_scalarIT2_EEPKiS6_PKS3_S8_S4_PS3_21rocsparse_index_base_b.kd
    .uniform_work_group_size: 1
    .uses_dynamic_stack: false
    .vgpr_count:     54
    .vgpr_spill_count: 0
    .wavefront_size: 32
  - .args:
      - .offset:         0
        .size:           4
        .value_kind:     by_value
      - .offset:         4
        .size:           4
        .value_kind:     by_value
      - .offset:         8
        .size:           8
        .value_kind:     by_value
      - .actual_access:  read_only
        .address_space:  global
        .offset:         16
        .size:           8
        .value_kind:     global_buffer
      - .actual_access:  read_only
        .address_space:  global
        .offset:         24
        .size:           8
        .value_kind:     global_buffer
      - .actual_access:  read_only
        .address_space:  global
        .offset:         32
        .size:           8
        .value_kind:     global_buffer
      - .actual_access:  read_only
        .address_space:  global
        .offset:         40
        .size:           8
        .value_kind:     global_buffer
      - .offset:         48
        .size:           8
        .value_kind:     by_value
      - .address_space:  global
        .offset:         56
        .size:           8
        .value_kind:     global_buffer
      - .offset:         64
        .size:           4
        .value_kind:     by_value
      - .offset:         68
        .size:           1
        .value_kind:     by_value
    .group_segment_fixed_size: 0
    .kernarg_segment_align: 8
    .kernarg_segment_size: 72
    .language:       OpenCL C
    .language_version:
      - 2
      - 0
    .max_flat_workgroup_size: 128
    .name:           _ZN9rocsparseL19gebsrmvn_2xn_kernelILj128ELj12ELj64EfEEvi20rocsparse_direction_NS_24const_host_device_scalarIT2_EEPKiS6_PKS3_S8_S4_PS3_21rocsparse_index_base_b
    .private_segment_fixed_size: 0
    .sgpr_count:     20
    .sgpr_spill_count: 0
    .symbol:         _ZN9rocsparseL19gebsrmvn_2xn_kernelILj128ELj12ELj64EfEEvi20rocsparse_direction_NS_24const_host_device_scalarIT2_EEPKiS6_PKS3_S8_S4_PS3_21rocsparse_index_base_b.kd
    .uniform_work_group_size: 1
    .uses_dynamic_stack: false
    .vgpr_count:     54
    .vgpr_spill_count: 0
    .wavefront_size: 32
  - .args:
      - .offset:         0
        .size:           4
        .value_kind:     by_value
      - .offset:         4
        .size:           4
        .value_kind:     by_value
      - .offset:         8
        .size:           8
        .value_kind:     by_value
      - .actual_access:  read_only
        .address_space:  global
        .offset:         16
        .size:           8
        .value_kind:     global_buffer
      - .actual_access:  read_only
        .address_space:  global
        .offset:         24
        .size:           8
        .value_kind:     global_buffer
      - .actual_access:  read_only
        .address_space:  global
        .offset:         32
        .size:           8
        .value_kind:     global_buffer
      - .actual_access:  read_only
        .address_space:  global
        .offset:         40
        .size:           8
        .value_kind:     global_buffer
      - .offset:         48
        .size:           8
        .value_kind:     by_value
      - .address_space:  global
        .offset:         56
        .size:           8
        .value_kind:     global_buffer
      - .offset:         64
        .size:           4
        .value_kind:     by_value
      - .offset:         68
        .size:           1
        .value_kind:     by_value
    .group_segment_fixed_size: 0
    .kernarg_segment_align: 8
    .kernarg_segment_size: 72
    .language:       OpenCL C
    .language_version:
      - 2
      - 0
    .max_flat_workgroup_size: 128
    .name:           _ZN9rocsparseL19gebsrmvn_2xn_kernelILj128ELj13ELj4EfEEvi20rocsparse_direction_NS_24const_host_device_scalarIT2_EEPKiS6_PKS3_S8_S4_PS3_21rocsparse_index_base_b
    .private_segment_fixed_size: 0
    .sgpr_count:     20
    .sgpr_spill_count: 0
    .symbol:         _ZN9rocsparseL19gebsrmvn_2xn_kernelILj128ELj13ELj4EfEEvi20rocsparse_direction_NS_24const_host_device_scalarIT2_EEPKiS6_PKS3_S8_S4_PS3_21rocsparse_index_base_b.kd
    .uniform_work_group_size: 1
    .uses_dynamic_stack: false
    .vgpr_count:     64
    .vgpr_spill_count: 0
    .wavefront_size: 32
  - .args:
      - .offset:         0
        .size:           4
        .value_kind:     by_value
      - .offset:         4
        .size:           4
        .value_kind:     by_value
      - .offset:         8
        .size:           8
        .value_kind:     by_value
      - .actual_access:  read_only
        .address_space:  global
        .offset:         16
        .size:           8
        .value_kind:     global_buffer
      - .actual_access:  read_only
        .address_space:  global
        .offset:         24
        .size:           8
        .value_kind:     global_buffer
      - .actual_access:  read_only
        .address_space:  global
        .offset:         32
        .size:           8
        .value_kind:     global_buffer
      - .actual_access:  read_only
        .address_space:  global
        .offset:         40
        .size:           8
        .value_kind:     global_buffer
      - .offset:         48
        .size:           8
        .value_kind:     by_value
      - .address_space:  global
        .offset:         56
        .size:           8
        .value_kind:     global_buffer
      - .offset:         64
        .size:           4
        .value_kind:     by_value
      - .offset:         68
        .size:           1
        .value_kind:     by_value
    .group_segment_fixed_size: 0
    .kernarg_segment_align: 8
    .kernarg_segment_size: 72
    .language:       OpenCL C
    .language_version:
      - 2
      - 0
    .max_flat_workgroup_size: 128
    .name:           _ZN9rocsparseL19gebsrmvn_2xn_kernelILj128ELj13ELj8EfEEvi20rocsparse_direction_NS_24const_host_device_scalarIT2_EEPKiS6_PKS3_S8_S4_PS3_21rocsparse_index_base_b
    .private_segment_fixed_size: 0
    .sgpr_count:     20
    .sgpr_spill_count: 0
    .symbol:         _ZN9rocsparseL19gebsrmvn_2xn_kernelILj128ELj13ELj8EfEEvi20rocsparse_direction_NS_24const_host_device_scalarIT2_EEPKiS6_PKS3_S8_S4_PS3_21rocsparse_index_base_b.kd
    .uniform_work_group_size: 1
    .uses_dynamic_stack: false
    .vgpr_count:     64
    .vgpr_spill_count: 0
    .wavefront_size: 32
  - .args:
      - .offset:         0
        .size:           4
        .value_kind:     by_value
      - .offset:         4
        .size:           4
        .value_kind:     by_value
      - .offset:         8
        .size:           8
        .value_kind:     by_value
      - .actual_access:  read_only
        .address_space:  global
        .offset:         16
        .size:           8
        .value_kind:     global_buffer
      - .actual_access:  read_only
        .address_space:  global
        .offset:         24
        .size:           8
        .value_kind:     global_buffer
      - .actual_access:  read_only
        .address_space:  global
        .offset:         32
        .size:           8
        .value_kind:     global_buffer
      - .actual_access:  read_only
        .address_space:  global
        .offset:         40
        .size:           8
        .value_kind:     global_buffer
      - .offset:         48
        .size:           8
        .value_kind:     by_value
      - .address_space:  global
        .offset:         56
        .size:           8
        .value_kind:     global_buffer
      - .offset:         64
        .size:           4
        .value_kind:     by_value
      - .offset:         68
        .size:           1
        .value_kind:     by_value
    .group_segment_fixed_size: 0
    .kernarg_segment_align: 8
    .kernarg_segment_size: 72
    .language:       OpenCL C
    .language_version:
      - 2
      - 0
    .max_flat_workgroup_size: 128
    .name:           _ZN9rocsparseL19gebsrmvn_2xn_kernelILj128ELj13ELj16EfEEvi20rocsparse_direction_NS_24const_host_device_scalarIT2_EEPKiS6_PKS3_S8_S4_PS3_21rocsparse_index_base_b
    .private_segment_fixed_size: 0
    .sgpr_count:     20
    .sgpr_spill_count: 0
    .symbol:         _ZN9rocsparseL19gebsrmvn_2xn_kernelILj128ELj13ELj16EfEEvi20rocsparse_direction_NS_24const_host_device_scalarIT2_EEPKiS6_PKS3_S8_S4_PS3_21rocsparse_index_base_b.kd
    .uniform_work_group_size: 1
    .uses_dynamic_stack: false
    .vgpr_count:     64
    .vgpr_spill_count: 0
    .wavefront_size: 32
  - .args:
      - .offset:         0
        .size:           4
        .value_kind:     by_value
      - .offset:         4
        .size:           4
        .value_kind:     by_value
      - .offset:         8
        .size:           8
        .value_kind:     by_value
      - .actual_access:  read_only
        .address_space:  global
        .offset:         16
        .size:           8
        .value_kind:     global_buffer
      - .actual_access:  read_only
        .address_space:  global
        .offset:         24
        .size:           8
        .value_kind:     global_buffer
      - .actual_access:  read_only
        .address_space:  global
        .offset:         32
        .size:           8
        .value_kind:     global_buffer
      - .actual_access:  read_only
        .address_space:  global
        .offset:         40
        .size:           8
        .value_kind:     global_buffer
      - .offset:         48
        .size:           8
        .value_kind:     by_value
      - .address_space:  global
        .offset:         56
        .size:           8
        .value_kind:     global_buffer
      - .offset:         64
        .size:           4
        .value_kind:     by_value
      - .offset:         68
        .size:           1
        .value_kind:     by_value
    .group_segment_fixed_size: 0
    .kernarg_segment_align: 8
    .kernarg_segment_size: 72
    .language:       OpenCL C
    .language_version:
      - 2
      - 0
    .max_flat_workgroup_size: 128
    .name:           _ZN9rocsparseL19gebsrmvn_2xn_kernelILj128ELj13ELj32EfEEvi20rocsparse_direction_NS_24const_host_device_scalarIT2_EEPKiS6_PKS3_S8_S4_PS3_21rocsparse_index_base_b
    .private_segment_fixed_size: 0
    .sgpr_count:     20
    .sgpr_spill_count: 0
    .symbol:         _ZN9rocsparseL19gebsrmvn_2xn_kernelILj128ELj13ELj32EfEEvi20rocsparse_direction_NS_24const_host_device_scalarIT2_EEPKiS6_PKS3_S8_S4_PS3_21rocsparse_index_base_b.kd
    .uniform_work_group_size: 1
    .uses_dynamic_stack: false
    .vgpr_count:     64
    .vgpr_spill_count: 0
    .wavefront_size: 32
  - .args:
      - .offset:         0
        .size:           4
        .value_kind:     by_value
      - .offset:         4
        .size:           4
        .value_kind:     by_value
      - .offset:         8
        .size:           8
        .value_kind:     by_value
      - .actual_access:  read_only
        .address_space:  global
        .offset:         16
        .size:           8
        .value_kind:     global_buffer
      - .actual_access:  read_only
        .address_space:  global
        .offset:         24
        .size:           8
        .value_kind:     global_buffer
      - .actual_access:  read_only
        .address_space:  global
        .offset:         32
        .size:           8
        .value_kind:     global_buffer
      - .actual_access:  read_only
        .address_space:  global
        .offset:         40
        .size:           8
        .value_kind:     global_buffer
      - .offset:         48
        .size:           8
        .value_kind:     by_value
      - .address_space:  global
        .offset:         56
        .size:           8
        .value_kind:     global_buffer
      - .offset:         64
        .size:           4
        .value_kind:     by_value
      - .offset:         68
        .size:           1
        .value_kind:     by_value
    .group_segment_fixed_size: 0
    .kernarg_segment_align: 8
    .kernarg_segment_size: 72
    .language:       OpenCL C
    .language_version:
      - 2
      - 0
    .max_flat_workgroup_size: 128
    .name:           _ZN9rocsparseL19gebsrmvn_2xn_kernelILj128ELj13ELj64EfEEvi20rocsparse_direction_NS_24const_host_device_scalarIT2_EEPKiS6_PKS3_S8_S4_PS3_21rocsparse_index_base_b
    .private_segment_fixed_size: 0
    .sgpr_count:     20
    .sgpr_spill_count: 0
    .symbol:         _ZN9rocsparseL19gebsrmvn_2xn_kernelILj128ELj13ELj64EfEEvi20rocsparse_direction_NS_24const_host_device_scalarIT2_EEPKiS6_PKS3_S8_S4_PS3_21rocsparse_index_base_b.kd
    .uniform_work_group_size: 1
    .uses_dynamic_stack: false
    .vgpr_count:     64
    .vgpr_spill_count: 0
    .wavefront_size: 32
  - .args:
      - .offset:         0
        .size:           4
        .value_kind:     by_value
      - .offset:         4
        .size:           4
        .value_kind:     by_value
      - .offset:         8
        .size:           8
        .value_kind:     by_value
      - .actual_access:  read_only
        .address_space:  global
        .offset:         16
        .size:           8
        .value_kind:     global_buffer
      - .actual_access:  read_only
        .address_space:  global
        .offset:         24
        .size:           8
        .value_kind:     global_buffer
      - .actual_access:  read_only
        .address_space:  global
        .offset:         32
        .size:           8
        .value_kind:     global_buffer
      - .actual_access:  read_only
        .address_space:  global
        .offset:         40
        .size:           8
        .value_kind:     global_buffer
      - .offset:         48
        .size:           8
        .value_kind:     by_value
      - .address_space:  global
        .offset:         56
        .size:           8
        .value_kind:     global_buffer
      - .offset:         64
        .size:           4
        .value_kind:     by_value
      - .offset:         68
        .size:           1
        .value_kind:     by_value
    .group_segment_fixed_size: 0
    .kernarg_segment_align: 8
    .kernarg_segment_size: 72
    .language:       OpenCL C
    .language_version:
      - 2
      - 0
    .max_flat_workgroup_size: 128
    .name:           _ZN9rocsparseL19gebsrmvn_2xn_kernelILj128ELj14ELj4EfEEvi20rocsparse_direction_NS_24const_host_device_scalarIT2_EEPKiS6_PKS3_S8_S4_PS3_21rocsparse_index_base_b
    .private_segment_fixed_size: 0
    .sgpr_count:     20
    .sgpr_spill_count: 0
    .symbol:         _ZN9rocsparseL19gebsrmvn_2xn_kernelILj128ELj14ELj4EfEEvi20rocsparse_direction_NS_24const_host_device_scalarIT2_EEPKiS6_PKS3_S8_S4_PS3_21rocsparse_index_base_b.kd
    .uniform_work_group_size: 1
    .uses_dynamic_stack: false
    .vgpr_count:     60
    .vgpr_spill_count: 0
    .wavefront_size: 32
  - .args:
      - .offset:         0
        .size:           4
        .value_kind:     by_value
      - .offset:         4
        .size:           4
        .value_kind:     by_value
      - .offset:         8
        .size:           8
        .value_kind:     by_value
      - .actual_access:  read_only
        .address_space:  global
        .offset:         16
        .size:           8
        .value_kind:     global_buffer
      - .actual_access:  read_only
        .address_space:  global
        .offset:         24
        .size:           8
        .value_kind:     global_buffer
      - .actual_access:  read_only
        .address_space:  global
        .offset:         32
        .size:           8
        .value_kind:     global_buffer
      - .actual_access:  read_only
        .address_space:  global
        .offset:         40
        .size:           8
        .value_kind:     global_buffer
      - .offset:         48
        .size:           8
        .value_kind:     by_value
      - .address_space:  global
        .offset:         56
        .size:           8
        .value_kind:     global_buffer
      - .offset:         64
        .size:           4
        .value_kind:     by_value
      - .offset:         68
        .size:           1
        .value_kind:     by_value
    .group_segment_fixed_size: 0
    .kernarg_segment_align: 8
    .kernarg_segment_size: 72
    .language:       OpenCL C
    .language_version:
      - 2
      - 0
    .max_flat_workgroup_size: 128
    .name:           _ZN9rocsparseL19gebsrmvn_2xn_kernelILj128ELj14ELj8EfEEvi20rocsparse_direction_NS_24const_host_device_scalarIT2_EEPKiS6_PKS3_S8_S4_PS3_21rocsparse_index_base_b
    .private_segment_fixed_size: 0
    .sgpr_count:     20
    .sgpr_spill_count: 0
    .symbol:         _ZN9rocsparseL19gebsrmvn_2xn_kernelILj128ELj14ELj8EfEEvi20rocsparse_direction_NS_24const_host_device_scalarIT2_EEPKiS6_PKS3_S8_S4_PS3_21rocsparse_index_base_b.kd
    .uniform_work_group_size: 1
    .uses_dynamic_stack: false
    .vgpr_count:     60
    .vgpr_spill_count: 0
    .wavefront_size: 32
  - .args:
      - .offset:         0
        .size:           4
        .value_kind:     by_value
      - .offset:         4
        .size:           4
        .value_kind:     by_value
      - .offset:         8
        .size:           8
        .value_kind:     by_value
      - .actual_access:  read_only
        .address_space:  global
        .offset:         16
        .size:           8
        .value_kind:     global_buffer
      - .actual_access:  read_only
        .address_space:  global
        .offset:         24
        .size:           8
        .value_kind:     global_buffer
      - .actual_access:  read_only
        .address_space:  global
        .offset:         32
        .size:           8
        .value_kind:     global_buffer
      - .actual_access:  read_only
        .address_space:  global
        .offset:         40
        .size:           8
        .value_kind:     global_buffer
      - .offset:         48
        .size:           8
        .value_kind:     by_value
      - .address_space:  global
        .offset:         56
        .size:           8
        .value_kind:     global_buffer
      - .offset:         64
        .size:           4
        .value_kind:     by_value
      - .offset:         68
        .size:           1
        .value_kind:     by_value
    .group_segment_fixed_size: 0
    .kernarg_segment_align: 8
    .kernarg_segment_size: 72
    .language:       OpenCL C
    .language_version:
      - 2
      - 0
    .max_flat_workgroup_size: 128
    .name:           _ZN9rocsparseL19gebsrmvn_2xn_kernelILj128ELj14ELj16EfEEvi20rocsparse_direction_NS_24const_host_device_scalarIT2_EEPKiS6_PKS3_S8_S4_PS3_21rocsparse_index_base_b
    .private_segment_fixed_size: 0
    .sgpr_count:     20
    .sgpr_spill_count: 0
    .symbol:         _ZN9rocsparseL19gebsrmvn_2xn_kernelILj128ELj14ELj16EfEEvi20rocsparse_direction_NS_24const_host_device_scalarIT2_EEPKiS6_PKS3_S8_S4_PS3_21rocsparse_index_base_b.kd
    .uniform_work_group_size: 1
    .uses_dynamic_stack: false
    .vgpr_count:     60
    .vgpr_spill_count: 0
    .wavefront_size: 32
  - .args:
      - .offset:         0
        .size:           4
        .value_kind:     by_value
      - .offset:         4
        .size:           4
        .value_kind:     by_value
      - .offset:         8
        .size:           8
        .value_kind:     by_value
      - .actual_access:  read_only
        .address_space:  global
        .offset:         16
        .size:           8
        .value_kind:     global_buffer
      - .actual_access:  read_only
        .address_space:  global
        .offset:         24
        .size:           8
        .value_kind:     global_buffer
      - .actual_access:  read_only
        .address_space:  global
        .offset:         32
        .size:           8
        .value_kind:     global_buffer
      - .actual_access:  read_only
        .address_space:  global
        .offset:         40
        .size:           8
        .value_kind:     global_buffer
      - .offset:         48
        .size:           8
        .value_kind:     by_value
      - .address_space:  global
        .offset:         56
        .size:           8
        .value_kind:     global_buffer
      - .offset:         64
        .size:           4
        .value_kind:     by_value
      - .offset:         68
        .size:           1
        .value_kind:     by_value
    .group_segment_fixed_size: 0
    .kernarg_segment_align: 8
    .kernarg_segment_size: 72
    .language:       OpenCL C
    .language_version:
      - 2
      - 0
    .max_flat_workgroup_size: 128
    .name:           _ZN9rocsparseL19gebsrmvn_2xn_kernelILj128ELj14ELj32EfEEvi20rocsparse_direction_NS_24const_host_device_scalarIT2_EEPKiS6_PKS3_S8_S4_PS3_21rocsparse_index_base_b
    .private_segment_fixed_size: 0
    .sgpr_count:     20
    .sgpr_spill_count: 0
    .symbol:         _ZN9rocsparseL19gebsrmvn_2xn_kernelILj128ELj14ELj32EfEEvi20rocsparse_direction_NS_24const_host_device_scalarIT2_EEPKiS6_PKS3_S8_S4_PS3_21rocsparse_index_base_b.kd
    .uniform_work_group_size: 1
    .uses_dynamic_stack: false
    .vgpr_count:     60
    .vgpr_spill_count: 0
    .wavefront_size: 32
  - .args:
      - .offset:         0
        .size:           4
        .value_kind:     by_value
      - .offset:         4
        .size:           4
        .value_kind:     by_value
      - .offset:         8
        .size:           8
        .value_kind:     by_value
      - .actual_access:  read_only
        .address_space:  global
        .offset:         16
        .size:           8
        .value_kind:     global_buffer
      - .actual_access:  read_only
        .address_space:  global
        .offset:         24
        .size:           8
        .value_kind:     global_buffer
      - .actual_access:  read_only
        .address_space:  global
        .offset:         32
        .size:           8
        .value_kind:     global_buffer
      - .actual_access:  read_only
        .address_space:  global
        .offset:         40
        .size:           8
        .value_kind:     global_buffer
      - .offset:         48
        .size:           8
        .value_kind:     by_value
      - .address_space:  global
        .offset:         56
        .size:           8
        .value_kind:     global_buffer
      - .offset:         64
        .size:           4
        .value_kind:     by_value
      - .offset:         68
        .size:           1
        .value_kind:     by_value
    .group_segment_fixed_size: 0
    .kernarg_segment_align: 8
    .kernarg_segment_size: 72
    .language:       OpenCL C
    .language_version:
      - 2
      - 0
    .max_flat_workgroup_size: 128
    .name:           _ZN9rocsparseL19gebsrmvn_2xn_kernelILj128ELj14ELj64EfEEvi20rocsparse_direction_NS_24const_host_device_scalarIT2_EEPKiS6_PKS3_S8_S4_PS3_21rocsparse_index_base_b
    .private_segment_fixed_size: 0
    .sgpr_count:     20
    .sgpr_spill_count: 0
    .symbol:         _ZN9rocsparseL19gebsrmvn_2xn_kernelILj128ELj14ELj64EfEEvi20rocsparse_direction_NS_24const_host_device_scalarIT2_EEPKiS6_PKS3_S8_S4_PS3_21rocsparse_index_base_b.kd
    .uniform_work_group_size: 1
    .uses_dynamic_stack: false
    .vgpr_count:     60
    .vgpr_spill_count: 0
    .wavefront_size: 32
  - .args:
      - .offset:         0
        .size:           4
        .value_kind:     by_value
      - .offset:         4
        .size:           4
        .value_kind:     by_value
      - .offset:         8
        .size:           8
        .value_kind:     by_value
      - .actual_access:  read_only
        .address_space:  global
        .offset:         16
        .size:           8
        .value_kind:     global_buffer
      - .actual_access:  read_only
        .address_space:  global
        .offset:         24
        .size:           8
        .value_kind:     global_buffer
      - .actual_access:  read_only
        .address_space:  global
        .offset:         32
        .size:           8
        .value_kind:     global_buffer
      - .actual_access:  read_only
        .address_space:  global
        .offset:         40
        .size:           8
        .value_kind:     global_buffer
      - .offset:         48
        .size:           8
        .value_kind:     by_value
      - .address_space:  global
        .offset:         56
        .size:           8
        .value_kind:     global_buffer
      - .offset:         64
        .size:           4
        .value_kind:     by_value
      - .offset:         68
        .size:           1
        .value_kind:     by_value
    .group_segment_fixed_size: 0
    .kernarg_segment_align: 8
    .kernarg_segment_size: 72
    .language:       OpenCL C
    .language_version:
      - 2
      - 0
    .max_flat_workgroup_size: 128
    .name:           _ZN9rocsparseL19gebsrmvn_2xn_kernelILj128ELj15ELj4EfEEvi20rocsparse_direction_NS_24const_host_device_scalarIT2_EEPKiS6_PKS3_S8_S4_PS3_21rocsparse_index_base_b
    .private_segment_fixed_size: 0
    .sgpr_count:     20
    .sgpr_spill_count: 0
    .symbol:         _ZN9rocsparseL19gebsrmvn_2xn_kernelILj128ELj15ELj4EfEEvi20rocsparse_direction_NS_24const_host_device_scalarIT2_EEPKiS6_PKS3_S8_S4_PS3_21rocsparse_index_base_b.kd
    .uniform_work_group_size: 1
    .uses_dynamic_stack: false
    .vgpr_count:     64
    .vgpr_spill_count: 0
    .wavefront_size: 32
  - .args:
      - .offset:         0
        .size:           4
        .value_kind:     by_value
      - .offset:         4
        .size:           4
        .value_kind:     by_value
      - .offset:         8
        .size:           8
        .value_kind:     by_value
      - .actual_access:  read_only
        .address_space:  global
        .offset:         16
        .size:           8
        .value_kind:     global_buffer
      - .actual_access:  read_only
        .address_space:  global
        .offset:         24
        .size:           8
        .value_kind:     global_buffer
      - .actual_access:  read_only
        .address_space:  global
        .offset:         32
        .size:           8
        .value_kind:     global_buffer
      - .actual_access:  read_only
        .address_space:  global
        .offset:         40
        .size:           8
        .value_kind:     global_buffer
      - .offset:         48
        .size:           8
        .value_kind:     by_value
      - .address_space:  global
        .offset:         56
        .size:           8
        .value_kind:     global_buffer
      - .offset:         64
        .size:           4
        .value_kind:     by_value
      - .offset:         68
        .size:           1
        .value_kind:     by_value
    .group_segment_fixed_size: 0
    .kernarg_segment_align: 8
    .kernarg_segment_size: 72
    .language:       OpenCL C
    .language_version:
      - 2
      - 0
    .max_flat_workgroup_size: 128
    .name:           _ZN9rocsparseL19gebsrmvn_2xn_kernelILj128ELj15ELj8EfEEvi20rocsparse_direction_NS_24const_host_device_scalarIT2_EEPKiS6_PKS3_S8_S4_PS3_21rocsparse_index_base_b
    .private_segment_fixed_size: 0
    .sgpr_count:     20
    .sgpr_spill_count: 0
    .symbol:         _ZN9rocsparseL19gebsrmvn_2xn_kernelILj128ELj15ELj8EfEEvi20rocsparse_direction_NS_24const_host_device_scalarIT2_EEPKiS6_PKS3_S8_S4_PS3_21rocsparse_index_base_b.kd
    .uniform_work_group_size: 1
    .uses_dynamic_stack: false
    .vgpr_count:     64
    .vgpr_spill_count: 0
    .wavefront_size: 32
  - .args:
      - .offset:         0
        .size:           4
        .value_kind:     by_value
      - .offset:         4
        .size:           4
        .value_kind:     by_value
      - .offset:         8
        .size:           8
        .value_kind:     by_value
      - .actual_access:  read_only
        .address_space:  global
        .offset:         16
        .size:           8
        .value_kind:     global_buffer
      - .actual_access:  read_only
        .address_space:  global
        .offset:         24
        .size:           8
        .value_kind:     global_buffer
      - .actual_access:  read_only
        .address_space:  global
        .offset:         32
        .size:           8
        .value_kind:     global_buffer
      - .actual_access:  read_only
        .address_space:  global
        .offset:         40
        .size:           8
        .value_kind:     global_buffer
      - .offset:         48
        .size:           8
        .value_kind:     by_value
      - .address_space:  global
        .offset:         56
        .size:           8
        .value_kind:     global_buffer
      - .offset:         64
        .size:           4
        .value_kind:     by_value
      - .offset:         68
        .size:           1
        .value_kind:     by_value
    .group_segment_fixed_size: 0
    .kernarg_segment_align: 8
    .kernarg_segment_size: 72
    .language:       OpenCL C
    .language_version:
      - 2
      - 0
    .max_flat_workgroup_size: 128
    .name:           _ZN9rocsparseL19gebsrmvn_2xn_kernelILj128ELj15ELj16EfEEvi20rocsparse_direction_NS_24const_host_device_scalarIT2_EEPKiS6_PKS3_S8_S4_PS3_21rocsparse_index_base_b
    .private_segment_fixed_size: 0
    .sgpr_count:     20
    .sgpr_spill_count: 0
    .symbol:         _ZN9rocsparseL19gebsrmvn_2xn_kernelILj128ELj15ELj16EfEEvi20rocsparse_direction_NS_24const_host_device_scalarIT2_EEPKiS6_PKS3_S8_S4_PS3_21rocsparse_index_base_b.kd
    .uniform_work_group_size: 1
    .uses_dynamic_stack: false
    .vgpr_count:     64
    .vgpr_spill_count: 0
    .wavefront_size: 32
  - .args:
      - .offset:         0
        .size:           4
        .value_kind:     by_value
      - .offset:         4
        .size:           4
        .value_kind:     by_value
      - .offset:         8
        .size:           8
        .value_kind:     by_value
      - .actual_access:  read_only
        .address_space:  global
        .offset:         16
        .size:           8
        .value_kind:     global_buffer
      - .actual_access:  read_only
        .address_space:  global
        .offset:         24
        .size:           8
        .value_kind:     global_buffer
      - .actual_access:  read_only
        .address_space:  global
        .offset:         32
        .size:           8
        .value_kind:     global_buffer
      - .actual_access:  read_only
        .address_space:  global
        .offset:         40
        .size:           8
        .value_kind:     global_buffer
      - .offset:         48
        .size:           8
        .value_kind:     by_value
      - .address_space:  global
        .offset:         56
        .size:           8
        .value_kind:     global_buffer
      - .offset:         64
        .size:           4
        .value_kind:     by_value
      - .offset:         68
        .size:           1
        .value_kind:     by_value
    .group_segment_fixed_size: 0
    .kernarg_segment_align: 8
    .kernarg_segment_size: 72
    .language:       OpenCL C
    .language_version:
      - 2
      - 0
    .max_flat_workgroup_size: 128
    .name:           _ZN9rocsparseL19gebsrmvn_2xn_kernelILj128ELj15ELj32EfEEvi20rocsparse_direction_NS_24const_host_device_scalarIT2_EEPKiS6_PKS3_S8_S4_PS3_21rocsparse_index_base_b
    .private_segment_fixed_size: 0
    .sgpr_count:     20
    .sgpr_spill_count: 0
    .symbol:         _ZN9rocsparseL19gebsrmvn_2xn_kernelILj128ELj15ELj32EfEEvi20rocsparse_direction_NS_24const_host_device_scalarIT2_EEPKiS6_PKS3_S8_S4_PS3_21rocsparse_index_base_b.kd
    .uniform_work_group_size: 1
    .uses_dynamic_stack: false
    .vgpr_count:     64
    .vgpr_spill_count: 0
    .wavefront_size: 32
  - .args:
      - .offset:         0
        .size:           4
        .value_kind:     by_value
      - .offset:         4
        .size:           4
        .value_kind:     by_value
      - .offset:         8
        .size:           8
        .value_kind:     by_value
      - .actual_access:  read_only
        .address_space:  global
        .offset:         16
        .size:           8
        .value_kind:     global_buffer
      - .actual_access:  read_only
        .address_space:  global
        .offset:         24
        .size:           8
        .value_kind:     global_buffer
      - .actual_access:  read_only
        .address_space:  global
        .offset:         32
        .size:           8
        .value_kind:     global_buffer
      - .actual_access:  read_only
        .address_space:  global
        .offset:         40
        .size:           8
        .value_kind:     global_buffer
      - .offset:         48
        .size:           8
        .value_kind:     by_value
      - .address_space:  global
        .offset:         56
        .size:           8
        .value_kind:     global_buffer
      - .offset:         64
        .size:           4
        .value_kind:     by_value
      - .offset:         68
        .size:           1
        .value_kind:     by_value
    .group_segment_fixed_size: 0
    .kernarg_segment_align: 8
    .kernarg_segment_size: 72
    .language:       OpenCL C
    .language_version:
      - 2
      - 0
    .max_flat_workgroup_size: 128
    .name:           _ZN9rocsparseL19gebsrmvn_2xn_kernelILj128ELj15ELj64EfEEvi20rocsparse_direction_NS_24const_host_device_scalarIT2_EEPKiS6_PKS3_S8_S4_PS3_21rocsparse_index_base_b
    .private_segment_fixed_size: 0
    .sgpr_count:     20
    .sgpr_spill_count: 0
    .symbol:         _ZN9rocsparseL19gebsrmvn_2xn_kernelILj128ELj15ELj64EfEEvi20rocsparse_direction_NS_24const_host_device_scalarIT2_EEPKiS6_PKS3_S8_S4_PS3_21rocsparse_index_base_b.kd
    .uniform_work_group_size: 1
    .uses_dynamic_stack: false
    .vgpr_count:     64
    .vgpr_spill_count: 0
    .wavefront_size: 32
  - .args:
      - .offset:         0
        .size:           4
        .value_kind:     by_value
      - .offset:         4
        .size:           4
        .value_kind:     by_value
      - .offset:         8
        .size:           8
        .value_kind:     by_value
      - .actual_access:  read_only
        .address_space:  global
        .offset:         16
        .size:           8
        .value_kind:     global_buffer
      - .actual_access:  read_only
        .address_space:  global
        .offset:         24
        .size:           8
        .value_kind:     global_buffer
      - .actual_access:  read_only
        .address_space:  global
        .offset:         32
        .size:           8
        .value_kind:     global_buffer
      - .actual_access:  read_only
        .address_space:  global
        .offset:         40
        .size:           8
        .value_kind:     global_buffer
      - .offset:         48
        .size:           8
        .value_kind:     by_value
      - .address_space:  global
        .offset:         56
        .size:           8
        .value_kind:     global_buffer
      - .offset:         64
        .size:           4
        .value_kind:     by_value
      - .offset:         68
        .size:           1
        .value_kind:     by_value
    .group_segment_fixed_size: 0
    .kernarg_segment_align: 8
    .kernarg_segment_size: 72
    .language:       OpenCL C
    .language_version:
      - 2
      - 0
    .max_flat_workgroup_size: 128
    .name:           _ZN9rocsparseL19gebsrmvn_2xn_kernelILj128ELj16ELj4EfEEvi20rocsparse_direction_NS_24const_host_device_scalarIT2_EEPKiS6_PKS3_S8_S4_PS3_21rocsparse_index_base_b
    .private_segment_fixed_size: 0
    .sgpr_count:     20
    .sgpr_spill_count: 0
    .symbol:         _ZN9rocsparseL19gebsrmvn_2xn_kernelILj128ELj16ELj4EfEEvi20rocsparse_direction_NS_24const_host_device_scalarIT2_EEPKiS6_PKS3_S8_S4_PS3_21rocsparse_index_base_b.kd
    .uniform_work_group_size: 1
    .uses_dynamic_stack: false
    .vgpr_count:     62
    .vgpr_spill_count: 0
    .wavefront_size: 32
  - .args:
      - .offset:         0
        .size:           4
        .value_kind:     by_value
      - .offset:         4
        .size:           4
        .value_kind:     by_value
      - .offset:         8
        .size:           8
        .value_kind:     by_value
      - .actual_access:  read_only
        .address_space:  global
        .offset:         16
        .size:           8
        .value_kind:     global_buffer
      - .actual_access:  read_only
        .address_space:  global
        .offset:         24
        .size:           8
        .value_kind:     global_buffer
      - .actual_access:  read_only
        .address_space:  global
        .offset:         32
        .size:           8
        .value_kind:     global_buffer
      - .actual_access:  read_only
        .address_space:  global
        .offset:         40
        .size:           8
        .value_kind:     global_buffer
      - .offset:         48
        .size:           8
        .value_kind:     by_value
      - .address_space:  global
        .offset:         56
        .size:           8
        .value_kind:     global_buffer
      - .offset:         64
        .size:           4
        .value_kind:     by_value
      - .offset:         68
        .size:           1
        .value_kind:     by_value
    .group_segment_fixed_size: 0
    .kernarg_segment_align: 8
    .kernarg_segment_size: 72
    .language:       OpenCL C
    .language_version:
      - 2
      - 0
    .max_flat_workgroup_size: 128
    .name:           _ZN9rocsparseL19gebsrmvn_2xn_kernelILj128ELj16ELj8EfEEvi20rocsparse_direction_NS_24const_host_device_scalarIT2_EEPKiS6_PKS3_S8_S4_PS3_21rocsparse_index_base_b
    .private_segment_fixed_size: 0
    .sgpr_count:     20
    .sgpr_spill_count: 0
    .symbol:         _ZN9rocsparseL19gebsrmvn_2xn_kernelILj128ELj16ELj8EfEEvi20rocsparse_direction_NS_24const_host_device_scalarIT2_EEPKiS6_PKS3_S8_S4_PS3_21rocsparse_index_base_b.kd
    .uniform_work_group_size: 1
    .uses_dynamic_stack: false
    .vgpr_count:     62
    .vgpr_spill_count: 0
    .wavefront_size: 32
  - .args:
      - .offset:         0
        .size:           4
        .value_kind:     by_value
      - .offset:         4
        .size:           4
        .value_kind:     by_value
      - .offset:         8
        .size:           8
        .value_kind:     by_value
      - .actual_access:  read_only
        .address_space:  global
        .offset:         16
        .size:           8
        .value_kind:     global_buffer
      - .actual_access:  read_only
        .address_space:  global
        .offset:         24
        .size:           8
        .value_kind:     global_buffer
      - .actual_access:  read_only
        .address_space:  global
        .offset:         32
        .size:           8
        .value_kind:     global_buffer
      - .actual_access:  read_only
        .address_space:  global
        .offset:         40
        .size:           8
        .value_kind:     global_buffer
      - .offset:         48
        .size:           8
        .value_kind:     by_value
      - .address_space:  global
        .offset:         56
        .size:           8
        .value_kind:     global_buffer
      - .offset:         64
        .size:           4
        .value_kind:     by_value
      - .offset:         68
        .size:           1
        .value_kind:     by_value
    .group_segment_fixed_size: 0
    .kernarg_segment_align: 8
    .kernarg_segment_size: 72
    .language:       OpenCL C
    .language_version:
      - 2
      - 0
    .max_flat_workgroup_size: 128
    .name:           _ZN9rocsparseL19gebsrmvn_2xn_kernelILj128ELj16ELj16EfEEvi20rocsparse_direction_NS_24const_host_device_scalarIT2_EEPKiS6_PKS3_S8_S4_PS3_21rocsparse_index_base_b
    .private_segment_fixed_size: 0
    .sgpr_count:     20
    .sgpr_spill_count: 0
    .symbol:         _ZN9rocsparseL19gebsrmvn_2xn_kernelILj128ELj16ELj16EfEEvi20rocsparse_direction_NS_24const_host_device_scalarIT2_EEPKiS6_PKS3_S8_S4_PS3_21rocsparse_index_base_b.kd
    .uniform_work_group_size: 1
    .uses_dynamic_stack: false
    .vgpr_count:     62
    .vgpr_spill_count: 0
    .wavefront_size: 32
  - .args:
      - .offset:         0
        .size:           4
        .value_kind:     by_value
      - .offset:         4
        .size:           4
        .value_kind:     by_value
      - .offset:         8
        .size:           8
        .value_kind:     by_value
      - .actual_access:  read_only
        .address_space:  global
        .offset:         16
        .size:           8
        .value_kind:     global_buffer
      - .actual_access:  read_only
        .address_space:  global
        .offset:         24
        .size:           8
        .value_kind:     global_buffer
      - .actual_access:  read_only
        .address_space:  global
        .offset:         32
        .size:           8
        .value_kind:     global_buffer
      - .actual_access:  read_only
        .address_space:  global
        .offset:         40
        .size:           8
        .value_kind:     global_buffer
      - .offset:         48
        .size:           8
        .value_kind:     by_value
      - .address_space:  global
        .offset:         56
        .size:           8
        .value_kind:     global_buffer
      - .offset:         64
        .size:           4
        .value_kind:     by_value
      - .offset:         68
        .size:           1
        .value_kind:     by_value
    .group_segment_fixed_size: 0
    .kernarg_segment_align: 8
    .kernarg_segment_size: 72
    .language:       OpenCL C
    .language_version:
      - 2
      - 0
    .max_flat_workgroup_size: 128
    .name:           _ZN9rocsparseL19gebsrmvn_2xn_kernelILj128ELj16ELj32EfEEvi20rocsparse_direction_NS_24const_host_device_scalarIT2_EEPKiS6_PKS3_S8_S4_PS3_21rocsparse_index_base_b
    .private_segment_fixed_size: 0
    .sgpr_count:     20
    .sgpr_spill_count: 0
    .symbol:         _ZN9rocsparseL19gebsrmvn_2xn_kernelILj128ELj16ELj32EfEEvi20rocsparse_direction_NS_24const_host_device_scalarIT2_EEPKiS6_PKS3_S8_S4_PS3_21rocsparse_index_base_b.kd
    .uniform_work_group_size: 1
    .uses_dynamic_stack: false
    .vgpr_count:     62
    .vgpr_spill_count: 0
    .wavefront_size: 32
  - .args:
      - .offset:         0
        .size:           4
        .value_kind:     by_value
      - .offset:         4
        .size:           4
        .value_kind:     by_value
      - .offset:         8
        .size:           8
        .value_kind:     by_value
      - .actual_access:  read_only
        .address_space:  global
        .offset:         16
        .size:           8
        .value_kind:     global_buffer
      - .actual_access:  read_only
        .address_space:  global
        .offset:         24
        .size:           8
        .value_kind:     global_buffer
      - .actual_access:  read_only
        .address_space:  global
        .offset:         32
        .size:           8
        .value_kind:     global_buffer
      - .actual_access:  read_only
        .address_space:  global
        .offset:         40
        .size:           8
        .value_kind:     global_buffer
      - .offset:         48
        .size:           8
        .value_kind:     by_value
      - .address_space:  global
        .offset:         56
        .size:           8
        .value_kind:     global_buffer
      - .offset:         64
        .size:           4
        .value_kind:     by_value
      - .offset:         68
        .size:           1
        .value_kind:     by_value
    .group_segment_fixed_size: 0
    .kernarg_segment_align: 8
    .kernarg_segment_size: 72
    .language:       OpenCL C
    .language_version:
      - 2
      - 0
    .max_flat_workgroup_size: 128
    .name:           _ZN9rocsparseL19gebsrmvn_2xn_kernelILj128ELj16ELj64EfEEvi20rocsparse_direction_NS_24const_host_device_scalarIT2_EEPKiS6_PKS3_S8_S4_PS3_21rocsparse_index_base_b
    .private_segment_fixed_size: 0
    .sgpr_count:     20
    .sgpr_spill_count: 0
    .symbol:         _ZN9rocsparseL19gebsrmvn_2xn_kernelILj128ELj16ELj64EfEEvi20rocsparse_direction_NS_24const_host_device_scalarIT2_EEPKiS6_PKS3_S8_S4_PS3_21rocsparse_index_base_b.kd
    .uniform_work_group_size: 1
    .uses_dynamic_stack: false
    .vgpr_count:     62
    .vgpr_spill_count: 0
    .wavefront_size: 32
  - .args:
      - .offset:         0
        .size:           4
        .value_kind:     by_value
      - .offset:         4
        .size:           4
        .value_kind:     by_value
      - .offset:         8
        .size:           8
        .value_kind:     by_value
      - .actual_access:  read_only
        .address_space:  global
        .offset:         16
        .size:           8
        .value_kind:     global_buffer
      - .actual_access:  read_only
        .address_space:  global
        .offset:         24
        .size:           8
        .value_kind:     global_buffer
      - .actual_access:  read_only
        .address_space:  global
        .offset:         32
        .size:           8
        .value_kind:     global_buffer
      - .offset:         40
        .size:           4
        .value_kind:     by_value
      - .offset:         44
        .size:           4
        .value_kind:     by_value
      - .actual_access:  read_only
        .address_space:  global
        .offset:         48
        .size:           8
        .value_kind:     global_buffer
      - .offset:         56
        .size:           8
        .value_kind:     by_value
      - .address_space:  global
        .offset:         64
        .size:           8
        .value_kind:     global_buffer
      - .offset:         72
        .size:           4
        .value_kind:     by_value
      - .offset:         76
        .size:           1
        .value_kind:     by_value
    .group_segment_fixed_size: 0
    .kernarg_segment_align: 8
    .kernarg_segment_size: 80
    .language:       OpenCL C
    .language_version:
      - 2
      - 0
    .max_flat_workgroup_size: 32
    .name:           _ZN9rocsparseL23gebsrmvn_general_kernelILj32ELj32EfEEvi20rocsparse_direction_NS_24const_host_device_scalarIT1_EEPKiS6_PKS3_iiS8_S4_PS3_21rocsparse_index_base_b
    .private_segment_fixed_size: 0
    .sgpr_count:     30
    .sgpr_spill_count: 0
    .symbol:         _ZN9rocsparseL23gebsrmvn_general_kernelILj32ELj32EfEEvi20rocsparse_direction_NS_24const_host_device_scalarIT1_EEPKiS6_PKS3_iiS8_S4_PS3_21rocsparse_index_base_b.kd
    .uniform_work_group_size: 1
    .uses_dynamic_stack: false
    .vgpr_count:     15
    .vgpr_spill_count: 0
    .wavefront_size: 32
  - .args:
      - .offset:         0
        .size:           4
        .value_kind:     by_value
      - .offset:         4
        .size:           4
        .value_kind:     by_value
      - .offset:         8
        .size:           8
        .value_kind:     by_value
      - .actual_access:  read_only
        .address_space:  global
        .offset:         16
        .size:           8
        .value_kind:     global_buffer
      - .actual_access:  read_only
        .address_space:  global
        .offset:         24
        .size:           8
        .value_kind:     global_buffer
      - .actual_access:  read_only
        .address_space:  global
        .offset:         32
        .size:           8
        .value_kind:     global_buffer
      - .actual_access:  read_only
        .address_space:  global
        .offset:         40
        .size:           8
        .value_kind:     global_buffer
      - .offset:         48
        .size:           8
        .value_kind:     by_value
      - .address_space:  global
        .offset:         56
        .size:           8
        .value_kind:     global_buffer
      - .offset:         64
        .size:           4
        .value_kind:     by_value
      - .offset:         68
        .size:           1
        .value_kind:     by_value
    .group_segment_fixed_size: 0
    .kernarg_segment_align: 8
    .kernarg_segment_size: 72
    .language:       OpenCL C
    .language_version:
      - 2
      - 0
    .max_flat_workgroup_size: 128
    .name:           _ZN9rocsparseL19gebsrmvn_2xn_kernelILj128ELj1ELj4EdEEvi20rocsparse_direction_NS_24const_host_device_scalarIT2_EEPKiS6_PKS3_S8_S4_PS3_21rocsparse_index_base_b
    .private_segment_fixed_size: 0
    .sgpr_count:     16
    .sgpr_spill_count: 0
    .symbol:         _ZN9rocsparseL19gebsrmvn_2xn_kernelILj128ELj1ELj4EdEEvi20rocsparse_direction_NS_24const_host_device_scalarIT2_EEPKiS6_PKS3_S8_S4_PS3_21rocsparse_index_base_b.kd
    .uniform_work_group_size: 1
    .uses_dynamic_stack: false
    .vgpr_count:     24
    .vgpr_spill_count: 0
    .wavefront_size: 32
  - .args:
      - .offset:         0
        .size:           4
        .value_kind:     by_value
      - .offset:         4
        .size:           4
        .value_kind:     by_value
      - .offset:         8
        .size:           8
        .value_kind:     by_value
      - .actual_access:  read_only
        .address_space:  global
        .offset:         16
        .size:           8
        .value_kind:     global_buffer
      - .actual_access:  read_only
        .address_space:  global
        .offset:         24
        .size:           8
        .value_kind:     global_buffer
      - .actual_access:  read_only
        .address_space:  global
        .offset:         32
        .size:           8
        .value_kind:     global_buffer
      - .actual_access:  read_only
        .address_space:  global
        .offset:         40
        .size:           8
        .value_kind:     global_buffer
      - .offset:         48
        .size:           8
        .value_kind:     by_value
      - .address_space:  global
        .offset:         56
        .size:           8
        .value_kind:     global_buffer
      - .offset:         64
        .size:           4
        .value_kind:     by_value
      - .offset:         68
        .size:           1
        .value_kind:     by_value
    .group_segment_fixed_size: 0
    .kernarg_segment_align: 8
    .kernarg_segment_size: 72
    .language:       OpenCL C
    .language_version:
      - 2
      - 0
    .max_flat_workgroup_size: 128
    .name:           _ZN9rocsparseL19gebsrmvn_2xn_kernelILj128ELj1ELj8EdEEvi20rocsparse_direction_NS_24const_host_device_scalarIT2_EEPKiS6_PKS3_S8_S4_PS3_21rocsparse_index_base_b
    .private_segment_fixed_size: 0
    .sgpr_count:     16
    .sgpr_spill_count: 0
    .symbol:         _ZN9rocsparseL19gebsrmvn_2xn_kernelILj128ELj1ELj8EdEEvi20rocsparse_direction_NS_24const_host_device_scalarIT2_EEPKiS6_PKS3_S8_S4_PS3_21rocsparse_index_base_b.kd
    .uniform_work_group_size: 1
    .uses_dynamic_stack: false
    .vgpr_count:     24
    .vgpr_spill_count: 0
    .wavefront_size: 32
  - .args:
      - .offset:         0
        .size:           4
        .value_kind:     by_value
      - .offset:         4
        .size:           4
        .value_kind:     by_value
      - .offset:         8
        .size:           8
        .value_kind:     by_value
      - .actual_access:  read_only
        .address_space:  global
        .offset:         16
        .size:           8
        .value_kind:     global_buffer
      - .actual_access:  read_only
        .address_space:  global
        .offset:         24
        .size:           8
        .value_kind:     global_buffer
      - .actual_access:  read_only
        .address_space:  global
        .offset:         32
        .size:           8
        .value_kind:     global_buffer
      - .actual_access:  read_only
        .address_space:  global
        .offset:         40
        .size:           8
        .value_kind:     global_buffer
      - .offset:         48
        .size:           8
        .value_kind:     by_value
      - .address_space:  global
        .offset:         56
        .size:           8
        .value_kind:     global_buffer
      - .offset:         64
        .size:           4
        .value_kind:     by_value
      - .offset:         68
        .size:           1
        .value_kind:     by_value
    .group_segment_fixed_size: 0
    .kernarg_segment_align: 8
    .kernarg_segment_size: 72
    .language:       OpenCL C
    .language_version:
      - 2
      - 0
    .max_flat_workgroup_size: 128
    .name:           _ZN9rocsparseL19gebsrmvn_2xn_kernelILj128ELj1ELj16EdEEvi20rocsparse_direction_NS_24const_host_device_scalarIT2_EEPKiS6_PKS3_S8_S4_PS3_21rocsparse_index_base_b
    .private_segment_fixed_size: 0
    .sgpr_count:     16
    .sgpr_spill_count: 0
    .symbol:         _ZN9rocsparseL19gebsrmvn_2xn_kernelILj128ELj1ELj16EdEEvi20rocsparse_direction_NS_24const_host_device_scalarIT2_EEPKiS6_PKS3_S8_S4_PS3_21rocsparse_index_base_b.kd
    .uniform_work_group_size: 1
    .uses_dynamic_stack: false
    .vgpr_count:     24
    .vgpr_spill_count: 0
    .wavefront_size: 32
  - .args:
      - .offset:         0
        .size:           4
        .value_kind:     by_value
      - .offset:         4
        .size:           4
        .value_kind:     by_value
      - .offset:         8
        .size:           8
        .value_kind:     by_value
      - .actual_access:  read_only
        .address_space:  global
        .offset:         16
        .size:           8
        .value_kind:     global_buffer
      - .actual_access:  read_only
        .address_space:  global
        .offset:         24
        .size:           8
        .value_kind:     global_buffer
      - .actual_access:  read_only
        .address_space:  global
        .offset:         32
        .size:           8
        .value_kind:     global_buffer
      - .actual_access:  read_only
        .address_space:  global
        .offset:         40
        .size:           8
        .value_kind:     global_buffer
      - .offset:         48
        .size:           8
        .value_kind:     by_value
      - .address_space:  global
        .offset:         56
        .size:           8
        .value_kind:     global_buffer
      - .offset:         64
        .size:           4
        .value_kind:     by_value
      - .offset:         68
        .size:           1
        .value_kind:     by_value
    .group_segment_fixed_size: 0
    .kernarg_segment_align: 8
    .kernarg_segment_size: 72
    .language:       OpenCL C
    .language_version:
      - 2
      - 0
    .max_flat_workgroup_size: 128
    .name:           _ZN9rocsparseL19gebsrmvn_2xn_kernelILj128ELj1ELj32EdEEvi20rocsparse_direction_NS_24const_host_device_scalarIT2_EEPKiS6_PKS3_S8_S4_PS3_21rocsparse_index_base_b
    .private_segment_fixed_size: 0
    .sgpr_count:     16
    .sgpr_spill_count: 0
    .symbol:         _ZN9rocsparseL19gebsrmvn_2xn_kernelILj128ELj1ELj32EdEEvi20rocsparse_direction_NS_24const_host_device_scalarIT2_EEPKiS6_PKS3_S8_S4_PS3_21rocsparse_index_base_b.kd
    .uniform_work_group_size: 1
    .uses_dynamic_stack: false
    .vgpr_count:     24
    .vgpr_spill_count: 0
    .wavefront_size: 32
  - .args:
      - .offset:         0
        .size:           4
        .value_kind:     by_value
      - .offset:         4
        .size:           4
        .value_kind:     by_value
      - .offset:         8
        .size:           8
        .value_kind:     by_value
      - .actual_access:  read_only
        .address_space:  global
        .offset:         16
        .size:           8
        .value_kind:     global_buffer
      - .actual_access:  read_only
        .address_space:  global
        .offset:         24
        .size:           8
        .value_kind:     global_buffer
      - .actual_access:  read_only
        .address_space:  global
        .offset:         32
        .size:           8
        .value_kind:     global_buffer
      - .actual_access:  read_only
        .address_space:  global
        .offset:         40
        .size:           8
        .value_kind:     global_buffer
      - .offset:         48
        .size:           8
        .value_kind:     by_value
      - .address_space:  global
        .offset:         56
        .size:           8
        .value_kind:     global_buffer
      - .offset:         64
        .size:           4
        .value_kind:     by_value
      - .offset:         68
        .size:           1
        .value_kind:     by_value
    .group_segment_fixed_size: 0
    .kernarg_segment_align: 8
    .kernarg_segment_size: 72
    .language:       OpenCL C
    .language_version:
      - 2
      - 0
    .max_flat_workgroup_size: 128
    .name:           _ZN9rocsparseL19gebsrmvn_2xn_kernelILj128ELj1ELj64EdEEvi20rocsparse_direction_NS_24const_host_device_scalarIT2_EEPKiS6_PKS3_S8_S4_PS3_21rocsparse_index_base_b
    .private_segment_fixed_size: 0
    .sgpr_count:     16
    .sgpr_spill_count: 0
    .symbol:         _ZN9rocsparseL19gebsrmvn_2xn_kernelILj128ELj1ELj64EdEEvi20rocsparse_direction_NS_24const_host_device_scalarIT2_EEPKiS6_PKS3_S8_S4_PS3_21rocsparse_index_base_b.kd
    .uniform_work_group_size: 1
    .uses_dynamic_stack: false
    .vgpr_count:     24
    .vgpr_spill_count: 0
    .wavefront_size: 32
  - .args:
      - .offset:         0
        .size:           4
        .value_kind:     by_value
      - .offset:         4
        .size:           4
        .value_kind:     by_value
      - .offset:         8
        .size:           8
        .value_kind:     by_value
      - .actual_access:  read_only
        .address_space:  global
        .offset:         16
        .size:           8
        .value_kind:     global_buffer
      - .actual_access:  read_only
        .address_space:  global
        .offset:         24
        .size:           8
        .value_kind:     global_buffer
      - .actual_access:  read_only
        .address_space:  global
        .offset:         32
        .size:           8
        .value_kind:     global_buffer
      - .actual_access:  read_only
        .address_space:  global
        .offset:         40
        .size:           8
        .value_kind:     global_buffer
      - .offset:         48
        .size:           8
        .value_kind:     by_value
      - .address_space:  global
        .offset:         56
        .size:           8
        .value_kind:     global_buffer
      - .offset:         64
        .size:           4
        .value_kind:     by_value
      - .offset:         68
        .size:           1
        .value_kind:     by_value
    .group_segment_fixed_size: 0
    .kernarg_segment_align: 8
    .kernarg_segment_size: 72
    .language:       OpenCL C
    .language_version:
      - 2
      - 0
    .max_flat_workgroup_size: 128
    .name:           _ZN9rocsparseL19gebsrmvn_2xn_kernelILj128ELj3ELj4EdEEvi20rocsparse_direction_NS_24const_host_device_scalarIT2_EEPKiS6_PKS3_S8_S4_PS3_21rocsparse_index_base_b
    .private_segment_fixed_size: 0
    .sgpr_count:     16
    .sgpr_spill_count: 0
    .symbol:         _ZN9rocsparseL19gebsrmvn_2xn_kernelILj128ELj3ELj4EdEEvi20rocsparse_direction_NS_24const_host_device_scalarIT2_EEPKiS6_PKS3_S8_S4_PS3_21rocsparse_index_base_b.kd
    .uniform_work_group_size: 1
    .uses_dynamic_stack: false
    .vgpr_count:     36
    .vgpr_spill_count: 0
    .wavefront_size: 32
  - .args:
      - .offset:         0
        .size:           4
        .value_kind:     by_value
      - .offset:         4
        .size:           4
        .value_kind:     by_value
      - .offset:         8
        .size:           8
        .value_kind:     by_value
      - .actual_access:  read_only
        .address_space:  global
        .offset:         16
        .size:           8
        .value_kind:     global_buffer
      - .actual_access:  read_only
        .address_space:  global
        .offset:         24
        .size:           8
        .value_kind:     global_buffer
      - .actual_access:  read_only
        .address_space:  global
        .offset:         32
        .size:           8
        .value_kind:     global_buffer
      - .actual_access:  read_only
        .address_space:  global
        .offset:         40
        .size:           8
        .value_kind:     global_buffer
      - .offset:         48
        .size:           8
        .value_kind:     by_value
      - .address_space:  global
        .offset:         56
        .size:           8
        .value_kind:     global_buffer
      - .offset:         64
        .size:           4
        .value_kind:     by_value
      - .offset:         68
        .size:           1
        .value_kind:     by_value
    .group_segment_fixed_size: 0
    .kernarg_segment_align: 8
    .kernarg_segment_size: 72
    .language:       OpenCL C
    .language_version:
      - 2
      - 0
    .max_flat_workgroup_size: 128
    .name:           _ZN9rocsparseL19gebsrmvn_2xn_kernelILj128ELj3ELj8EdEEvi20rocsparse_direction_NS_24const_host_device_scalarIT2_EEPKiS6_PKS3_S8_S4_PS3_21rocsparse_index_base_b
    .private_segment_fixed_size: 0
    .sgpr_count:     16
    .sgpr_spill_count: 0
    .symbol:         _ZN9rocsparseL19gebsrmvn_2xn_kernelILj128ELj3ELj8EdEEvi20rocsparse_direction_NS_24const_host_device_scalarIT2_EEPKiS6_PKS3_S8_S4_PS3_21rocsparse_index_base_b.kd
    .uniform_work_group_size: 1
    .uses_dynamic_stack: false
    .vgpr_count:     36
    .vgpr_spill_count: 0
    .wavefront_size: 32
  - .args:
      - .offset:         0
        .size:           4
        .value_kind:     by_value
      - .offset:         4
        .size:           4
        .value_kind:     by_value
      - .offset:         8
        .size:           8
        .value_kind:     by_value
      - .actual_access:  read_only
        .address_space:  global
        .offset:         16
        .size:           8
        .value_kind:     global_buffer
      - .actual_access:  read_only
        .address_space:  global
        .offset:         24
        .size:           8
        .value_kind:     global_buffer
      - .actual_access:  read_only
        .address_space:  global
        .offset:         32
        .size:           8
        .value_kind:     global_buffer
      - .actual_access:  read_only
        .address_space:  global
        .offset:         40
        .size:           8
        .value_kind:     global_buffer
      - .offset:         48
        .size:           8
        .value_kind:     by_value
      - .address_space:  global
        .offset:         56
        .size:           8
        .value_kind:     global_buffer
      - .offset:         64
        .size:           4
        .value_kind:     by_value
      - .offset:         68
        .size:           1
        .value_kind:     by_value
    .group_segment_fixed_size: 0
    .kernarg_segment_align: 8
    .kernarg_segment_size: 72
    .language:       OpenCL C
    .language_version:
      - 2
      - 0
    .max_flat_workgroup_size: 128
    .name:           _ZN9rocsparseL19gebsrmvn_2xn_kernelILj128ELj3ELj16EdEEvi20rocsparse_direction_NS_24const_host_device_scalarIT2_EEPKiS6_PKS3_S8_S4_PS3_21rocsparse_index_base_b
    .private_segment_fixed_size: 0
    .sgpr_count:     16
    .sgpr_spill_count: 0
    .symbol:         _ZN9rocsparseL19gebsrmvn_2xn_kernelILj128ELj3ELj16EdEEvi20rocsparse_direction_NS_24const_host_device_scalarIT2_EEPKiS6_PKS3_S8_S4_PS3_21rocsparse_index_base_b.kd
    .uniform_work_group_size: 1
    .uses_dynamic_stack: false
    .vgpr_count:     36
    .vgpr_spill_count: 0
    .wavefront_size: 32
  - .args:
      - .offset:         0
        .size:           4
        .value_kind:     by_value
      - .offset:         4
        .size:           4
        .value_kind:     by_value
      - .offset:         8
        .size:           8
        .value_kind:     by_value
      - .actual_access:  read_only
        .address_space:  global
        .offset:         16
        .size:           8
        .value_kind:     global_buffer
      - .actual_access:  read_only
        .address_space:  global
        .offset:         24
        .size:           8
        .value_kind:     global_buffer
      - .actual_access:  read_only
        .address_space:  global
        .offset:         32
        .size:           8
        .value_kind:     global_buffer
      - .actual_access:  read_only
        .address_space:  global
        .offset:         40
        .size:           8
        .value_kind:     global_buffer
      - .offset:         48
        .size:           8
        .value_kind:     by_value
      - .address_space:  global
        .offset:         56
        .size:           8
        .value_kind:     global_buffer
      - .offset:         64
        .size:           4
        .value_kind:     by_value
      - .offset:         68
        .size:           1
        .value_kind:     by_value
    .group_segment_fixed_size: 0
    .kernarg_segment_align: 8
    .kernarg_segment_size: 72
    .language:       OpenCL C
    .language_version:
      - 2
      - 0
    .max_flat_workgroup_size: 128
    .name:           _ZN9rocsparseL19gebsrmvn_2xn_kernelILj128ELj3ELj32EdEEvi20rocsparse_direction_NS_24const_host_device_scalarIT2_EEPKiS6_PKS3_S8_S4_PS3_21rocsparse_index_base_b
    .private_segment_fixed_size: 0
    .sgpr_count:     16
    .sgpr_spill_count: 0
    .symbol:         _ZN9rocsparseL19gebsrmvn_2xn_kernelILj128ELj3ELj32EdEEvi20rocsparse_direction_NS_24const_host_device_scalarIT2_EEPKiS6_PKS3_S8_S4_PS3_21rocsparse_index_base_b.kd
    .uniform_work_group_size: 1
    .uses_dynamic_stack: false
    .vgpr_count:     36
    .vgpr_spill_count: 0
    .wavefront_size: 32
  - .args:
      - .offset:         0
        .size:           4
        .value_kind:     by_value
      - .offset:         4
        .size:           4
        .value_kind:     by_value
      - .offset:         8
        .size:           8
        .value_kind:     by_value
      - .actual_access:  read_only
        .address_space:  global
        .offset:         16
        .size:           8
        .value_kind:     global_buffer
      - .actual_access:  read_only
        .address_space:  global
        .offset:         24
        .size:           8
        .value_kind:     global_buffer
      - .actual_access:  read_only
        .address_space:  global
        .offset:         32
        .size:           8
        .value_kind:     global_buffer
      - .actual_access:  read_only
        .address_space:  global
        .offset:         40
        .size:           8
        .value_kind:     global_buffer
      - .offset:         48
        .size:           8
        .value_kind:     by_value
      - .address_space:  global
        .offset:         56
        .size:           8
        .value_kind:     global_buffer
      - .offset:         64
        .size:           4
        .value_kind:     by_value
      - .offset:         68
        .size:           1
        .value_kind:     by_value
    .group_segment_fixed_size: 0
    .kernarg_segment_align: 8
    .kernarg_segment_size: 72
    .language:       OpenCL C
    .language_version:
      - 2
      - 0
    .max_flat_workgroup_size: 128
    .name:           _ZN9rocsparseL19gebsrmvn_2xn_kernelILj128ELj3ELj64EdEEvi20rocsparse_direction_NS_24const_host_device_scalarIT2_EEPKiS6_PKS3_S8_S4_PS3_21rocsparse_index_base_b
    .private_segment_fixed_size: 0
    .sgpr_count:     16
    .sgpr_spill_count: 0
    .symbol:         _ZN9rocsparseL19gebsrmvn_2xn_kernelILj128ELj3ELj64EdEEvi20rocsparse_direction_NS_24const_host_device_scalarIT2_EEPKiS6_PKS3_S8_S4_PS3_21rocsparse_index_base_b.kd
    .uniform_work_group_size: 1
    .uses_dynamic_stack: false
    .vgpr_count:     36
    .vgpr_spill_count: 0
    .wavefront_size: 32
  - .args:
      - .offset:         0
        .size:           4
        .value_kind:     by_value
      - .offset:         4
        .size:           4
        .value_kind:     by_value
      - .offset:         8
        .size:           8
        .value_kind:     by_value
      - .actual_access:  read_only
        .address_space:  global
        .offset:         16
        .size:           8
        .value_kind:     global_buffer
      - .actual_access:  read_only
        .address_space:  global
        .offset:         24
        .size:           8
        .value_kind:     global_buffer
      - .actual_access:  read_only
        .address_space:  global
        .offset:         32
        .size:           8
        .value_kind:     global_buffer
      - .actual_access:  read_only
        .address_space:  global
        .offset:         40
        .size:           8
        .value_kind:     global_buffer
      - .offset:         48
        .size:           8
        .value_kind:     by_value
      - .address_space:  global
        .offset:         56
        .size:           8
        .value_kind:     global_buffer
      - .offset:         64
        .size:           4
        .value_kind:     by_value
      - .offset:         68
        .size:           1
        .value_kind:     by_value
    .group_segment_fixed_size: 0
    .kernarg_segment_align: 8
    .kernarg_segment_size: 72
    .language:       OpenCL C
    .language_version:
      - 2
      - 0
    .max_flat_workgroup_size: 128
    .name:           _ZN9rocsparseL19gebsrmvn_2xn_kernelILj128ELj4ELj4EdEEvi20rocsparse_direction_NS_24const_host_device_scalarIT2_EEPKiS6_PKS3_S8_S4_PS3_21rocsparse_index_base_b
    .private_segment_fixed_size: 0
    .sgpr_count:     16
    .sgpr_spill_count: 0
    .symbol:         _ZN9rocsparseL19gebsrmvn_2xn_kernelILj128ELj4ELj4EdEEvi20rocsparse_direction_NS_24const_host_device_scalarIT2_EEPKiS6_PKS3_S8_S4_PS3_21rocsparse_index_base_b.kd
    .uniform_work_group_size: 1
    .uses_dynamic_stack: false
    .vgpr_count:     44
    .vgpr_spill_count: 0
    .wavefront_size: 32
  - .args:
      - .offset:         0
        .size:           4
        .value_kind:     by_value
      - .offset:         4
        .size:           4
        .value_kind:     by_value
      - .offset:         8
        .size:           8
        .value_kind:     by_value
      - .actual_access:  read_only
        .address_space:  global
        .offset:         16
        .size:           8
        .value_kind:     global_buffer
      - .actual_access:  read_only
        .address_space:  global
        .offset:         24
        .size:           8
        .value_kind:     global_buffer
      - .actual_access:  read_only
        .address_space:  global
        .offset:         32
        .size:           8
        .value_kind:     global_buffer
      - .actual_access:  read_only
        .address_space:  global
        .offset:         40
        .size:           8
        .value_kind:     global_buffer
      - .offset:         48
        .size:           8
        .value_kind:     by_value
      - .address_space:  global
        .offset:         56
        .size:           8
        .value_kind:     global_buffer
      - .offset:         64
        .size:           4
        .value_kind:     by_value
      - .offset:         68
        .size:           1
        .value_kind:     by_value
    .group_segment_fixed_size: 0
    .kernarg_segment_align: 8
    .kernarg_segment_size: 72
    .language:       OpenCL C
    .language_version:
      - 2
      - 0
    .max_flat_workgroup_size: 128
    .name:           _ZN9rocsparseL19gebsrmvn_2xn_kernelILj128ELj4ELj8EdEEvi20rocsparse_direction_NS_24const_host_device_scalarIT2_EEPKiS6_PKS3_S8_S4_PS3_21rocsparse_index_base_b
    .private_segment_fixed_size: 0
    .sgpr_count:     16
    .sgpr_spill_count: 0
    .symbol:         _ZN9rocsparseL19gebsrmvn_2xn_kernelILj128ELj4ELj8EdEEvi20rocsparse_direction_NS_24const_host_device_scalarIT2_EEPKiS6_PKS3_S8_S4_PS3_21rocsparse_index_base_b.kd
    .uniform_work_group_size: 1
    .uses_dynamic_stack: false
    .vgpr_count:     44
    .vgpr_spill_count: 0
    .wavefront_size: 32
  - .args:
      - .offset:         0
        .size:           4
        .value_kind:     by_value
      - .offset:         4
        .size:           4
        .value_kind:     by_value
      - .offset:         8
        .size:           8
        .value_kind:     by_value
      - .actual_access:  read_only
        .address_space:  global
        .offset:         16
        .size:           8
        .value_kind:     global_buffer
      - .actual_access:  read_only
        .address_space:  global
        .offset:         24
        .size:           8
        .value_kind:     global_buffer
      - .actual_access:  read_only
        .address_space:  global
        .offset:         32
        .size:           8
        .value_kind:     global_buffer
      - .actual_access:  read_only
        .address_space:  global
        .offset:         40
        .size:           8
        .value_kind:     global_buffer
      - .offset:         48
        .size:           8
        .value_kind:     by_value
      - .address_space:  global
        .offset:         56
        .size:           8
        .value_kind:     global_buffer
      - .offset:         64
        .size:           4
        .value_kind:     by_value
      - .offset:         68
        .size:           1
        .value_kind:     by_value
    .group_segment_fixed_size: 0
    .kernarg_segment_align: 8
    .kernarg_segment_size: 72
    .language:       OpenCL C
    .language_version:
      - 2
      - 0
    .max_flat_workgroup_size: 128
    .name:           _ZN9rocsparseL19gebsrmvn_2xn_kernelILj128ELj4ELj16EdEEvi20rocsparse_direction_NS_24const_host_device_scalarIT2_EEPKiS6_PKS3_S8_S4_PS3_21rocsparse_index_base_b
    .private_segment_fixed_size: 0
    .sgpr_count:     16
    .sgpr_spill_count: 0
    .symbol:         _ZN9rocsparseL19gebsrmvn_2xn_kernelILj128ELj4ELj16EdEEvi20rocsparse_direction_NS_24const_host_device_scalarIT2_EEPKiS6_PKS3_S8_S4_PS3_21rocsparse_index_base_b.kd
    .uniform_work_group_size: 1
    .uses_dynamic_stack: false
    .vgpr_count:     44
    .vgpr_spill_count: 0
    .wavefront_size: 32
  - .args:
      - .offset:         0
        .size:           4
        .value_kind:     by_value
      - .offset:         4
        .size:           4
        .value_kind:     by_value
      - .offset:         8
        .size:           8
        .value_kind:     by_value
      - .actual_access:  read_only
        .address_space:  global
        .offset:         16
        .size:           8
        .value_kind:     global_buffer
      - .actual_access:  read_only
        .address_space:  global
        .offset:         24
        .size:           8
        .value_kind:     global_buffer
      - .actual_access:  read_only
        .address_space:  global
        .offset:         32
        .size:           8
        .value_kind:     global_buffer
      - .actual_access:  read_only
        .address_space:  global
        .offset:         40
        .size:           8
        .value_kind:     global_buffer
      - .offset:         48
        .size:           8
        .value_kind:     by_value
      - .address_space:  global
        .offset:         56
        .size:           8
        .value_kind:     global_buffer
      - .offset:         64
        .size:           4
        .value_kind:     by_value
      - .offset:         68
        .size:           1
        .value_kind:     by_value
    .group_segment_fixed_size: 0
    .kernarg_segment_align: 8
    .kernarg_segment_size: 72
    .language:       OpenCL C
    .language_version:
      - 2
      - 0
    .max_flat_workgroup_size: 128
    .name:           _ZN9rocsparseL19gebsrmvn_2xn_kernelILj128ELj4ELj32EdEEvi20rocsparse_direction_NS_24const_host_device_scalarIT2_EEPKiS6_PKS3_S8_S4_PS3_21rocsparse_index_base_b
    .private_segment_fixed_size: 0
    .sgpr_count:     16
    .sgpr_spill_count: 0
    .symbol:         _ZN9rocsparseL19gebsrmvn_2xn_kernelILj128ELj4ELj32EdEEvi20rocsparse_direction_NS_24const_host_device_scalarIT2_EEPKiS6_PKS3_S8_S4_PS3_21rocsparse_index_base_b.kd
    .uniform_work_group_size: 1
    .uses_dynamic_stack: false
    .vgpr_count:     44
    .vgpr_spill_count: 0
    .wavefront_size: 32
  - .args:
      - .offset:         0
        .size:           4
        .value_kind:     by_value
      - .offset:         4
        .size:           4
        .value_kind:     by_value
      - .offset:         8
        .size:           8
        .value_kind:     by_value
      - .actual_access:  read_only
        .address_space:  global
        .offset:         16
        .size:           8
        .value_kind:     global_buffer
      - .actual_access:  read_only
        .address_space:  global
        .offset:         24
        .size:           8
        .value_kind:     global_buffer
      - .actual_access:  read_only
        .address_space:  global
        .offset:         32
        .size:           8
        .value_kind:     global_buffer
      - .actual_access:  read_only
        .address_space:  global
        .offset:         40
        .size:           8
        .value_kind:     global_buffer
      - .offset:         48
        .size:           8
        .value_kind:     by_value
      - .address_space:  global
        .offset:         56
        .size:           8
        .value_kind:     global_buffer
      - .offset:         64
        .size:           4
        .value_kind:     by_value
      - .offset:         68
        .size:           1
        .value_kind:     by_value
    .group_segment_fixed_size: 0
    .kernarg_segment_align: 8
    .kernarg_segment_size: 72
    .language:       OpenCL C
    .language_version:
      - 2
      - 0
    .max_flat_workgroup_size: 128
    .name:           _ZN9rocsparseL19gebsrmvn_2xn_kernelILj128ELj4ELj64EdEEvi20rocsparse_direction_NS_24const_host_device_scalarIT2_EEPKiS6_PKS3_S8_S4_PS3_21rocsparse_index_base_b
    .private_segment_fixed_size: 0
    .sgpr_count:     16
    .sgpr_spill_count: 0
    .symbol:         _ZN9rocsparseL19gebsrmvn_2xn_kernelILj128ELj4ELj64EdEEvi20rocsparse_direction_NS_24const_host_device_scalarIT2_EEPKiS6_PKS3_S8_S4_PS3_21rocsparse_index_base_b.kd
    .uniform_work_group_size: 1
    .uses_dynamic_stack: false
    .vgpr_count:     44
    .vgpr_spill_count: 0
    .wavefront_size: 32
  - .args:
      - .offset:         0
        .size:           4
        .value_kind:     by_value
      - .offset:         4
        .size:           4
        .value_kind:     by_value
      - .offset:         8
        .size:           8
        .value_kind:     by_value
      - .actual_access:  read_only
        .address_space:  global
        .offset:         16
        .size:           8
        .value_kind:     global_buffer
      - .actual_access:  read_only
        .address_space:  global
        .offset:         24
        .size:           8
        .value_kind:     global_buffer
      - .actual_access:  read_only
        .address_space:  global
        .offset:         32
        .size:           8
        .value_kind:     global_buffer
      - .actual_access:  read_only
        .address_space:  global
        .offset:         40
        .size:           8
        .value_kind:     global_buffer
      - .offset:         48
        .size:           8
        .value_kind:     by_value
      - .address_space:  global
        .offset:         56
        .size:           8
        .value_kind:     global_buffer
      - .offset:         64
        .size:           4
        .value_kind:     by_value
      - .offset:         68
        .size:           1
        .value_kind:     by_value
    .group_segment_fixed_size: 0
    .kernarg_segment_align: 8
    .kernarg_segment_size: 72
    .language:       OpenCL C
    .language_version:
      - 2
      - 0
    .max_flat_workgroup_size: 128
    .name:           _ZN9rocsparseL19gebsrmvn_2xn_kernelILj128ELj5ELj4EdEEvi20rocsparse_direction_NS_24const_host_device_scalarIT2_EEPKiS6_PKS3_S8_S4_PS3_21rocsparse_index_base_b
    .private_segment_fixed_size: 0
    .sgpr_count:     16
    .sgpr_spill_count: 0
    .symbol:         _ZN9rocsparseL19gebsrmvn_2xn_kernelILj128ELj5ELj4EdEEvi20rocsparse_direction_NS_24const_host_device_scalarIT2_EEPKiS6_PKS3_S8_S4_PS3_21rocsparse_index_base_b.kd
    .uniform_work_group_size: 1
    .uses_dynamic_stack: false
    .vgpr_count:     50
    .vgpr_spill_count: 0
    .wavefront_size: 32
  - .args:
      - .offset:         0
        .size:           4
        .value_kind:     by_value
      - .offset:         4
        .size:           4
        .value_kind:     by_value
      - .offset:         8
        .size:           8
        .value_kind:     by_value
      - .actual_access:  read_only
        .address_space:  global
        .offset:         16
        .size:           8
        .value_kind:     global_buffer
      - .actual_access:  read_only
        .address_space:  global
        .offset:         24
        .size:           8
        .value_kind:     global_buffer
      - .actual_access:  read_only
        .address_space:  global
        .offset:         32
        .size:           8
        .value_kind:     global_buffer
      - .actual_access:  read_only
        .address_space:  global
        .offset:         40
        .size:           8
        .value_kind:     global_buffer
      - .offset:         48
        .size:           8
        .value_kind:     by_value
      - .address_space:  global
        .offset:         56
        .size:           8
        .value_kind:     global_buffer
      - .offset:         64
        .size:           4
        .value_kind:     by_value
      - .offset:         68
        .size:           1
        .value_kind:     by_value
    .group_segment_fixed_size: 0
    .kernarg_segment_align: 8
    .kernarg_segment_size: 72
    .language:       OpenCL C
    .language_version:
      - 2
      - 0
    .max_flat_workgroup_size: 128
    .name:           _ZN9rocsparseL19gebsrmvn_2xn_kernelILj128ELj5ELj8EdEEvi20rocsparse_direction_NS_24const_host_device_scalarIT2_EEPKiS6_PKS3_S8_S4_PS3_21rocsparse_index_base_b
    .private_segment_fixed_size: 0
    .sgpr_count:     16
    .sgpr_spill_count: 0
    .symbol:         _ZN9rocsparseL19gebsrmvn_2xn_kernelILj128ELj5ELj8EdEEvi20rocsparse_direction_NS_24const_host_device_scalarIT2_EEPKiS6_PKS3_S8_S4_PS3_21rocsparse_index_base_b.kd
    .uniform_work_group_size: 1
    .uses_dynamic_stack: false
    .vgpr_count:     50
    .vgpr_spill_count: 0
    .wavefront_size: 32
  - .args:
      - .offset:         0
        .size:           4
        .value_kind:     by_value
      - .offset:         4
        .size:           4
        .value_kind:     by_value
      - .offset:         8
        .size:           8
        .value_kind:     by_value
      - .actual_access:  read_only
        .address_space:  global
        .offset:         16
        .size:           8
        .value_kind:     global_buffer
      - .actual_access:  read_only
        .address_space:  global
        .offset:         24
        .size:           8
        .value_kind:     global_buffer
      - .actual_access:  read_only
        .address_space:  global
        .offset:         32
        .size:           8
        .value_kind:     global_buffer
      - .actual_access:  read_only
        .address_space:  global
        .offset:         40
        .size:           8
        .value_kind:     global_buffer
      - .offset:         48
        .size:           8
        .value_kind:     by_value
      - .address_space:  global
        .offset:         56
        .size:           8
        .value_kind:     global_buffer
      - .offset:         64
        .size:           4
        .value_kind:     by_value
      - .offset:         68
        .size:           1
        .value_kind:     by_value
    .group_segment_fixed_size: 0
    .kernarg_segment_align: 8
    .kernarg_segment_size: 72
    .language:       OpenCL C
    .language_version:
      - 2
      - 0
    .max_flat_workgroup_size: 128
    .name:           _ZN9rocsparseL19gebsrmvn_2xn_kernelILj128ELj5ELj16EdEEvi20rocsparse_direction_NS_24const_host_device_scalarIT2_EEPKiS6_PKS3_S8_S4_PS3_21rocsparse_index_base_b
    .private_segment_fixed_size: 0
    .sgpr_count:     16
    .sgpr_spill_count: 0
    .symbol:         _ZN9rocsparseL19gebsrmvn_2xn_kernelILj128ELj5ELj16EdEEvi20rocsparse_direction_NS_24const_host_device_scalarIT2_EEPKiS6_PKS3_S8_S4_PS3_21rocsparse_index_base_b.kd
    .uniform_work_group_size: 1
    .uses_dynamic_stack: false
    .vgpr_count:     50
    .vgpr_spill_count: 0
    .wavefront_size: 32
  - .args:
      - .offset:         0
        .size:           4
        .value_kind:     by_value
      - .offset:         4
        .size:           4
        .value_kind:     by_value
      - .offset:         8
        .size:           8
        .value_kind:     by_value
      - .actual_access:  read_only
        .address_space:  global
        .offset:         16
        .size:           8
        .value_kind:     global_buffer
      - .actual_access:  read_only
        .address_space:  global
        .offset:         24
        .size:           8
        .value_kind:     global_buffer
      - .actual_access:  read_only
        .address_space:  global
        .offset:         32
        .size:           8
        .value_kind:     global_buffer
      - .actual_access:  read_only
        .address_space:  global
        .offset:         40
        .size:           8
        .value_kind:     global_buffer
      - .offset:         48
        .size:           8
        .value_kind:     by_value
      - .address_space:  global
        .offset:         56
        .size:           8
        .value_kind:     global_buffer
      - .offset:         64
        .size:           4
        .value_kind:     by_value
      - .offset:         68
        .size:           1
        .value_kind:     by_value
    .group_segment_fixed_size: 0
    .kernarg_segment_align: 8
    .kernarg_segment_size: 72
    .language:       OpenCL C
    .language_version:
      - 2
      - 0
    .max_flat_workgroup_size: 128
    .name:           _ZN9rocsparseL19gebsrmvn_2xn_kernelILj128ELj5ELj32EdEEvi20rocsparse_direction_NS_24const_host_device_scalarIT2_EEPKiS6_PKS3_S8_S4_PS3_21rocsparse_index_base_b
    .private_segment_fixed_size: 0
    .sgpr_count:     16
    .sgpr_spill_count: 0
    .symbol:         _ZN9rocsparseL19gebsrmvn_2xn_kernelILj128ELj5ELj32EdEEvi20rocsparse_direction_NS_24const_host_device_scalarIT2_EEPKiS6_PKS3_S8_S4_PS3_21rocsparse_index_base_b.kd
    .uniform_work_group_size: 1
    .uses_dynamic_stack: false
    .vgpr_count:     50
    .vgpr_spill_count: 0
    .wavefront_size: 32
  - .args:
      - .offset:         0
        .size:           4
        .value_kind:     by_value
      - .offset:         4
        .size:           4
        .value_kind:     by_value
      - .offset:         8
        .size:           8
        .value_kind:     by_value
      - .actual_access:  read_only
        .address_space:  global
        .offset:         16
        .size:           8
        .value_kind:     global_buffer
      - .actual_access:  read_only
        .address_space:  global
        .offset:         24
        .size:           8
        .value_kind:     global_buffer
      - .actual_access:  read_only
        .address_space:  global
        .offset:         32
        .size:           8
        .value_kind:     global_buffer
      - .actual_access:  read_only
        .address_space:  global
        .offset:         40
        .size:           8
        .value_kind:     global_buffer
      - .offset:         48
        .size:           8
        .value_kind:     by_value
      - .address_space:  global
        .offset:         56
        .size:           8
        .value_kind:     global_buffer
      - .offset:         64
        .size:           4
        .value_kind:     by_value
      - .offset:         68
        .size:           1
        .value_kind:     by_value
    .group_segment_fixed_size: 0
    .kernarg_segment_align: 8
    .kernarg_segment_size: 72
    .language:       OpenCL C
    .language_version:
      - 2
      - 0
    .max_flat_workgroup_size: 128
    .name:           _ZN9rocsparseL19gebsrmvn_2xn_kernelILj128ELj5ELj64EdEEvi20rocsparse_direction_NS_24const_host_device_scalarIT2_EEPKiS6_PKS3_S8_S4_PS3_21rocsparse_index_base_b
    .private_segment_fixed_size: 0
    .sgpr_count:     16
    .sgpr_spill_count: 0
    .symbol:         _ZN9rocsparseL19gebsrmvn_2xn_kernelILj128ELj5ELj64EdEEvi20rocsparse_direction_NS_24const_host_device_scalarIT2_EEPKiS6_PKS3_S8_S4_PS3_21rocsparse_index_base_b.kd
    .uniform_work_group_size: 1
    .uses_dynamic_stack: false
    .vgpr_count:     50
    .vgpr_spill_count: 0
    .wavefront_size: 32
  - .args:
      - .offset:         0
        .size:           4
        .value_kind:     by_value
      - .offset:         4
        .size:           4
        .value_kind:     by_value
      - .offset:         8
        .size:           8
        .value_kind:     by_value
      - .actual_access:  read_only
        .address_space:  global
        .offset:         16
        .size:           8
        .value_kind:     global_buffer
      - .actual_access:  read_only
        .address_space:  global
        .offset:         24
        .size:           8
        .value_kind:     global_buffer
      - .actual_access:  read_only
        .address_space:  global
        .offset:         32
        .size:           8
        .value_kind:     global_buffer
      - .actual_access:  read_only
        .address_space:  global
        .offset:         40
        .size:           8
        .value_kind:     global_buffer
      - .offset:         48
        .size:           8
        .value_kind:     by_value
      - .address_space:  global
        .offset:         56
        .size:           8
        .value_kind:     global_buffer
      - .offset:         64
        .size:           4
        .value_kind:     by_value
      - .offset:         68
        .size:           1
        .value_kind:     by_value
    .group_segment_fixed_size: 0
    .kernarg_segment_align: 8
    .kernarg_segment_size: 72
    .language:       OpenCL C
    .language_version:
      - 2
      - 0
    .max_flat_workgroup_size: 128
    .name:           _ZN9rocsparseL19gebsrmvn_2xn_kernelILj128ELj6ELj4EdEEvi20rocsparse_direction_NS_24const_host_device_scalarIT2_EEPKiS6_PKS3_S8_S4_PS3_21rocsparse_index_base_b
    .private_segment_fixed_size: 0
    .sgpr_count:     16
    .sgpr_spill_count: 0
    .symbol:         _ZN9rocsparseL19gebsrmvn_2xn_kernelILj128ELj6ELj4EdEEvi20rocsparse_direction_NS_24const_host_device_scalarIT2_EEPKiS6_PKS3_S8_S4_PS3_21rocsparse_index_base_b.kd
    .uniform_work_group_size: 1
    .uses_dynamic_stack: false
    .vgpr_count:     54
    .vgpr_spill_count: 0
    .wavefront_size: 32
  - .args:
      - .offset:         0
        .size:           4
        .value_kind:     by_value
      - .offset:         4
        .size:           4
        .value_kind:     by_value
      - .offset:         8
        .size:           8
        .value_kind:     by_value
      - .actual_access:  read_only
        .address_space:  global
        .offset:         16
        .size:           8
        .value_kind:     global_buffer
      - .actual_access:  read_only
        .address_space:  global
        .offset:         24
        .size:           8
        .value_kind:     global_buffer
      - .actual_access:  read_only
        .address_space:  global
        .offset:         32
        .size:           8
        .value_kind:     global_buffer
      - .actual_access:  read_only
        .address_space:  global
        .offset:         40
        .size:           8
        .value_kind:     global_buffer
      - .offset:         48
        .size:           8
        .value_kind:     by_value
      - .address_space:  global
        .offset:         56
        .size:           8
        .value_kind:     global_buffer
      - .offset:         64
        .size:           4
        .value_kind:     by_value
      - .offset:         68
        .size:           1
        .value_kind:     by_value
    .group_segment_fixed_size: 0
    .kernarg_segment_align: 8
    .kernarg_segment_size: 72
    .language:       OpenCL C
    .language_version:
      - 2
      - 0
    .max_flat_workgroup_size: 128
    .name:           _ZN9rocsparseL19gebsrmvn_2xn_kernelILj128ELj6ELj8EdEEvi20rocsparse_direction_NS_24const_host_device_scalarIT2_EEPKiS6_PKS3_S8_S4_PS3_21rocsparse_index_base_b
    .private_segment_fixed_size: 0
    .sgpr_count:     16
    .sgpr_spill_count: 0
    .symbol:         _ZN9rocsparseL19gebsrmvn_2xn_kernelILj128ELj6ELj8EdEEvi20rocsparse_direction_NS_24const_host_device_scalarIT2_EEPKiS6_PKS3_S8_S4_PS3_21rocsparse_index_base_b.kd
    .uniform_work_group_size: 1
    .uses_dynamic_stack: false
    .vgpr_count:     54
    .vgpr_spill_count: 0
    .wavefront_size: 32
  - .args:
      - .offset:         0
        .size:           4
        .value_kind:     by_value
      - .offset:         4
        .size:           4
        .value_kind:     by_value
      - .offset:         8
        .size:           8
        .value_kind:     by_value
      - .actual_access:  read_only
        .address_space:  global
        .offset:         16
        .size:           8
        .value_kind:     global_buffer
      - .actual_access:  read_only
        .address_space:  global
        .offset:         24
        .size:           8
        .value_kind:     global_buffer
      - .actual_access:  read_only
        .address_space:  global
        .offset:         32
        .size:           8
        .value_kind:     global_buffer
      - .actual_access:  read_only
        .address_space:  global
        .offset:         40
        .size:           8
        .value_kind:     global_buffer
      - .offset:         48
        .size:           8
        .value_kind:     by_value
      - .address_space:  global
        .offset:         56
        .size:           8
        .value_kind:     global_buffer
      - .offset:         64
        .size:           4
        .value_kind:     by_value
      - .offset:         68
        .size:           1
        .value_kind:     by_value
    .group_segment_fixed_size: 0
    .kernarg_segment_align: 8
    .kernarg_segment_size: 72
    .language:       OpenCL C
    .language_version:
      - 2
      - 0
    .max_flat_workgroup_size: 128
    .name:           _ZN9rocsparseL19gebsrmvn_2xn_kernelILj128ELj6ELj16EdEEvi20rocsparse_direction_NS_24const_host_device_scalarIT2_EEPKiS6_PKS3_S8_S4_PS3_21rocsparse_index_base_b
    .private_segment_fixed_size: 0
    .sgpr_count:     16
    .sgpr_spill_count: 0
    .symbol:         _ZN9rocsparseL19gebsrmvn_2xn_kernelILj128ELj6ELj16EdEEvi20rocsparse_direction_NS_24const_host_device_scalarIT2_EEPKiS6_PKS3_S8_S4_PS3_21rocsparse_index_base_b.kd
    .uniform_work_group_size: 1
    .uses_dynamic_stack: false
    .vgpr_count:     54
    .vgpr_spill_count: 0
    .wavefront_size: 32
  - .args:
      - .offset:         0
        .size:           4
        .value_kind:     by_value
      - .offset:         4
        .size:           4
        .value_kind:     by_value
      - .offset:         8
        .size:           8
        .value_kind:     by_value
      - .actual_access:  read_only
        .address_space:  global
        .offset:         16
        .size:           8
        .value_kind:     global_buffer
      - .actual_access:  read_only
        .address_space:  global
        .offset:         24
        .size:           8
        .value_kind:     global_buffer
      - .actual_access:  read_only
        .address_space:  global
        .offset:         32
        .size:           8
        .value_kind:     global_buffer
      - .actual_access:  read_only
        .address_space:  global
        .offset:         40
        .size:           8
        .value_kind:     global_buffer
      - .offset:         48
        .size:           8
        .value_kind:     by_value
      - .address_space:  global
        .offset:         56
        .size:           8
        .value_kind:     global_buffer
      - .offset:         64
        .size:           4
        .value_kind:     by_value
      - .offset:         68
        .size:           1
        .value_kind:     by_value
    .group_segment_fixed_size: 0
    .kernarg_segment_align: 8
    .kernarg_segment_size: 72
    .language:       OpenCL C
    .language_version:
      - 2
      - 0
    .max_flat_workgroup_size: 128
    .name:           _ZN9rocsparseL19gebsrmvn_2xn_kernelILj128ELj6ELj32EdEEvi20rocsparse_direction_NS_24const_host_device_scalarIT2_EEPKiS6_PKS3_S8_S4_PS3_21rocsparse_index_base_b
    .private_segment_fixed_size: 0
    .sgpr_count:     16
    .sgpr_spill_count: 0
    .symbol:         _ZN9rocsparseL19gebsrmvn_2xn_kernelILj128ELj6ELj32EdEEvi20rocsparse_direction_NS_24const_host_device_scalarIT2_EEPKiS6_PKS3_S8_S4_PS3_21rocsparse_index_base_b.kd
    .uniform_work_group_size: 1
    .uses_dynamic_stack: false
    .vgpr_count:     54
    .vgpr_spill_count: 0
    .wavefront_size: 32
  - .args:
      - .offset:         0
        .size:           4
        .value_kind:     by_value
      - .offset:         4
        .size:           4
        .value_kind:     by_value
      - .offset:         8
        .size:           8
        .value_kind:     by_value
      - .actual_access:  read_only
        .address_space:  global
        .offset:         16
        .size:           8
        .value_kind:     global_buffer
      - .actual_access:  read_only
        .address_space:  global
        .offset:         24
        .size:           8
        .value_kind:     global_buffer
      - .actual_access:  read_only
        .address_space:  global
        .offset:         32
        .size:           8
        .value_kind:     global_buffer
      - .actual_access:  read_only
        .address_space:  global
        .offset:         40
        .size:           8
        .value_kind:     global_buffer
      - .offset:         48
        .size:           8
        .value_kind:     by_value
      - .address_space:  global
        .offset:         56
        .size:           8
        .value_kind:     global_buffer
      - .offset:         64
        .size:           4
        .value_kind:     by_value
      - .offset:         68
        .size:           1
        .value_kind:     by_value
    .group_segment_fixed_size: 0
    .kernarg_segment_align: 8
    .kernarg_segment_size: 72
    .language:       OpenCL C
    .language_version:
      - 2
      - 0
    .max_flat_workgroup_size: 128
    .name:           _ZN9rocsparseL19gebsrmvn_2xn_kernelILj128ELj6ELj64EdEEvi20rocsparse_direction_NS_24const_host_device_scalarIT2_EEPKiS6_PKS3_S8_S4_PS3_21rocsparse_index_base_b
    .private_segment_fixed_size: 0
    .sgpr_count:     16
    .sgpr_spill_count: 0
    .symbol:         _ZN9rocsparseL19gebsrmvn_2xn_kernelILj128ELj6ELj64EdEEvi20rocsparse_direction_NS_24const_host_device_scalarIT2_EEPKiS6_PKS3_S8_S4_PS3_21rocsparse_index_base_b.kd
    .uniform_work_group_size: 1
    .uses_dynamic_stack: false
    .vgpr_count:     54
    .vgpr_spill_count: 0
    .wavefront_size: 32
  - .args:
      - .offset:         0
        .size:           4
        .value_kind:     by_value
      - .offset:         4
        .size:           4
        .value_kind:     by_value
      - .offset:         8
        .size:           8
        .value_kind:     by_value
      - .actual_access:  read_only
        .address_space:  global
        .offset:         16
        .size:           8
        .value_kind:     global_buffer
      - .actual_access:  read_only
        .address_space:  global
        .offset:         24
        .size:           8
        .value_kind:     global_buffer
      - .actual_access:  read_only
        .address_space:  global
        .offset:         32
        .size:           8
        .value_kind:     global_buffer
      - .actual_access:  read_only
        .address_space:  global
        .offset:         40
        .size:           8
        .value_kind:     global_buffer
      - .offset:         48
        .size:           8
        .value_kind:     by_value
      - .address_space:  global
        .offset:         56
        .size:           8
        .value_kind:     global_buffer
      - .offset:         64
        .size:           4
        .value_kind:     by_value
      - .offset:         68
        .size:           1
        .value_kind:     by_value
    .group_segment_fixed_size: 0
    .kernarg_segment_align: 8
    .kernarg_segment_size: 72
    .language:       OpenCL C
    .language_version:
      - 2
      - 0
    .max_flat_workgroup_size: 128
    .name:           _ZN9rocsparseL19gebsrmvn_2xn_kernelILj128ELj7ELj4EdEEvi20rocsparse_direction_NS_24const_host_device_scalarIT2_EEPKiS6_PKS3_S8_S4_PS3_21rocsparse_index_base_b
    .private_segment_fixed_size: 0
    .sgpr_count:     16
    .sgpr_spill_count: 0
    .symbol:         _ZN9rocsparseL19gebsrmvn_2xn_kernelILj128ELj7ELj4EdEEvi20rocsparse_direction_NS_24const_host_device_scalarIT2_EEPKiS6_PKS3_S8_S4_PS3_21rocsparse_index_base_b.kd
    .uniform_work_group_size: 1
    .uses_dynamic_stack: false
    .vgpr_count:     62
    .vgpr_spill_count: 0
    .wavefront_size: 32
  - .args:
      - .offset:         0
        .size:           4
        .value_kind:     by_value
      - .offset:         4
        .size:           4
        .value_kind:     by_value
      - .offset:         8
        .size:           8
        .value_kind:     by_value
      - .actual_access:  read_only
        .address_space:  global
        .offset:         16
        .size:           8
        .value_kind:     global_buffer
      - .actual_access:  read_only
        .address_space:  global
        .offset:         24
        .size:           8
        .value_kind:     global_buffer
      - .actual_access:  read_only
        .address_space:  global
        .offset:         32
        .size:           8
        .value_kind:     global_buffer
      - .actual_access:  read_only
        .address_space:  global
        .offset:         40
        .size:           8
        .value_kind:     global_buffer
      - .offset:         48
        .size:           8
        .value_kind:     by_value
      - .address_space:  global
        .offset:         56
        .size:           8
        .value_kind:     global_buffer
      - .offset:         64
        .size:           4
        .value_kind:     by_value
      - .offset:         68
        .size:           1
        .value_kind:     by_value
    .group_segment_fixed_size: 0
    .kernarg_segment_align: 8
    .kernarg_segment_size: 72
    .language:       OpenCL C
    .language_version:
      - 2
      - 0
    .max_flat_workgroup_size: 128
    .name:           _ZN9rocsparseL19gebsrmvn_2xn_kernelILj128ELj7ELj8EdEEvi20rocsparse_direction_NS_24const_host_device_scalarIT2_EEPKiS6_PKS3_S8_S4_PS3_21rocsparse_index_base_b
    .private_segment_fixed_size: 0
    .sgpr_count:     16
    .sgpr_spill_count: 0
    .symbol:         _ZN9rocsparseL19gebsrmvn_2xn_kernelILj128ELj7ELj8EdEEvi20rocsparse_direction_NS_24const_host_device_scalarIT2_EEPKiS6_PKS3_S8_S4_PS3_21rocsparse_index_base_b.kd
    .uniform_work_group_size: 1
    .uses_dynamic_stack: false
    .vgpr_count:     62
    .vgpr_spill_count: 0
    .wavefront_size: 32
  - .args:
      - .offset:         0
        .size:           4
        .value_kind:     by_value
      - .offset:         4
        .size:           4
        .value_kind:     by_value
      - .offset:         8
        .size:           8
        .value_kind:     by_value
      - .actual_access:  read_only
        .address_space:  global
        .offset:         16
        .size:           8
        .value_kind:     global_buffer
      - .actual_access:  read_only
        .address_space:  global
        .offset:         24
        .size:           8
        .value_kind:     global_buffer
      - .actual_access:  read_only
        .address_space:  global
        .offset:         32
        .size:           8
        .value_kind:     global_buffer
      - .actual_access:  read_only
        .address_space:  global
        .offset:         40
        .size:           8
        .value_kind:     global_buffer
      - .offset:         48
        .size:           8
        .value_kind:     by_value
      - .address_space:  global
        .offset:         56
        .size:           8
        .value_kind:     global_buffer
      - .offset:         64
        .size:           4
        .value_kind:     by_value
      - .offset:         68
        .size:           1
        .value_kind:     by_value
    .group_segment_fixed_size: 0
    .kernarg_segment_align: 8
    .kernarg_segment_size: 72
    .language:       OpenCL C
    .language_version:
      - 2
      - 0
    .max_flat_workgroup_size: 128
    .name:           _ZN9rocsparseL19gebsrmvn_2xn_kernelILj128ELj7ELj16EdEEvi20rocsparse_direction_NS_24const_host_device_scalarIT2_EEPKiS6_PKS3_S8_S4_PS3_21rocsparse_index_base_b
    .private_segment_fixed_size: 0
    .sgpr_count:     16
    .sgpr_spill_count: 0
    .symbol:         _ZN9rocsparseL19gebsrmvn_2xn_kernelILj128ELj7ELj16EdEEvi20rocsparse_direction_NS_24const_host_device_scalarIT2_EEPKiS6_PKS3_S8_S4_PS3_21rocsparse_index_base_b.kd
    .uniform_work_group_size: 1
    .uses_dynamic_stack: false
    .vgpr_count:     62
    .vgpr_spill_count: 0
    .wavefront_size: 32
  - .args:
      - .offset:         0
        .size:           4
        .value_kind:     by_value
      - .offset:         4
        .size:           4
        .value_kind:     by_value
      - .offset:         8
        .size:           8
        .value_kind:     by_value
      - .actual_access:  read_only
        .address_space:  global
        .offset:         16
        .size:           8
        .value_kind:     global_buffer
      - .actual_access:  read_only
        .address_space:  global
        .offset:         24
        .size:           8
        .value_kind:     global_buffer
      - .actual_access:  read_only
        .address_space:  global
        .offset:         32
        .size:           8
        .value_kind:     global_buffer
      - .actual_access:  read_only
        .address_space:  global
        .offset:         40
        .size:           8
        .value_kind:     global_buffer
      - .offset:         48
        .size:           8
        .value_kind:     by_value
      - .address_space:  global
        .offset:         56
        .size:           8
        .value_kind:     global_buffer
      - .offset:         64
        .size:           4
        .value_kind:     by_value
      - .offset:         68
        .size:           1
        .value_kind:     by_value
    .group_segment_fixed_size: 0
    .kernarg_segment_align: 8
    .kernarg_segment_size: 72
    .language:       OpenCL C
    .language_version:
      - 2
      - 0
    .max_flat_workgroup_size: 128
    .name:           _ZN9rocsparseL19gebsrmvn_2xn_kernelILj128ELj7ELj32EdEEvi20rocsparse_direction_NS_24const_host_device_scalarIT2_EEPKiS6_PKS3_S8_S4_PS3_21rocsparse_index_base_b
    .private_segment_fixed_size: 0
    .sgpr_count:     16
    .sgpr_spill_count: 0
    .symbol:         _ZN9rocsparseL19gebsrmvn_2xn_kernelILj128ELj7ELj32EdEEvi20rocsparse_direction_NS_24const_host_device_scalarIT2_EEPKiS6_PKS3_S8_S4_PS3_21rocsparse_index_base_b.kd
    .uniform_work_group_size: 1
    .uses_dynamic_stack: false
    .vgpr_count:     62
    .vgpr_spill_count: 0
    .wavefront_size: 32
  - .args:
      - .offset:         0
        .size:           4
        .value_kind:     by_value
      - .offset:         4
        .size:           4
        .value_kind:     by_value
      - .offset:         8
        .size:           8
        .value_kind:     by_value
      - .actual_access:  read_only
        .address_space:  global
        .offset:         16
        .size:           8
        .value_kind:     global_buffer
      - .actual_access:  read_only
        .address_space:  global
        .offset:         24
        .size:           8
        .value_kind:     global_buffer
      - .actual_access:  read_only
        .address_space:  global
        .offset:         32
        .size:           8
        .value_kind:     global_buffer
      - .actual_access:  read_only
        .address_space:  global
        .offset:         40
        .size:           8
        .value_kind:     global_buffer
      - .offset:         48
        .size:           8
        .value_kind:     by_value
      - .address_space:  global
        .offset:         56
        .size:           8
        .value_kind:     global_buffer
      - .offset:         64
        .size:           4
        .value_kind:     by_value
      - .offset:         68
        .size:           1
        .value_kind:     by_value
    .group_segment_fixed_size: 0
    .kernarg_segment_align: 8
    .kernarg_segment_size: 72
    .language:       OpenCL C
    .language_version:
      - 2
      - 0
    .max_flat_workgroup_size: 128
    .name:           _ZN9rocsparseL19gebsrmvn_2xn_kernelILj128ELj7ELj64EdEEvi20rocsparse_direction_NS_24const_host_device_scalarIT2_EEPKiS6_PKS3_S8_S4_PS3_21rocsparse_index_base_b
    .private_segment_fixed_size: 0
    .sgpr_count:     16
    .sgpr_spill_count: 0
    .symbol:         _ZN9rocsparseL19gebsrmvn_2xn_kernelILj128ELj7ELj64EdEEvi20rocsparse_direction_NS_24const_host_device_scalarIT2_EEPKiS6_PKS3_S8_S4_PS3_21rocsparse_index_base_b.kd
    .uniform_work_group_size: 1
    .uses_dynamic_stack: false
    .vgpr_count:     62
    .vgpr_spill_count: 0
    .wavefront_size: 32
  - .args:
      - .offset:         0
        .size:           4
        .value_kind:     by_value
      - .offset:         4
        .size:           4
        .value_kind:     by_value
      - .offset:         8
        .size:           8
        .value_kind:     by_value
      - .actual_access:  read_only
        .address_space:  global
        .offset:         16
        .size:           8
        .value_kind:     global_buffer
      - .actual_access:  read_only
        .address_space:  global
        .offset:         24
        .size:           8
        .value_kind:     global_buffer
      - .actual_access:  read_only
        .address_space:  global
        .offset:         32
        .size:           8
        .value_kind:     global_buffer
      - .actual_access:  read_only
        .address_space:  global
        .offset:         40
        .size:           8
        .value_kind:     global_buffer
      - .offset:         48
        .size:           8
        .value_kind:     by_value
      - .address_space:  global
        .offset:         56
        .size:           8
        .value_kind:     global_buffer
      - .offset:         64
        .size:           4
        .value_kind:     by_value
      - .offset:         68
        .size:           1
        .value_kind:     by_value
    .group_segment_fixed_size: 0
    .kernarg_segment_align: 8
    .kernarg_segment_size: 72
    .language:       OpenCL C
    .language_version:
      - 2
      - 0
    .max_flat_workgroup_size: 128
    .name:           _ZN9rocsparseL19gebsrmvn_2xn_kernelILj128ELj8ELj4EdEEvi20rocsparse_direction_NS_24const_host_device_scalarIT2_EEPKiS6_PKS3_S8_S4_PS3_21rocsparse_index_base_b
    .private_segment_fixed_size: 0
    .sgpr_count:     16
    .sgpr_spill_count: 0
    .symbol:         _ZN9rocsparseL19gebsrmvn_2xn_kernelILj128ELj8ELj4EdEEvi20rocsparse_direction_NS_24const_host_device_scalarIT2_EEPKiS6_PKS3_S8_S4_PS3_21rocsparse_index_base_b.kd
    .uniform_work_group_size: 1
    .uses_dynamic_stack: false
    .vgpr_count:     68
    .vgpr_spill_count: 0
    .wavefront_size: 32
  - .args:
      - .offset:         0
        .size:           4
        .value_kind:     by_value
      - .offset:         4
        .size:           4
        .value_kind:     by_value
      - .offset:         8
        .size:           8
        .value_kind:     by_value
      - .actual_access:  read_only
        .address_space:  global
        .offset:         16
        .size:           8
        .value_kind:     global_buffer
      - .actual_access:  read_only
        .address_space:  global
        .offset:         24
        .size:           8
        .value_kind:     global_buffer
      - .actual_access:  read_only
        .address_space:  global
        .offset:         32
        .size:           8
        .value_kind:     global_buffer
      - .actual_access:  read_only
        .address_space:  global
        .offset:         40
        .size:           8
        .value_kind:     global_buffer
      - .offset:         48
        .size:           8
        .value_kind:     by_value
      - .address_space:  global
        .offset:         56
        .size:           8
        .value_kind:     global_buffer
      - .offset:         64
        .size:           4
        .value_kind:     by_value
      - .offset:         68
        .size:           1
        .value_kind:     by_value
    .group_segment_fixed_size: 0
    .kernarg_segment_align: 8
    .kernarg_segment_size: 72
    .language:       OpenCL C
    .language_version:
      - 2
      - 0
    .max_flat_workgroup_size: 128
    .name:           _ZN9rocsparseL19gebsrmvn_2xn_kernelILj128ELj8ELj8EdEEvi20rocsparse_direction_NS_24const_host_device_scalarIT2_EEPKiS6_PKS3_S8_S4_PS3_21rocsparse_index_base_b
    .private_segment_fixed_size: 0
    .sgpr_count:     16
    .sgpr_spill_count: 0
    .symbol:         _ZN9rocsparseL19gebsrmvn_2xn_kernelILj128ELj8ELj8EdEEvi20rocsparse_direction_NS_24const_host_device_scalarIT2_EEPKiS6_PKS3_S8_S4_PS3_21rocsparse_index_base_b.kd
    .uniform_work_group_size: 1
    .uses_dynamic_stack: false
    .vgpr_count:     68
    .vgpr_spill_count: 0
    .wavefront_size: 32
  - .args:
      - .offset:         0
        .size:           4
        .value_kind:     by_value
      - .offset:         4
        .size:           4
        .value_kind:     by_value
      - .offset:         8
        .size:           8
        .value_kind:     by_value
      - .actual_access:  read_only
        .address_space:  global
        .offset:         16
        .size:           8
        .value_kind:     global_buffer
      - .actual_access:  read_only
        .address_space:  global
        .offset:         24
        .size:           8
        .value_kind:     global_buffer
      - .actual_access:  read_only
        .address_space:  global
        .offset:         32
        .size:           8
        .value_kind:     global_buffer
      - .actual_access:  read_only
        .address_space:  global
        .offset:         40
        .size:           8
        .value_kind:     global_buffer
      - .offset:         48
        .size:           8
        .value_kind:     by_value
      - .address_space:  global
        .offset:         56
        .size:           8
        .value_kind:     global_buffer
      - .offset:         64
        .size:           4
        .value_kind:     by_value
      - .offset:         68
        .size:           1
        .value_kind:     by_value
    .group_segment_fixed_size: 0
    .kernarg_segment_align: 8
    .kernarg_segment_size: 72
    .language:       OpenCL C
    .language_version:
      - 2
      - 0
    .max_flat_workgroup_size: 128
    .name:           _ZN9rocsparseL19gebsrmvn_2xn_kernelILj128ELj8ELj16EdEEvi20rocsparse_direction_NS_24const_host_device_scalarIT2_EEPKiS6_PKS3_S8_S4_PS3_21rocsparse_index_base_b
    .private_segment_fixed_size: 0
    .sgpr_count:     16
    .sgpr_spill_count: 0
    .symbol:         _ZN9rocsparseL19gebsrmvn_2xn_kernelILj128ELj8ELj16EdEEvi20rocsparse_direction_NS_24const_host_device_scalarIT2_EEPKiS6_PKS3_S8_S4_PS3_21rocsparse_index_base_b.kd
    .uniform_work_group_size: 1
    .uses_dynamic_stack: false
    .vgpr_count:     68
    .vgpr_spill_count: 0
    .wavefront_size: 32
  - .args:
      - .offset:         0
        .size:           4
        .value_kind:     by_value
      - .offset:         4
        .size:           4
        .value_kind:     by_value
      - .offset:         8
        .size:           8
        .value_kind:     by_value
      - .actual_access:  read_only
        .address_space:  global
        .offset:         16
        .size:           8
        .value_kind:     global_buffer
      - .actual_access:  read_only
        .address_space:  global
        .offset:         24
        .size:           8
        .value_kind:     global_buffer
      - .actual_access:  read_only
        .address_space:  global
        .offset:         32
        .size:           8
        .value_kind:     global_buffer
      - .actual_access:  read_only
        .address_space:  global
        .offset:         40
        .size:           8
        .value_kind:     global_buffer
      - .offset:         48
        .size:           8
        .value_kind:     by_value
      - .address_space:  global
        .offset:         56
        .size:           8
        .value_kind:     global_buffer
      - .offset:         64
        .size:           4
        .value_kind:     by_value
      - .offset:         68
        .size:           1
        .value_kind:     by_value
    .group_segment_fixed_size: 0
    .kernarg_segment_align: 8
    .kernarg_segment_size: 72
    .language:       OpenCL C
    .language_version:
      - 2
      - 0
    .max_flat_workgroup_size: 128
    .name:           _ZN9rocsparseL19gebsrmvn_2xn_kernelILj128ELj8ELj32EdEEvi20rocsparse_direction_NS_24const_host_device_scalarIT2_EEPKiS6_PKS3_S8_S4_PS3_21rocsparse_index_base_b
    .private_segment_fixed_size: 0
    .sgpr_count:     16
    .sgpr_spill_count: 0
    .symbol:         _ZN9rocsparseL19gebsrmvn_2xn_kernelILj128ELj8ELj32EdEEvi20rocsparse_direction_NS_24const_host_device_scalarIT2_EEPKiS6_PKS3_S8_S4_PS3_21rocsparse_index_base_b.kd
    .uniform_work_group_size: 1
    .uses_dynamic_stack: false
    .vgpr_count:     68
    .vgpr_spill_count: 0
    .wavefront_size: 32
  - .args:
      - .offset:         0
        .size:           4
        .value_kind:     by_value
      - .offset:         4
        .size:           4
        .value_kind:     by_value
      - .offset:         8
        .size:           8
        .value_kind:     by_value
      - .actual_access:  read_only
        .address_space:  global
        .offset:         16
        .size:           8
        .value_kind:     global_buffer
      - .actual_access:  read_only
        .address_space:  global
        .offset:         24
        .size:           8
        .value_kind:     global_buffer
      - .actual_access:  read_only
        .address_space:  global
        .offset:         32
        .size:           8
        .value_kind:     global_buffer
      - .actual_access:  read_only
        .address_space:  global
        .offset:         40
        .size:           8
        .value_kind:     global_buffer
      - .offset:         48
        .size:           8
        .value_kind:     by_value
      - .address_space:  global
        .offset:         56
        .size:           8
        .value_kind:     global_buffer
      - .offset:         64
        .size:           4
        .value_kind:     by_value
      - .offset:         68
        .size:           1
        .value_kind:     by_value
    .group_segment_fixed_size: 0
    .kernarg_segment_align: 8
    .kernarg_segment_size: 72
    .language:       OpenCL C
    .language_version:
      - 2
      - 0
    .max_flat_workgroup_size: 128
    .name:           _ZN9rocsparseL19gebsrmvn_2xn_kernelILj128ELj8ELj64EdEEvi20rocsparse_direction_NS_24const_host_device_scalarIT2_EEPKiS6_PKS3_S8_S4_PS3_21rocsparse_index_base_b
    .private_segment_fixed_size: 0
    .sgpr_count:     16
    .sgpr_spill_count: 0
    .symbol:         _ZN9rocsparseL19gebsrmvn_2xn_kernelILj128ELj8ELj64EdEEvi20rocsparse_direction_NS_24const_host_device_scalarIT2_EEPKiS6_PKS3_S8_S4_PS3_21rocsparse_index_base_b.kd
    .uniform_work_group_size: 1
    .uses_dynamic_stack: false
    .vgpr_count:     68
    .vgpr_spill_count: 0
    .wavefront_size: 32
  - .args:
      - .offset:         0
        .size:           4
        .value_kind:     by_value
      - .offset:         4
        .size:           4
        .value_kind:     by_value
      - .offset:         8
        .size:           8
        .value_kind:     by_value
      - .actual_access:  read_only
        .address_space:  global
        .offset:         16
        .size:           8
        .value_kind:     global_buffer
      - .actual_access:  read_only
        .address_space:  global
        .offset:         24
        .size:           8
        .value_kind:     global_buffer
      - .actual_access:  read_only
        .address_space:  global
        .offset:         32
        .size:           8
        .value_kind:     global_buffer
      - .actual_access:  read_only
        .address_space:  global
        .offset:         40
        .size:           8
        .value_kind:     global_buffer
      - .offset:         48
        .size:           8
        .value_kind:     by_value
      - .address_space:  global
        .offset:         56
        .size:           8
        .value_kind:     global_buffer
      - .offset:         64
        .size:           4
        .value_kind:     by_value
      - .offset:         68
        .size:           1
        .value_kind:     by_value
    .group_segment_fixed_size: 0
    .kernarg_segment_align: 8
    .kernarg_segment_size: 72
    .language:       OpenCL C
    .language_version:
      - 2
      - 0
    .max_flat_workgroup_size: 128
    .name:           _ZN9rocsparseL19gebsrmvn_2xn_kernelILj128ELj9ELj4EdEEvi20rocsparse_direction_NS_24const_host_device_scalarIT2_EEPKiS6_PKS3_S8_S4_PS3_21rocsparse_index_base_b
    .private_segment_fixed_size: 0
    .sgpr_count:     16
    .sgpr_spill_count: 0
    .symbol:         _ZN9rocsparseL19gebsrmvn_2xn_kernelILj128ELj9ELj4EdEEvi20rocsparse_direction_NS_24const_host_device_scalarIT2_EEPKiS6_PKS3_S8_S4_PS3_21rocsparse_index_base_b.kd
    .uniform_work_group_size: 1
    .uses_dynamic_stack: false
    .vgpr_count:     74
    .vgpr_spill_count: 0
    .wavefront_size: 32
  - .args:
      - .offset:         0
        .size:           4
        .value_kind:     by_value
      - .offset:         4
        .size:           4
        .value_kind:     by_value
      - .offset:         8
        .size:           8
        .value_kind:     by_value
      - .actual_access:  read_only
        .address_space:  global
        .offset:         16
        .size:           8
        .value_kind:     global_buffer
      - .actual_access:  read_only
        .address_space:  global
        .offset:         24
        .size:           8
        .value_kind:     global_buffer
      - .actual_access:  read_only
        .address_space:  global
        .offset:         32
        .size:           8
        .value_kind:     global_buffer
      - .actual_access:  read_only
        .address_space:  global
        .offset:         40
        .size:           8
        .value_kind:     global_buffer
      - .offset:         48
        .size:           8
        .value_kind:     by_value
      - .address_space:  global
        .offset:         56
        .size:           8
        .value_kind:     global_buffer
      - .offset:         64
        .size:           4
        .value_kind:     by_value
      - .offset:         68
        .size:           1
        .value_kind:     by_value
    .group_segment_fixed_size: 0
    .kernarg_segment_align: 8
    .kernarg_segment_size: 72
    .language:       OpenCL C
    .language_version:
      - 2
      - 0
    .max_flat_workgroup_size: 128
    .name:           _ZN9rocsparseL19gebsrmvn_2xn_kernelILj128ELj9ELj8EdEEvi20rocsparse_direction_NS_24const_host_device_scalarIT2_EEPKiS6_PKS3_S8_S4_PS3_21rocsparse_index_base_b
    .private_segment_fixed_size: 0
    .sgpr_count:     16
    .sgpr_spill_count: 0
    .symbol:         _ZN9rocsparseL19gebsrmvn_2xn_kernelILj128ELj9ELj8EdEEvi20rocsparse_direction_NS_24const_host_device_scalarIT2_EEPKiS6_PKS3_S8_S4_PS3_21rocsparse_index_base_b.kd
    .uniform_work_group_size: 1
    .uses_dynamic_stack: false
    .vgpr_count:     74
    .vgpr_spill_count: 0
    .wavefront_size: 32
  - .args:
      - .offset:         0
        .size:           4
        .value_kind:     by_value
      - .offset:         4
        .size:           4
        .value_kind:     by_value
      - .offset:         8
        .size:           8
        .value_kind:     by_value
      - .actual_access:  read_only
        .address_space:  global
        .offset:         16
        .size:           8
        .value_kind:     global_buffer
      - .actual_access:  read_only
        .address_space:  global
        .offset:         24
        .size:           8
        .value_kind:     global_buffer
      - .actual_access:  read_only
        .address_space:  global
        .offset:         32
        .size:           8
        .value_kind:     global_buffer
      - .actual_access:  read_only
        .address_space:  global
        .offset:         40
        .size:           8
        .value_kind:     global_buffer
      - .offset:         48
        .size:           8
        .value_kind:     by_value
      - .address_space:  global
        .offset:         56
        .size:           8
        .value_kind:     global_buffer
      - .offset:         64
        .size:           4
        .value_kind:     by_value
      - .offset:         68
        .size:           1
        .value_kind:     by_value
    .group_segment_fixed_size: 0
    .kernarg_segment_align: 8
    .kernarg_segment_size: 72
    .language:       OpenCL C
    .language_version:
      - 2
      - 0
    .max_flat_workgroup_size: 128
    .name:           _ZN9rocsparseL19gebsrmvn_2xn_kernelILj128ELj9ELj16EdEEvi20rocsparse_direction_NS_24const_host_device_scalarIT2_EEPKiS6_PKS3_S8_S4_PS3_21rocsparse_index_base_b
    .private_segment_fixed_size: 0
    .sgpr_count:     16
    .sgpr_spill_count: 0
    .symbol:         _ZN9rocsparseL19gebsrmvn_2xn_kernelILj128ELj9ELj16EdEEvi20rocsparse_direction_NS_24const_host_device_scalarIT2_EEPKiS6_PKS3_S8_S4_PS3_21rocsparse_index_base_b.kd
    .uniform_work_group_size: 1
    .uses_dynamic_stack: false
    .vgpr_count:     74
    .vgpr_spill_count: 0
    .wavefront_size: 32
  - .args:
      - .offset:         0
        .size:           4
        .value_kind:     by_value
      - .offset:         4
        .size:           4
        .value_kind:     by_value
      - .offset:         8
        .size:           8
        .value_kind:     by_value
      - .actual_access:  read_only
        .address_space:  global
        .offset:         16
        .size:           8
        .value_kind:     global_buffer
      - .actual_access:  read_only
        .address_space:  global
        .offset:         24
        .size:           8
        .value_kind:     global_buffer
      - .actual_access:  read_only
        .address_space:  global
        .offset:         32
        .size:           8
        .value_kind:     global_buffer
      - .actual_access:  read_only
        .address_space:  global
        .offset:         40
        .size:           8
        .value_kind:     global_buffer
      - .offset:         48
        .size:           8
        .value_kind:     by_value
      - .address_space:  global
        .offset:         56
        .size:           8
        .value_kind:     global_buffer
      - .offset:         64
        .size:           4
        .value_kind:     by_value
      - .offset:         68
        .size:           1
        .value_kind:     by_value
    .group_segment_fixed_size: 0
    .kernarg_segment_align: 8
    .kernarg_segment_size: 72
    .language:       OpenCL C
    .language_version:
      - 2
      - 0
    .max_flat_workgroup_size: 128
    .name:           _ZN9rocsparseL19gebsrmvn_2xn_kernelILj128ELj9ELj32EdEEvi20rocsparse_direction_NS_24const_host_device_scalarIT2_EEPKiS6_PKS3_S8_S4_PS3_21rocsparse_index_base_b
    .private_segment_fixed_size: 0
    .sgpr_count:     16
    .sgpr_spill_count: 0
    .symbol:         _ZN9rocsparseL19gebsrmvn_2xn_kernelILj128ELj9ELj32EdEEvi20rocsparse_direction_NS_24const_host_device_scalarIT2_EEPKiS6_PKS3_S8_S4_PS3_21rocsparse_index_base_b.kd
    .uniform_work_group_size: 1
    .uses_dynamic_stack: false
    .vgpr_count:     74
    .vgpr_spill_count: 0
    .wavefront_size: 32
  - .args:
      - .offset:         0
        .size:           4
        .value_kind:     by_value
      - .offset:         4
        .size:           4
        .value_kind:     by_value
      - .offset:         8
        .size:           8
        .value_kind:     by_value
      - .actual_access:  read_only
        .address_space:  global
        .offset:         16
        .size:           8
        .value_kind:     global_buffer
      - .actual_access:  read_only
        .address_space:  global
        .offset:         24
        .size:           8
        .value_kind:     global_buffer
      - .actual_access:  read_only
        .address_space:  global
        .offset:         32
        .size:           8
        .value_kind:     global_buffer
      - .actual_access:  read_only
        .address_space:  global
        .offset:         40
        .size:           8
        .value_kind:     global_buffer
      - .offset:         48
        .size:           8
        .value_kind:     by_value
      - .address_space:  global
        .offset:         56
        .size:           8
        .value_kind:     global_buffer
      - .offset:         64
        .size:           4
        .value_kind:     by_value
      - .offset:         68
        .size:           1
        .value_kind:     by_value
    .group_segment_fixed_size: 0
    .kernarg_segment_align: 8
    .kernarg_segment_size: 72
    .language:       OpenCL C
    .language_version:
      - 2
      - 0
    .max_flat_workgroup_size: 128
    .name:           _ZN9rocsparseL19gebsrmvn_2xn_kernelILj128ELj9ELj64EdEEvi20rocsparse_direction_NS_24const_host_device_scalarIT2_EEPKiS6_PKS3_S8_S4_PS3_21rocsparse_index_base_b
    .private_segment_fixed_size: 0
    .sgpr_count:     16
    .sgpr_spill_count: 0
    .symbol:         _ZN9rocsparseL19gebsrmvn_2xn_kernelILj128ELj9ELj64EdEEvi20rocsparse_direction_NS_24const_host_device_scalarIT2_EEPKiS6_PKS3_S8_S4_PS3_21rocsparse_index_base_b.kd
    .uniform_work_group_size: 1
    .uses_dynamic_stack: false
    .vgpr_count:     74
    .vgpr_spill_count: 0
    .wavefront_size: 32
  - .args:
      - .offset:         0
        .size:           4
        .value_kind:     by_value
      - .offset:         4
        .size:           4
        .value_kind:     by_value
      - .offset:         8
        .size:           8
        .value_kind:     by_value
      - .actual_access:  read_only
        .address_space:  global
        .offset:         16
        .size:           8
        .value_kind:     global_buffer
      - .actual_access:  read_only
        .address_space:  global
        .offset:         24
        .size:           8
        .value_kind:     global_buffer
      - .actual_access:  read_only
        .address_space:  global
        .offset:         32
        .size:           8
        .value_kind:     global_buffer
      - .actual_access:  read_only
        .address_space:  global
        .offset:         40
        .size:           8
        .value_kind:     global_buffer
      - .offset:         48
        .size:           8
        .value_kind:     by_value
      - .address_space:  global
        .offset:         56
        .size:           8
        .value_kind:     global_buffer
      - .offset:         64
        .size:           4
        .value_kind:     by_value
      - .offset:         68
        .size:           1
        .value_kind:     by_value
    .group_segment_fixed_size: 0
    .kernarg_segment_align: 8
    .kernarg_segment_size: 72
    .language:       OpenCL C
    .language_version:
      - 2
      - 0
    .max_flat_workgroup_size: 128
    .name:           _ZN9rocsparseL19gebsrmvn_2xn_kernelILj128ELj10ELj4EdEEvi20rocsparse_direction_NS_24const_host_device_scalarIT2_EEPKiS6_PKS3_S8_S4_PS3_21rocsparse_index_base_b
    .private_segment_fixed_size: 0
    .sgpr_count:     16
    .sgpr_spill_count: 0
    .symbol:         _ZN9rocsparseL19gebsrmvn_2xn_kernelILj128ELj10ELj4EdEEvi20rocsparse_direction_NS_24const_host_device_scalarIT2_EEPKiS6_PKS3_S8_S4_PS3_21rocsparse_index_base_b.kd
    .uniform_work_group_size: 1
    .uses_dynamic_stack: false
    .vgpr_count:     78
    .vgpr_spill_count: 0
    .wavefront_size: 32
  - .args:
      - .offset:         0
        .size:           4
        .value_kind:     by_value
      - .offset:         4
        .size:           4
        .value_kind:     by_value
      - .offset:         8
        .size:           8
        .value_kind:     by_value
      - .actual_access:  read_only
        .address_space:  global
        .offset:         16
        .size:           8
        .value_kind:     global_buffer
      - .actual_access:  read_only
        .address_space:  global
        .offset:         24
        .size:           8
        .value_kind:     global_buffer
      - .actual_access:  read_only
        .address_space:  global
        .offset:         32
        .size:           8
        .value_kind:     global_buffer
      - .actual_access:  read_only
        .address_space:  global
        .offset:         40
        .size:           8
        .value_kind:     global_buffer
      - .offset:         48
        .size:           8
        .value_kind:     by_value
      - .address_space:  global
        .offset:         56
        .size:           8
        .value_kind:     global_buffer
      - .offset:         64
        .size:           4
        .value_kind:     by_value
      - .offset:         68
        .size:           1
        .value_kind:     by_value
    .group_segment_fixed_size: 0
    .kernarg_segment_align: 8
    .kernarg_segment_size: 72
    .language:       OpenCL C
    .language_version:
      - 2
      - 0
    .max_flat_workgroup_size: 128
    .name:           _ZN9rocsparseL19gebsrmvn_2xn_kernelILj128ELj10ELj8EdEEvi20rocsparse_direction_NS_24const_host_device_scalarIT2_EEPKiS6_PKS3_S8_S4_PS3_21rocsparse_index_base_b
    .private_segment_fixed_size: 0
    .sgpr_count:     16
    .sgpr_spill_count: 0
    .symbol:         _ZN9rocsparseL19gebsrmvn_2xn_kernelILj128ELj10ELj8EdEEvi20rocsparse_direction_NS_24const_host_device_scalarIT2_EEPKiS6_PKS3_S8_S4_PS3_21rocsparse_index_base_b.kd
    .uniform_work_group_size: 1
    .uses_dynamic_stack: false
    .vgpr_count:     78
    .vgpr_spill_count: 0
    .wavefront_size: 32
  - .args:
      - .offset:         0
        .size:           4
        .value_kind:     by_value
      - .offset:         4
        .size:           4
        .value_kind:     by_value
      - .offset:         8
        .size:           8
        .value_kind:     by_value
      - .actual_access:  read_only
        .address_space:  global
        .offset:         16
        .size:           8
        .value_kind:     global_buffer
      - .actual_access:  read_only
        .address_space:  global
        .offset:         24
        .size:           8
        .value_kind:     global_buffer
      - .actual_access:  read_only
        .address_space:  global
        .offset:         32
        .size:           8
        .value_kind:     global_buffer
      - .actual_access:  read_only
        .address_space:  global
        .offset:         40
        .size:           8
        .value_kind:     global_buffer
      - .offset:         48
        .size:           8
        .value_kind:     by_value
      - .address_space:  global
        .offset:         56
        .size:           8
        .value_kind:     global_buffer
      - .offset:         64
        .size:           4
        .value_kind:     by_value
      - .offset:         68
        .size:           1
        .value_kind:     by_value
    .group_segment_fixed_size: 0
    .kernarg_segment_align: 8
    .kernarg_segment_size: 72
    .language:       OpenCL C
    .language_version:
      - 2
      - 0
    .max_flat_workgroup_size: 128
    .name:           _ZN9rocsparseL19gebsrmvn_2xn_kernelILj128ELj10ELj16EdEEvi20rocsparse_direction_NS_24const_host_device_scalarIT2_EEPKiS6_PKS3_S8_S4_PS3_21rocsparse_index_base_b
    .private_segment_fixed_size: 0
    .sgpr_count:     16
    .sgpr_spill_count: 0
    .symbol:         _ZN9rocsparseL19gebsrmvn_2xn_kernelILj128ELj10ELj16EdEEvi20rocsparse_direction_NS_24const_host_device_scalarIT2_EEPKiS6_PKS3_S8_S4_PS3_21rocsparse_index_base_b.kd
    .uniform_work_group_size: 1
    .uses_dynamic_stack: false
    .vgpr_count:     78
    .vgpr_spill_count: 0
    .wavefront_size: 32
  - .args:
      - .offset:         0
        .size:           4
        .value_kind:     by_value
      - .offset:         4
        .size:           4
        .value_kind:     by_value
      - .offset:         8
        .size:           8
        .value_kind:     by_value
      - .actual_access:  read_only
        .address_space:  global
        .offset:         16
        .size:           8
        .value_kind:     global_buffer
      - .actual_access:  read_only
        .address_space:  global
        .offset:         24
        .size:           8
        .value_kind:     global_buffer
      - .actual_access:  read_only
        .address_space:  global
        .offset:         32
        .size:           8
        .value_kind:     global_buffer
      - .actual_access:  read_only
        .address_space:  global
        .offset:         40
        .size:           8
        .value_kind:     global_buffer
      - .offset:         48
        .size:           8
        .value_kind:     by_value
      - .address_space:  global
        .offset:         56
        .size:           8
        .value_kind:     global_buffer
      - .offset:         64
        .size:           4
        .value_kind:     by_value
      - .offset:         68
        .size:           1
        .value_kind:     by_value
    .group_segment_fixed_size: 0
    .kernarg_segment_align: 8
    .kernarg_segment_size: 72
    .language:       OpenCL C
    .language_version:
      - 2
      - 0
    .max_flat_workgroup_size: 128
    .name:           _ZN9rocsparseL19gebsrmvn_2xn_kernelILj128ELj10ELj32EdEEvi20rocsparse_direction_NS_24const_host_device_scalarIT2_EEPKiS6_PKS3_S8_S4_PS3_21rocsparse_index_base_b
    .private_segment_fixed_size: 0
    .sgpr_count:     16
    .sgpr_spill_count: 0
    .symbol:         _ZN9rocsparseL19gebsrmvn_2xn_kernelILj128ELj10ELj32EdEEvi20rocsparse_direction_NS_24const_host_device_scalarIT2_EEPKiS6_PKS3_S8_S4_PS3_21rocsparse_index_base_b.kd
    .uniform_work_group_size: 1
    .uses_dynamic_stack: false
    .vgpr_count:     78
    .vgpr_spill_count: 0
    .wavefront_size: 32
  - .args:
      - .offset:         0
        .size:           4
        .value_kind:     by_value
      - .offset:         4
        .size:           4
        .value_kind:     by_value
      - .offset:         8
        .size:           8
        .value_kind:     by_value
      - .actual_access:  read_only
        .address_space:  global
        .offset:         16
        .size:           8
        .value_kind:     global_buffer
      - .actual_access:  read_only
        .address_space:  global
        .offset:         24
        .size:           8
        .value_kind:     global_buffer
      - .actual_access:  read_only
        .address_space:  global
        .offset:         32
        .size:           8
        .value_kind:     global_buffer
      - .actual_access:  read_only
        .address_space:  global
        .offset:         40
        .size:           8
        .value_kind:     global_buffer
      - .offset:         48
        .size:           8
        .value_kind:     by_value
      - .address_space:  global
        .offset:         56
        .size:           8
        .value_kind:     global_buffer
      - .offset:         64
        .size:           4
        .value_kind:     by_value
      - .offset:         68
        .size:           1
        .value_kind:     by_value
    .group_segment_fixed_size: 0
    .kernarg_segment_align: 8
    .kernarg_segment_size: 72
    .language:       OpenCL C
    .language_version:
      - 2
      - 0
    .max_flat_workgroup_size: 128
    .name:           _ZN9rocsparseL19gebsrmvn_2xn_kernelILj128ELj10ELj64EdEEvi20rocsparse_direction_NS_24const_host_device_scalarIT2_EEPKiS6_PKS3_S8_S4_PS3_21rocsparse_index_base_b
    .private_segment_fixed_size: 0
    .sgpr_count:     16
    .sgpr_spill_count: 0
    .symbol:         _ZN9rocsparseL19gebsrmvn_2xn_kernelILj128ELj10ELj64EdEEvi20rocsparse_direction_NS_24const_host_device_scalarIT2_EEPKiS6_PKS3_S8_S4_PS3_21rocsparse_index_base_b.kd
    .uniform_work_group_size: 1
    .uses_dynamic_stack: false
    .vgpr_count:     78
    .vgpr_spill_count: 0
    .wavefront_size: 32
  - .args:
      - .offset:         0
        .size:           4
        .value_kind:     by_value
      - .offset:         4
        .size:           4
        .value_kind:     by_value
      - .offset:         8
        .size:           8
        .value_kind:     by_value
      - .actual_access:  read_only
        .address_space:  global
        .offset:         16
        .size:           8
        .value_kind:     global_buffer
      - .actual_access:  read_only
        .address_space:  global
        .offset:         24
        .size:           8
        .value_kind:     global_buffer
      - .actual_access:  read_only
        .address_space:  global
        .offset:         32
        .size:           8
        .value_kind:     global_buffer
      - .actual_access:  read_only
        .address_space:  global
        .offset:         40
        .size:           8
        .value_kind:     global_buffer
      - .offset:         48
        .size:           8
        .value_kind:     by_value
      - .address_space:  global
        .offset:         56
        .size:           8
        .value_kind:     global_buffer
      - .offset:         64
        .size:           4
        .value_kind:     by_value
      - .offset:         68
        .size:           1
        .value_kind:     by_value
    .group_segment_fixed_size: 0
    .kernarg_segment_align: 8
    .kernarg_segment_size: 72
    .language:       OpenCL C
    .language_version:
      - 2
      - 0
    .max_flat_workgroup_size: 128
    .name:           _ZN9rocsparseL19gebsrmvn_2xn_kernelILj128ELj11ELj4EdEEvi20rocsparse_direction_NS_24const_host_device_scalarIT2_EEPKiS6_PKS3_S8_S4_PS3_21rocsparse_index_base_b
    .private_segment_fixed_size: 0
    .sgpr_count:     16
    .sgpr_spill_count: 0
    .symbol:         _ZN9rocsparseL19gebsrmvn_2xn_kernelILj128ELj11ELj4EdEEvi20rocsparse_direction_NS_24const_host_device_scalarIT2_EEPKiS6_PKS3_S8_S4_PS3_21rocsparse_index_base_b.kd
    .uniform_work_group_size: 1
    .uses_dynamic_stack: false
    .vgpr_count:     86
    .vgpr_spill_count: 0
    .wavefront_size: 32
  - .args:
      - .offset:         0
        .size:           4
        .value_kind:     by_value
      - .offset:         4
        .size:           4
        .value_kind:     by_value
      - .offset:         8
        .size:           8
        .value_kind:     by_value
      - .actual_access:  read_only
        .address_space:  global
        .offset:         16
        .size:           8
        .value_kind:     global_buffer
      - .actual_access:  read_only
        .address_space:  global
        .offset:         24
        .size:           8
        .value_kind:     global_buffer
      - .actual_access:  read_only
        .address_space:  global
        .offset:         32
        .size:           8
        .value_kind:     global_buffer
      - .actual_access:  read_only
        .address_space:  global
        .offset:         40
        .size:           8
        .value_kind:     global_buffer
      - .offset:         48
        .size:           8
        .value_kind:     by_value
      - .address_space:  global
        .offset:         56
        .size:           8
        .value_kind:     global_buffer
      - .offset:         64
        .size:           4
        .value_kind:     by_value
      - .offset:         68
        .size:           1
        .value_kind:     by_value
    .group_segment_fixed_size: 0
    .kernarg_segment_align: 8
    .kernarg_segment_size: 72
    .language:       OpenCL C
    .language_version:
      - 2
      - 0
    .max_flat_workgroup_size: 128
    .name:           _ZN9rocsparseL19gebsrmvn_2xn_kernelILj128ELj11ELj8EdEEvi20rocsparse_direction_NS_24const_host_device_scalarIT2_EEPKiS6_PKS3_S8_S4_PS3_21rocsparse_index_base_b
    .private_segment_fixed_size: 0
    .sgpr_count:     16
    .sgpr_spill_count: 0
    .symbol:         _ZN9rocsparseL19gebsrmvn_2xn_kernelILj128ELj11ELj8EdEEvi20rocsparse_direction_NS_24const_host_device_scalarIT2_EEPKiS6_PKS3_S8_S4_PS3_21rocsparse_index_base_b.kd
    .uniform_work_group_size: 1
    .uses_dynamic_stack: false
    .vgpr_count:     86
    .vgpr_spill_count: 0
    .wavefront_size: 32
  - .args:
      - .offset:         0
        .size:           4
        .value_kind:     by_value
      - .offset:         4
        .size:           4
        .value_kind:     by_value
      - .offset:         8
        .size:           8
        .value_kind:     by_value
      - .actual_access:  read_only
        .address_space:  global
        .offset:         16
        .size:           8
        .value_kind:     global_buffer
      - .actual_access:  read_only
        .address_space:  global
        .offset:         24
        .size:           8
        .value_kind:     global_buffer
      - .actual_access:  read_only
        .address_space:  global
        .offset:         32
        .size:           8
        .value_kind:     global_buffer
      - .actual_access:  read_only
        .address_space:  global
        .offset:         40
        .size:           8
        .value_kind:     global_buffer
      - .offset:         48
        .size:           8
        .value_kind:     by_value
      - .address_space:  global
        .offset:         56
        .size:           8
        .value_kind:     global_buffer
      - .offset:         64
        .size:           4
        .value_kind:     by_value
      - .offset:         68
        .size:           1
        .value_kind:     by_value
    .group_segment_fixed_size: 0
    .kernarg_segment_align: 8
    .kernarg_segment_size: 72
    .language:       OpenCL C
    .language_version:
      - 2
      - 0
    .max_flat_workgroup_size: 128
    .name:           _ZN9rocsparseL19gebsrmvn_2xn_kernelILj128ELj11ELj16EdEEvi20rocsparse_direction_NS_24const_host_device_scalarIT2_EEPKiS6_PKS3_S8_S4_PS3_21rocsparse_index_base_b
    .private_segment_fixed_size: 0
    .sgpr_count:     16
    .sgpr_spill_count: 0
    .symbol:         _ZN9rocsparseL19gebsrmvn_2xn_kernelILj128ELj11ELj16EdEEvi20rocsparse_direction_NS_24const_host_device_scalarIT2_EEPKiS6_PKS3_S8_S4_PS3_21rocsparse_index_base_b.kd
    .uniform_work_group_size: 1
    .uses_dynamic_stack: false
    .vgpr_count:     86
    .vgpr_spill_count: 0
    .wavefront_size: 32
  - .args:
      - .offset:         0
        .size:           4
        .value_kind:     by_value
      - .offset:         4
        .size:           4
        .value_kind:     by_value
      - .offset:         8
        .size:           8
        .value_kind:     by_value
      - .actual_access:  read_only
        .address_space:  global
        .offset:         16
        .size:           8
        .value_kind:     global_buffer
      - .actual_access:  read_only
        .address_space:  global
        .offset:         24
        .size:           8
        .value_kind:     global_buffer
      - .actual_access:  read_only
        .address_space:  global
        .offset:         32
        .size:           8
        .value_kind:     global_buffer
      - .actual_access:  read_only
        .address_space:  global
        .offset:         40
        .size:           8
        .value_kind:     global_buffer
      - .offset:         48
        .size:           8
        .value_kind:     by_value
      - .address_space:  global
        .offset:         56
        .size:           8
        .value_kind:     global_buffer
      - .offset:         64
        .size:           4
        .value_kind:     by_value
      - .offset:         68
        .size:           1
        .value_kind:     by_value
    .group_segment_fixed_size: 0
    .kernarg_segment_align: 8
    .kernarg_segment_size: 72
    .language:       OpenCL C
    .language_version:
      - 2
      - 0
    .max_flat_workgroup_size: 128
    .name:           _ZN9rocsparseL19gebsrmvn_2xn_kernelILj128ELj11ELj32EdEEvi20rocsparse_direction_NS_24const_host_device_scalarIT2_EEPKiS6_PKS3_S8_S4_PS3_21rocsparse_index_base_b
    .private_segment_fixed_size: 0
    .sgpr_count:     16
    .sgpr_spill_count: 0
    .symbol:         _ZN9rocsparseL19gebsrmvn_2xn_kernelILj128ELj11ELj32EdEEvi20rocsparse_direction_NS_24const_host_device_scalarIT2_EEPKiS6_PKS3_S8_S4_PS3_21rocsparse_index_base_b.kd
    .uniform_work_group_size: 1
    .uses_dynamic_stack: false
    .vgpr_count:     86
    .vgpr_spill_count: 0
    .wavefront_size: 32
  - .args:
      - .offset:         0
        .size:           4
        .value_kind:     by_value
      - .offset:         4
        .size:           4
        .value_kind:     by_value
      - .offset:         8
        .size:           8
        .value_kind:     by_value
      - .actual_access:  read_only
        .address_space:  global
        .offset:         16
        .size:           8
        .value_kind:     global_buffer
      - .actual_access:  read_only
        .address_space:  global
        .offset:         24
        .size:           8
        .value_kind:     global_buffer
      - .actual_access:  read_only
        .address_space:  global
        .offset:         32
        .size:           8
        .value_kind:     global_buffer
      - .actual_access:  read_only
        .address_space:  global
        .offset:         40
        .size:           8
        .value_kind:     global_buffer
      - .offset:         48
        .size:           8
        .value_kind:     by_value
      - .address_space:  global
        .offset:         56
        .size:           8
        .value_kind:     global_buffer
      - .offset:         64
        .size:           4
        .value_kind:     by_value
      - .offset:         68
        .size:           1
        .value_kind:     by_value
    .group_segment_fixed_size: 0
    .kernarg_segment_align: 8
    .kernarg_segment_size: 72
    .language:       OpenCL C
    .language_version:
      - 2
      - 0
    .max_flat_workgroup_size: 128
    .name:           _ZN9rocsparseL19gebsrmvn_2xn_kernelILj128ELj11ELj64EdEEvi20rocsparse_direction_NS_24const_host_device_scalarIT2_EEPKiS6_PKS3_S8_S4_PS3_21rocsparse_index_base_b
    .private_segment_fixed_size: 0
    .sgpr_count:     16
    .sgpr_spill_count: 0
    .symbol:         _ZN9rocsparseL19gebsrmvn_2xn_kernelILj128ELj11ELj64EdEEvi20rocsparse_direction_NS_24const_host_device_scalarIT2_EEPKiS6_PKS3_S8_S4_PS3_21rocsparse_index_base_b.kd
    .uniform_work_group_size: 1
    .uses_dynamic_stack: false
    .vgpr_count:     86
    .vgpr_spill_count: 0
    .wavefront_size: 32
  - .args:
      - .offset:         0
        .size:           4
        .value_kind:     by_value
      - .offset:         4
        .size:           4
        .value_kind:     by_value
      - .offset:         8
        .size:           8
        .value_kind:     by_value
      - .actual_access:  read_only
        .address_space:  global
        .offset:         16
        .size:           8
        .value_kind:     global_buffer
      - .actual_access:  read_only
        .address_space:  global
        .offset:         24
        .size:           8
        .value_kind:     global_buffer
      - .actual_access:  read_only
        .address_space:  global
        .offset:         32
        .size:           8
        .value_kind:     global_buffer
      - .actual_access:  read_only
        .address_space:  global
        .offset:         40
        .size:           8
        .value_kind:     global_buffer
      - .offset:         48
        .size:           8
        .value_kind:     by_value
      - .address_space:  global
        .offset:         56
        .size:           8
        .value_kind:     global_buffer
      - .offset:         64
        .size:           4
        .value_kind:     by_value
      - .offset:         68
        .size:           1
        .value_kind:     by_value
    .group_segment_fixed_size: 0
    .kernarg_segment_align: 8
    .kernarg_segment_size: 72
    .language:       OpenCL C
    .language_version:
      - 2
      - 0
    .max_flat_workgroup_size: 128
    .name:           _ZN9rocsparseL19gebsrmvn_2xn_kernelILj128ELj12ELj4EdEEvi20rocsparse_direction_NS_24const_host_device_scalarIT2_EEPKiS6_PKS3_S8_S4_PS3_21rocsparse_index_base_b
    .private_segment_fixed_size: 0
    .sgpr_count:     16
    .sgpr_spill_count: 0
    .symbol:         _ZN9rocsparseL19gebsrmvn_2xn_kernelILj128ELj12ELj4EdEEvi20rocsparse_direction_NS_24const_host_device_scalarIT2_EEPKiS6_PKS3_S8_S4_PS3_21rocsparse_index_base_b.kd
    .uniform_work_group_size: 1
    .uses_dynamic_stack: false
    .vgpr_count:     90
    .vgpr_spill_count: 0
    .wavefront_size: 32
  - .args:
      - .offset:         0
        .size:           4
        .value_kind:     by_value
      - .offset:         4
        .size:           4
        .value_kind:     by_value
      - .offset:         8
        .size:           8
        .value_kind:     by_value
      - .actual_access:  read_only
        .address_space:  global
        .offset:         16
        .size:           8
        .value_kind:     global_buffer
      - .actual_access:  read_only
        .address_space:  global
        .offset:         24
        .size:           8
        .value_kind:     global_buffer
      - .actual_access:  read_only
        .address_space:  global
        .offset:         32
        .size:           8
        .value_kind:     global_buffer
      - .actual_access:  read_only
        .address_space:  global
        .offset:         40
        .size:           8
        .value_kind:     global_buffer
      - .offset:         48
        .size:           8
        .value_kind:     by_value
      - .address_space:  global
        .offset:         56
        .size:           8
        .value_kind:     global_buffer
      - .offset:         64
        .size:           4
        .value_kind:     by_value
      - .offset:         68
        .size:           1
        .value_kind:     by_value
    .group_segment_fixed_size: 0
    .kernarg_segment_align: 8
    .kernarg_segment_size: 72
    .language:       OpenCL C
    .language_version:
      - 2
      - 0
    .max_flat_workgroup_size: 128
    .name:           _ZN9rocsparseL19gebsrmvn_2xn_kernelILj128ELj12ELj8EdEEvi20rocsparse_direction_NS_24const_host_device_scalarIT2_EEPKiS6_PKS3_S8_S4_PS3_21rocsparse_index_base_b
    .private_segment_fixed_size: 0
    .sgpr_count:     16
    .sgpr_spill_count: 0
    .symbol:         _ZN9rocsparseL19gebsrmvn_2xn_kernelILj128ELj12ELj8EdEEvi20rocsparse_direction_NS_24const_host_device_scalarIT2_EEPKiS6_PKS3_S8_S4_PS3_21rocsparse_index_base_b.kd
    .uniform_work_group_size: 1
    .uses_dynamic_stack: false
    .vgpr_count:     90
    .vgpr_spill_count: 0
    .wavefront_size: 32
  - .args:
      - .offset:         0
        .size:           4
        .value_kind:     by_value
      - .offset:         4
        .size:           4
        .value_kind:     by_value
      - .offset:         8
        .size:           8
        .value_kind:     by_value
      - .actual_access:  read_only
        .address_space:  global
        .offset:         16
        .size:           8
        .value_kind:     global_buffer
      - .actual_access:  read_only
        .address_space:  global
        .offset:         24
        .size:           8
        .value_kind:     global_buffer
      - .actual_access:  read_only
        .address_space:  global
        .offset:         32
        .size:           8
        .value_kind:     global_buffer
      - .actual_access:  read_only
        .address_space:  global
        .offset:         40
        .size:           8
        .value_kind:     global_buffer
      - .offset:         48
        .size:           8
        .value_kind:     by_value
      - .address_space:  global
        .offset:         56
        .size:           8
        .value_kind:     global_buffer
      - .offset:         64
        .size:           4
        .value_kind:     by_value
      - .offset:         68
        .size:           1
        .value_kind:     by_value
    .group_segment_fixed_size: 0
    .kernarg_segment_align: 8
    .kernarg_segment_size: 72
    .language:       OpenCL C
    .language_version:
      - 2
      - 0
    .max_flat_workgroup_size: 128
    .name:           _ZN9rocsparseL19gebsrmvn_2xn_kernelILj128ELj12ELj16EdEEvi20rocsparse_direction_NS_24const_host_device_scalarIT2_EEPKiS6_PKS3_S8_S4_PS3_21rocsparse_index_base_b
    .private_segment_fixed_size: 0
    .sgpr_count:     16
    .sgpr_spill_count: 0
    .symbol:         _ZN9rocsparseL19gebsrmvn_2xn_kernelILj128ELj12ELj16EdEEvi20rocsparse_direction_NS_24const_host_device_scalarIT2_EEPKiS6_PKS3_S8_S4_PS3_21rocsparse_index_base_b.kd
    .uniform_work_group_size: 1
    .uses_dynamic_stack: false
    .vgpr_count:     90
    .vgpr_spill_count: 0
    .wavefront_size: 32
  - .args:
      - .offset:         0
        .size:           4
        .value_kind:     by_value
      - .offset:         4
        .size:           4
        .value_kind:     by_value
      - .offset:         8
        .size:           8
        .value_kind:     by_value
      - .actual_access:  read_only
        .address_space:  global
        .offset:         16
        .size:           8
        .value_kind:     global_buffer
      - .actual_access:  read_only
        .address_space:  global
        .offset:         24
        .size:           8
        .value_kind:     global_buffer
      - .actual_access:  read_only
        .address_space:  global
        .offset:         32
        .size:           8
        .value_kind:     global_buffer
      - .actual_access:  read_only
        .address_space:  global
        .offset:         40
        .size:           8
        .value_kind:     global_buffer
      - .offset:         48
        .size:           8
        .value_kind:     by_value
      - .address_space:  global
        .offset:         56
        .size:           8
        .value_kind:     global_buffer
      - .offset:         64
        .size:           4
        .value_kind:     by_value
      - .offset:         68
        .size:           1
        .value_kind:     by_value
    .group_segment_fixed_size: 0
    .kernarg_segment_align: 8
    .kernarg_segment_size: 72
    .language:       OpenCL C
    .language_version:
      - 2
      - 0
    .max_flat_workgroup_size: 128
    .name:           _ZN9rocsparseL19gebsrmvn_2xn_kernelILj128ELj12ELj32EdEEvi20rocsparse_direction_NS_24const_host_device_scalarIT2_EEPKiS6_PKS3_S8_S4_PS3_21rocsparse_index_base_b
    .private_segment_fixed_size: 0
    .sgpr_count:     16
    .sgpr_spill_count: 0
    .symbol:         _ZN9rocsparseL19gebsrmvn_2xn_kernelILj128ELj12ELj32EdEEvi20rocsparse_direction_NS_24const_host_device_scalarIT2_EEPKiS6_PKS3_S8_S4_PS3_21rocsparse_index_base_b.kd
    .uniform_work_group_size: 1
    .uses_dynamic_stack: false
    .vgpr_count:     90
    .vgpr_spill_count: 0
    .wavefront_size: 32
  - .args:
      - .offset:         0
        .size:           4
        .value_kind:     by_value
      - .offset:         4
        .size:           4
        .value_kind:     by_value
      - .offset:         8
        .size:           8
        .value_kind:     by_value
      - .actual_access:  read_only
        .address_space:  global
        .offset:         16
        .size:           8
        .value_kind:     global_buffer
      - .actual_access:  read_only
        .address_space:  global
        .offset:         24
        .size:           8
        .value_kind:     global_buffer
      - .actual_access:  read_only
        .address_space:  global
        .offset:         32
        .size:           8
        .value_kind:     global_buffer
      - .actual_access:  read_only
        .address_space:  global
        .offset:         40
        .size:           8
        .value_kind:     global_buffer
      - .offset:         48
        .size:           8
        .value_kind:     by_value
      - .address_space:  global
        .offset:         56
        .size:           8
        .value_kind:     global_buffer
      - .offset:         64
        .size:           4
        .value_kind:     by_value
      - .offset:         68
        .size:           1
        .value_kind:     by_value
    .group_segment_fixed_size: 0
    .kernarg_segment_align: 8
    .kernarg_segment_size: 72
    .language:       OpenCL C
    .language_version:
      - 2
      - 0
    .max_flat_workgroup_size: 128
    .name:           _ZN9rocsparseL19gebsrmvn_2xn_kernelILj128ELj12ELj64EdEEvi20rocsparse_direction_NS_24const_host_device_scalarIT2_EEPKiS6_PKS3_S8_S4_PS3_21rocsparse_index_base_b
    .private_segment_fixed_size: 0
    .sgpr_count:     16
    .sgpr_spill_count: 0
    .symbol:         _ZN9rocsparseL19gebsrmvn_2xn_kernelILj128ELj12ELj64EdEEvi20rocsparse_direction_NS_24const_host_device_scalarIT2_EEPKiS6_PKS3_S8_S4_PS3_21rocsparse_index_base_b.kd
    .uniform_work_group_size: 1
    .uses_dynamic_stack: false
    .vgpr_count:     90
    .vgpr_spill_count: 0
    .wavefront_size: 32
  - .args:
      - .offset:         0
        .size:           4
        .value_kind:     by_value
      - .offset:         4
        .size:           4
        .value_kind:     by_value
      - .offset:         8
        .size:           8
        .value_kind:     by_value
      - .actual_access:  read_only
        .address_space:  global
        .offset:         16
        .size:           8
        .value_kind:     global_buffer
      - .actual_access:  read_only
        .address_space:  global
        .offset:         24
        .size:           8
        .value_kind:     global_buffer
      - .actual_access:  read_only
        .address_space:  global
        .offset:         32
        .size:           8
        .value_kind:     global_buffer
      - .actual_access:  read_only
        .address_space:  global
        .offset:         40
        .size:           8
        .value_kind:     global_buffer
      - .offset:         48
        .size:           8
        .value_kind:     by_value
      - .address_space:  global
        .offset:         56
        .size:           8
        .value_kind:     global_buffer
      - .offset:         64
        .size:           4
        .value_kind:     by_value
      - .offset:         68
        .size:           1
        .value_kind:     by_value
    .group_segment_fixed_size: 0
    .kernarg_segment_align: 8
    .kernarg_segment_size: 72
    .language:       OpenCL C
    .language_version:
      - 2
      - 0
    .max_flat_workgroup_size: 128
    .name:           _ZN9rocsparseL19gebsrmvn_2xn_kernelILj128ELj13ELj4EdEEvi20rocsparse_direction_NS_24const_host_device_scalarIT2_EEPKiS6_PKS3_S8_S4_PS3_21rocsparse_index_base_b
    .private_segment_fixed_size: 0
    .sgpr_count:     16
    .sgpr_spill_count: 0
    .symbol:         _ZN9rocsparseL19gebsrmvn_2xn_kernelILj128ELj13ELj4EdEEvi20rocsparse_direction_NS_24const_host_device_scalarIT2_EEPKiS6_PKS3_S8_S4_PS3_21rocsparse_index_base_b.kd
    .uniform_work_group_size: 1
    .uses_dynamic_stack: false
    .vgpr_count:     86
    .vgpr_spill_count: 0
    .wavefront_size: 32
  - .args:
      - .offset:         0
        .size:           4
        .value_kind:     by_value
      - .offset:         4
        .size:           4
        .value_kind:     by_value
      - .offset:         8
        .size:           8
        .value_kind:     by_value
      - .actual_access:  read_only
        .address_space:  global
        .offset:         16
        .size:           8
        .value_kind:     global_buffer
      - .actual_access:  read_only
        .address_space:  global
        .offset:         24
        .size:           8
        .value_kind:     global_buffer
      - .actual_access:  read_only
        .address_space:  global
        .offset:         32
        .size:           8
        .value_kind:     global_buffer
      - .actual_access:  read_only
        .address_space:  global
        .offset:         40
        .size:           8
        .value_kind:     global_buffer
      - .offset:         48
        .size:           8
        .value_kind:     by_value
      - .address_space:  global
        .offset:         56
        .size:           8
        .value_kind:     global_buffer
      - .offset:         64
        .size:           4
        .value_kind:     by_value
      - .offset:         68
        .size:           1
        .value_kind:     by_value
    .group_segment_fixed_size: 0
    .kernarg_segment_align: 8
    .kernarg_segment_size: 72
    .language:       OpenCL C
    .language_version:
      - 2
      - 0
    .max_flat_workgroup_size: 128
    .name:           _ZN9rocsparseL19gebsrmvn_2xn_kernelILj128ELj13ELj8EdEEvi20rocsparse_direction_NS_24const_host_device_scalarIT2_EEPKiS6_PKS3_S8_S4_PS3_21rocsparse_index_base_b
    .private_segment_fixed_size: 0
    .sgpr_count:     16
    .sgpr_spill_count: 0
    .symbol:         _ZN9rocsparseL19gebsrmvn_2xn_kernelILj128ELj13ELj8EdEEvi20rocsparse_direction_NS_24const_host_device_scalarIT2_EEPKiS6_PKS3_S8_S4_PS3_21rocsparse_index_base_b.kd
    .uniform_work_group_size: 1
    .uses_dynamic_stack: false
    .vgpr_count:     86
    .vgpr_spill_count: 0
    .wavefront_size: 32
  - .args:
      - .offset:         0
        .size:           4
        .value_kind:     by_value
      - .offset:         4
        .size:           4
        .value_kind:     by_value
      - .offset:         8
        .size:           8
        .value_kind:     by_value
      - .actual_access:  read_only
        .address_space:  global
        .offset:         16
        .size:           8
        .value_kind:     global_buffer
      - .actual_access:  read_only
        .address_space:  global
        .offset:         24
        .size:           8
        .value_kind:     global_buffer
      - .actual_access:  read_only
        .address_space:  global
        .offset:         32
        .size:           8
        .value_kind:     global_buffer
      - .actual_access:  read_only
        .address_space:  global
        .offset:         40
        .size:           8
        .value_kind:     global_buffer
      - .offset:         48
        .size:           8
        .value_kind:     by_value
      - .address_space:  global
        .offset:         56
        .size:           8
        .value_kind:     global_buffer
      - .offset:         64
        .size:           4
        .value_kind:     by_value
      - .offset:         68
        .size:           1
        .value_kind:     by_value
    .group_segment_fixed_size: 0
    .kernarg_segment_align: 8
    .kernarg_segment_size: 72
    .language:       OpenCL C
    .language_version:
      - 2
      - 0
    .max_flat_workgroup_size: 128
    .name:           _ZN9rocsparseL19gebsrmvn_2xn_kernelILj128ELj13ELj16EdEEvi20rocsparse_direction_NS_24const_host_device_scalarIT2_EEPKiS6_PKS3_S8_S4_PS3_21rocsparse_index_base_b
    .private_segment_fixed_size: 0
    .sgpr_count:     16
    .sgpr_spill_count: 0
    .symbol:         _ZN9rocsparseL19gebsrmvn_2xn_kernelILj128ELj13ELj16EdEEvi20rocsparse_direction_NS_24const_host_device_scalarIT2_EEPKiS6_PKS3_S8_S4_PS3_21rocsparse_index_base_b.kd
    .uniform_work_group_size: 1
    .uses_dynamic_stack: false
    .vgpr_count:     86
    .vgpr_spill_count: 0
    .wavefront_size: 32
  - .args:
      - .offset:         0
        .size:           4
        .value_kind:     by_value
      - .offset:         4
        .size:           4
        .value_kind:     by_value
      - .offset:         8
        .size:           8
        .value_kind:     by_value
      - .actual_access:  read_only
        .address_space:  global
        .offset:         16
        .size:           8
        .value_kind:     global_buffer
      - .actual_access:  read_only
        .address_space:  global
        .offset:         24
        .size:           8
        .value_kind:     global_buffer
      - .actual_access:  read_only
        .address_space:  global
        .offset:         32
        .size:           8
        .value_kind:     global_buffer
      - .actual_access:  read_only
        .address_space:  global
        .offset:         40
        .size:           8
        .value_kind:     global_buffer
      - .offset:         48
        .size:           8
        .value_kind:     by_value
      - .address_space:  global
        .offset:         56
        .size:           8
        .value_kind:     global_buffer
      - .offset:         64
        .size:           4
        .value_kind:     by_value
      - .offset:         68
        .size:           1
        .value_kind:     by_value
    .group_segment_fixed_size: 0
    .kernarg_segment_align: 8
    .kernarg_segment_size: 72
    .language:       OpenCL C
    .language_version:
      - 2
      - 0
    .max_flat_workgroup_size: 128
    .name:           _ZN9rocsparseL19gebsrmvn_2xn_kernelILj128ELj13ELj32EdEEvi20rocsparse_direction_NS_24const_host_device_scalarIT2_EEPKiS6_PKS3_S8_S4_PS3_21rocsparse_index_base_b
    .private_segment_fixed_size: 0
    .sgpr_count:     16
    .sgpr_spill_count: 0
    .symbol:         _ZN9rocsparseL19gebsrmvn_2xn_kernelILj128ELj13ELj32EdEEvi20rocsparse_direction_NS_24const_host_device_scalarIT2_EEPKiS6_PKS3_S8_S4_PS3_21rocsparse_index_base_b.kd
    .uniform_work_group_size: 1
    .uses_dynamic_stack: false
    .vgpr_count:     86
    .vgpr_spill_count: 0
    .wavefront_size: 32
  - .args:
      - .offset:         0
        .size:           4
        .value_kind:     by_value
      - .offset:         4
        .size:           4
        .value_kind:     by_value
      - .offset:         8
        .size:           8
        .value_kind:     by_value
      - .actual_access:  read_only
        .address_space:  global
        .offset:         16
        .size:           8
        .value_kind:     global_buffer
      - .actual_access:  read_only
        .address_space:  global
        .offset:         24
        .size:           8
        .value_kind:     global_buffer
      - .actual_access:  read_only
        .address_space:  global
        .offset:         32
        .size:           8
        .value_kind:     global_buffer
      - .actual_access:  read_only
        .address_space:  global
        .offset:         40
        .size:           8
        .value_kind:     global_buffer
      - .offset:         48
        .size:           8
        .value_kind:     by_value
      - .address_space:  global
        .offset:         56
        .size:           8
        .value_kind:     global_buffer
      - .offset:         64
        .size:           4
        .value_kind:     by_value
      - .offset:         68
        .size:           1
        .value_kind:     by_value
    .group_segment_fixed_size: 0
    .kernarg_segment_align: 8
    .kernarg_segment_size: 72
    .language:       OpenCL C
    .language_version:
      - 2
      - 0
    .max_flat_workgroup_size: 128
    .name:           _ZN9rocsparseL19gebsrmvn_2xn_kernelILj128ELj13ELj64EdEEvi20rocsparse_direction_NS_24const_host_device_scalarIT2_EEPKiS6_PKS3_S8_S4_PS3_21rocsparse_index_base_b
    .private_segment_fixed_size: 0
    .sgpr_count:     16
    .sgpr_spill_count: 0
    .symbol:         _ZN9rocsparseL19gebsrmvn_2xn_kernelILj128ELj13ELj64EdEEvi20rocsparse_direction_NS_24const_host_device_scalarIT2_EEPKiS6_PKS3_S8_S4_PS3_21rocsparse_index_base_b.kd
    .uniform_work_group_size: 1
    .uses_dynamic_stack: false
    .vgpr_count:     86
    .vgpr_spill_count: 0
    .wavefront_size: 32
  - .args:
      - .offset:         0
        .size:           4
        .value_kind:     by_value
      - .offset:         4
        .size:           4
        .value_kind:     by_value
      - .offset:         8
        .size:           8
        .value_kind:     by_value
      - .actual_access:  read_only
        .address_space:  global
        .offset:         16
        .size:           8
        .value_kind:     global_buffer
      - .actual_access:  read_only
        .address_space:  global
        .offset:         24
        .size:           8
        .value_kind:     global_buffer
      - .actual_access:  read_only
        .address_space:  global
        .offset:         32
        .size:           8
        .value_kind:     global_buffer
      - .actual_access:  read_only
        .address_space:  global
        .offset:         40
        .size:           8
        .value_kind:     global_buffer
      - .offset:         48
        .size:           8
        .value_kind:     by_value
      - .address_space:  global
        .offset:         56
        .size:           8
        .value_kind:     global_buffer
      - .offset:         64
        .size:           4
        .value_kind:     by_value
      - .offset:         68
        .size:           1
        .value_kind:     by_value
    .group_segment_fixed_size: 0
    .kernarg_segment_align: 8
    .kernarg_segment_size: 72
    .language:       OpenCL C
    .language_version:
      - 2
      - 0
    .max_flat_workgroup_size: 128
    .name:           _ZN9rocsparseL19gebsrmvn_2xn_kernelILj128ELj14ELj4EdEEvi20rocsparse_direction_NS_24const_host_device_scalarIT2_EEPKiS6_PKS3_S8_S4_PS3_21rocsparse_index_base_b
    .private_segment_fixed_size: 0
    .sgpr_count:     16
    .sgpr_spill_count: 0
    .symbol:         _ZN9rocsparseL19gebsrmvn_2xn_kernelILj128ELj14ELj4EdEEvi20rocsparse_direction_NS_24const_host_device_scalarIT2_EEPKiS6_PKS3_S8_S4_PS3_21rocsparse_index_base_b.kd
    .uniform_work_group_size: 1
    .uses_dynamic_stack: false
    .vgpr_count:     92
    .vgpr_spill_count: 0
    .wavefront_size: 32
  - .args:
      - .offset:         0
        .size:           4
        .value_kind:     by_value
      - .offset:         4
        .size:           4
        .value_kind:     by_value
      - .offset:         8
        .size:           8
        .value_kind:     by_value
      - .actual_access:  read_only
        .address_space:  global
        .offset:         16
        .size:           8
        .value_kind:     global_buffer
      - .actual_access:  read_only
        .address_space:  global
        .offset:         24
        .size:           8
        .value_kind:     global_buffer
      - .actual_access:  read_only
        .address_space:  global
        .offset:         32
        .size:           8
        .value_kind:     global_buffer
      - .actual_access:  read_only
        .address_space:  global
        .offset:         40
        .size:           8
        .value_kind:     global_buffer
      - .offset:         48
        .size:           8
        .value_kind:     by_value
      - .address_space:  global
        .offset:         56
        .size:           8
        .value_kind:     global_buffer
      - .offset:         64
        .size:           4
        .value_kind:     by_value
      - .offset:         68
        .size:           1
        .value_kind:     by_value
    .group_segment_fixed_size: 0
    .kernarg_segment_align: 8
    .kernarg_segment_size: 72
    .language:       OpenCL C
    .language_version:
      - 2
      - 0
    .max_flat_workgroup_size: 128
    .name:           _ZN9rocsparseL19gebsrmvn_2xn_kernelILj128ELj14ELj8EdEEvi20rocsparse_direction_NS_24const_host_device_scalarIT2_EEPKiS6_PKS3_S8_S4_PS3_21rocsparse_index_base_b
    .private_segment_fixed_size: 0
    .sgpr_count:     16
    .sgpr_spill_count: 0
    .symbol:         _ZN9rocsparseL19gebsrmvn_2xn_kernelILj128ELj14ELj8EdEEvi20rocsparse_direction_NS_24const_host_device_scalarIT2_EEPKiS6_PKS3_S8_S4_PS3_21rocsparse_index_base_b.kd
    .uniform_work_group_size: 1
    .uses_dynamic_stack: false
    .vgpr_count:     92
    .vgpr_spill_count: 0
    .wavefront_size: 32
  - .args:
      - .offset:         0
        .size:           4
        .value_kind:     by_value
      - .offset:         4
        .size:           4
        .value_kind:     by_value
      - .offset:         8
        .size:           8
        .value_kind:     by_value
      - .actual_access:  read_only
        .address_space:  global
        .offset:         16
        .size:           8
        .value_kind:     global_buffer
      - .actual_access:  read_only
        .address_space:  global
        .offset:         24
        .size:           8
        .value_kind:     global_buffer
      - .actual_access:  read_only
        .address_space:  global
        .offset:         32
        .size:           8
        .value_kind:     global_buffer
      - .actual_access:  read_only
        .address_space:  global
        .offset:         40
        .size:           8
        .value_kind:     global_buffer
      - .offset:         48
        .size:           8
        .value_kind:     by_value
      - .address_space:  global
        .offset:         56
        .size:           8
        .value_kind:     global_buffer
      - .offset:         64
        .size:           4
        .value_kind:     by_value
      - .offset:         68
        .size:           1
        .value_kind:     by_value
    .group_segment_fixed_size: 0
    .kernarg_segment_align: 8
    .kernarg_segment_size: 72
    .language:       OpenCL C
    .language_version:
      - 2
      - 0
    .max_flat_workgroup_size: 128
    .name:           _ZN9rocsparseL19gebsrmvn_2xn_kernelILj128ELj14ELj16EdEEvi20rocsparse_direction_NS_24const_host_device_scalarIT2_EEPKiS6_PKS3_S8_S4_PS3_21rocsparse_index_base_b
    .private_segment_fixed_size: 0
    .sgpr_count:     16
    .sgpr_spill_count: 0
    .symbol:         _ZN9rocsparseL19gebsrmvn_2xn_kernelILj128ELj14ELj16EdEEvi20rocsparse_direction_NS_24const_host_device_scalarIT2_EEPKiS6_PKS3_S8_S4_PS3_21rocsparse_index_base_b.kd
    .uniform_work_group_size: 1
    .uses_dynamic_stack: false
    .vgpr_count:     92
    .vgpr_spill_count: 0
    .wavefront_size: 32
  - .args:
      - .offset:         0
        .size:           4
        .value_kind:     by_value
      - .offset:         4
        .size:           4
        .value_kind:     by_value
      - .offset:         8
        .size:           8
        .value_kind:     by_value
      - .actual_access:  read_only
        .address_space:  global
        .offset:         16
        .size:           8
        .value_kind:     global_buffer
      - .actual_access:  read_only
        .address_space:  global
        .offset:         24
        .size:           8
        .value_kind:     global_buffer
      - .actual_access:  read_only
        .address_space:  global
        .offset:         32
        .size:           8
        .value_kind:     global_buffer
      - .actual_access:  read_only
        .address_space:  global
        .offset:         40
        .size:           8
        .value_kind:     global_buffer
      - .offset:         48
        .size:           8
        .value_kind:     by_value
      - .address_space:  global
        .offset:         56
        .size:           8
        .value_kind:     global_buffer
      - .offset:         64
        .size:           4
        .value_kind:     by_value
      - .offset:         68
        .size:           1
        .value_kind:     by_value
    .group_segment_fixed_size: 0
    .kernarg_segment_align: 8
    .kernarg_segment_size: 72
    .language:       OpenCL C
    .language_version:
      - 2
      - 0
    .max_flat_workgroup_size: 128
    .name:           _ZN9rocsparseL19gebsrmvn_2xn_kernelILj128ELj14ELj32EdEEvi20rocsparse_direction_NS_24const_host_device_scalarIT2_EEPKiS6_PKS3_S8_S4_PS3_21rocsparse_index_base_b
    .private_segment_fixed_size: 0
    .sgpr_count:     16
    .sgpr_spill_count: 0
    .symbol:         _ZN9rocsparseL19gebsrmvn_2xn_kernelILj128ELj14ELj32EdEEvi20rocsparse_direction_NS_24const_host_device_scalarIT2_EEPKiS6_PKS3_S8_S4_PS3_21rocsparse_index_base_b.kd
    .uniform_work_group_size: 1
    .uses_dynamic_stack: false
    .vgpr_count:     92
    .vgpr_spill_count: 0
    .wavefront_size: 32
  - .args:
      - .offset:         0
        .size:           4
        .value_kind:     by_value
      - .offset:         4
        .size:           4
        .value_kind:     by_value
      - .offset:         8
        .size:           8
        .value_kind:     by_value
      - .actual_access:  read_only
        .address_space:  global
        .offset:         16
        .size:           8
        .value_kind:     global_buffer
      - .actual_access:  read_only
        .address_space:  global
        .offset:         24
        .size:           8
        .value_kind:     global_buffer
      - .actual_access:  read_only
        .address_space:  global
        .offset:         32
        .size:           8
        .value_kind:     global_buffer
      - .actual_access:  read_only
        .address_space:  global
        .offset:         40
        .size:           8
        .value_kind:     global_buffer
      - .offset:         48
        .size:           8
        .value_kind:     by_value
      - .address_space:  global
        .offset:         56
        .size:           8
        .value_kind:     global_buffer
      - .offset:         64
        .size:           4
        .value_kind:     by_value
      - .offset:         68
        .size:           1
        .value_kind:     by_value
    .group_segment_fixed_size: 0
    .kernarg_segment_align: 8
    .kernarg_segment_size: 72
    .language:       OpenCL C
    .language_version:
      - 2
      - 0
    .max_flat_workgroup_size: 128
    .name:           _ZN9rocsparseL19gebsrmvn_2xn_kernelILj128ELj14ELj64EdEEvi20rocsparse_direction_NS_24const_host_device_scalarIT2_EEPKiS6_PKS3_S8_S4_PS3_21rocsparse_index_base_b
    .private_segment_fixed_size: 0
    .sgpr_count:     16
    .sgpr_spill_count: 0
    .symbol:         _ZN9rocsparseL19gebsrmvn_2xn_kernelILj128ELj14ELj64EdEEvi20rocsparse_direction_NS_24const_host_device_scalarIT2_EEPKiS6_PKS3_S8_S4_PS3_21rocsparse_index_base_b.kd
    .uniform_work_group_size: 1
    .uses_dynamic_stack: false
    .vgpr_count:     92
    .vgpr_spill_count: 0
    .wavefront_size: 32
  - .args:
      - .offset:         0
        .size:           4
        .value_kind:     by_value
      - .offset:         4
        .size:           4
        .value_kind:     by_value
      - .offset:         8
        .size:           8
        .value_kind:     by_value
      - .actual_access:  read_only
        .address_space:  global
        .offset:         16
        .size:           8
        .value_kind:     global_buffer
      - .actual_access:  read_only
        .address_space:  global
        .offset:         24
        .size:           8
        .value_kind:     global_buffer
      - .actual_access:  read_only
        .address_space:  global
        .offset:         32
        .size:           8
        .value_kind:     global_buffer
      - .actual_access:  read_only
        .address_space:  global
        .offset:         40
        .size:           8
        .value_kind:     global_buffer
      - .offset:         48
        .size:           8
        .value_kind:     by_value
      - .address_space:  global
        .offset:         56
        .size:           8
        .value_kind:     global_buffer
      - .offset:         64
        .size:           4
        .value_kind:     by_value
      - .offset:         68
        .size:           1
        .value_kind:     by_value
    .group_segment_fixed_size: 0
    .kernarg_segment_align: 8
    .kernarg_segment_size: 72
    .language:       OpenCL C
    .language_version:
      - 2
      - 0
    .max_flat_workgroup_size: 128
    .name:           _ZN9rocsparseL19gebsrmvn_2xn_kernelILj128ELj15ELj4EdEEvi20rocsparse_direction_NS_24const_host_device_scalarIT2_EEPKiS6_PKS3_S8_S4_PS3_21rocsparse_index_base_b
    .private_segment_fixed_size: 0
    .sgpr_count:     16
    .sgpr_spill_count: 0
    .symbol:         _ZN9rocsparseL19gebsrmvn_2xn_kernelILj128ELj15ELj4EdEEvi20rocsparse_direction_NS_24const_host_device_scalarIT2_EEPKiS6_PKS3_S8_S4_PS3_21rocsparse_index_base_b.kd
    .uniform_work_group_size: 1
    .uses_dynamic_stack: false
    .vgpr_count:     86
    .vgpr_spill_count: 0
    .wavefront_size: 32
  - .args:
      - .offset:         0
        .size:           4
        .value_kind:     by_value
      - .offset:         4
        .size:           4
        .value_kind:     by_value
      - .offset:         8
        .size:           8
        .value_kind:     by_value
      - .actual_access:  read_only
        .address_space:  global
        .offset:         16
        .size:           8
        .value_kind:     global_buffer
      - .actual_access:  read_only
        .address_space:  global
        .offset:         24
        .size:           8
        .value_kind:     global_buffer
      - .actual_access:  read_only
        .address_space:  global
        .offset:         32
        .size:           8
        .value_kind:     global_buffer
      - .actual_access:  read_only
        .address_space:  global
        .offset:         40
        .size:           8
        .value_kind:     global_buffer
      - .offset:         48
        .size:           8
        .value_kind:     by_value
      - .address_space:  global
        .offset:         56
        .size:           8
        .value_kind:     global_buffer
      - .offset:         64
        .size:           4
        .value_kind:     by_value
      - .offset:         68
        .size:           1
        .value_kind:     by_value
    .group_segment_fixed_size: 0
    .kernarg_segment_align: 8
    .kernarg_segment_size: 72
    .language:       OpenCL C
    .language_version:
      - 2
      - 0
    .max_flat_workgroup_size: 128
    .name:           _ZN9rocsparseL19gebsrmvn_2xn_kernelILj128ELj15ELj8EdEEvi20rocsparse_direction_NS_24const_host_device_scalarIT2_EEPKiS6_PKS3_S8_S4_PS3_21rocsparse_index_base_b
    .private_segment_fixed_size: 0
    .sgpr_count:     16
    .sgpr_spill_count: 0
    .symbol:         _ZN9rocsparseL19gebsrmvn_2xn_kernelILj128ELj15ELj8EdEEvi20rocsparse_direction_NS_24const_host_device_scalarIT2_EEPKiS6_PKS3_S8_S4_PS3_21rocsparse_index_base_b.kd
    .uniform_work_group_size: 1
    .uses_dynamic_stack: false
    .vgpr_count:     86
    .vgpr_spill_count: 0
    .wavefront_size: 32
  - .args:
      - .offset:         0
        .size:           4
        .value_kind:     by_value
      - .offset:         4
        .size:           4
        .value_kind:     by_value
      - .offset:         8
        .size:           8
        .value_kind:     by_value
      - .actual_access:  read_only
        .address_space:  global
        .offset:         16
        .size:           8
        .value_kind:     global_buffer
      - .actual_access:  read_only
        .address_space:  global
        .offset:         24
        .size:           8
        .value_kind:     global_buffer
      - .actual_access:  read_only
        .address_space:  global
        .offset:         32
        .size:           8
        .value_kind:     global_buffer
      - .actual_access:  read_only
        .address_space:  global
        .offset:         40
        .size:           8
        .value_kind:     global_buffer
      - .offset:         48
        .size:           8
        .value_kind:     by_value
      - .address_space:  global
        .offset:         56
        .size:           8
        .value_kind:     global_buffer
      - .offset:         64
        .size:           4
        .value_kind:     by_value
      - .offset:         68
        .size:           1
        .value_kind:     by_value
    .group_segment_fixed_size: 0
    .kernarg_segment_align: 8
    .kernarg_segment_size: 72
    .language:       OpenCL C
    .language_version:
      - 2
      - 0
    .max_flat_workgroup_size: 128
    .name:           _ZN9rocsparseL19gebsrmvn_2xn_kernelILj128ELj15ELj16EdEEvi20rocsparse_direction_NS_24const_host_device_scalarIT2_EEPKiS6_PKS3_S8_S4_PS3_21rocsparse_index_base_b
    .private_segment_fixed_size: 0
    .sgpr_count:     16
    .sgpr_spill_count: 0
    .symbol:         _ZN9rocsparseL19gebsrmvn_2xn_kernelILj128ELj15ELj16EdEEvi20rocsparse_direction_NS_24const_host_device_scalarIT2_EEPKiS6_PKS3_S8_S4_PS3_21rocsparse_index_base_b.kd
    .uniform_work_group_size: 1
    .uses_dynamic_stack: false
    .vgpr_count:     86
    .vgpr_spill_count: 0
    .wavefront_size: 32
  - .args:
      - .offset:         0
        .size:           4
        .value_kind:     by_value
      - .offset:         4
        .size:           4
        .value_kind:     by_value
      - .offset:         8
        .size:           8
        .value_kind:     by_value
      - .actual_access:  read_only
        .address_space:  global
        .offset:         16
        .size:           8
        .value_kind:     global_buffer
      - .actual_access:  read_only
        .address_space:  global
        .offset:         24
        .size:           8
        .value_kind:     global_buffer
      - .actual_access:  read_only
        .address_space:  global
        .offset:         32
        .size:           8
        .value_kind:     global_buffer
      - .actual_access:  read_only
        .address_space:  global
        .offset:         40
        .size:           8
        .value_kind:     global_buffer
      - .offset:         48
        .size:           8
        .value_kind:     by_value
      - .address_space:  global
        .offset:         56
        .size:           8
        .value_kind:     global_buffer
      - .offset:         64
        .size:           4
        .value_kind:     by_value
      - .offset:         68
        .size:           1
        .value_kind:     by_value
    .group_segment_fixed_size: 0
    .kernarg_segment_align: 8
    .kernarg_segment_size: 72
    .language:       OpenCL C
    .language_version:
      - 2
      - 0
    .max_flat_workgroup_size: 128
    .name:           _ZN9rocsparseL19gebsrmvn_2xn_kernelILj128ELj15ELj32EdEEvi20rocsparse_direction_NS_24const_host_device_scalarIT2_EEPKiS6_PKS3_S8_S4_PS3_21rocsparse_index_base_b
    .private_segment_fixed_size: 0
    .sgpr_count:     16
    .sgpr_spill_count: 0
    .symbol:         _ZN9rocsparseL19gebsrmvn_2xn_kernelILj128ELj15ELj32EdEEvi20rocsparse_direction_NS_24const_host_device_scalarIT2_EEPKiS6_PKS3_S8_S4_PS3_21rocsparse_index_base_b.kd
    .uniform_work_group_size: 1
    .uses_dynamic_stack: false
    .vgpr_count:     86
    .vgpr_spill_count: 0
    .wavefront_size: 32
  - .args:
      - .offset:         0
        .size:           4
        .value_kind:     by_value
      - .offset:         4
        .size:           4
        .value_kind:     by_value
      - .offset:         8
        .size:           8
        .value_kind:     by_value
      - .actual_access:  read_only
        .address_space:  global
        .offset:         16
        .size:           8
        .value_kind:     global_buffer
      - .actual_access:  read_only
        .address_space:  global
        .offset:         24
        .size:           8
        .value_kind:     global_buffer
      - .actual_access:  read_only
        .address_space:  global
        .offset:         32
        .size:           8
        .value_kind:     global_buffer
      - .actual_access:  read_only
        .address_space:  global
        .offset:         40
        .size:           8
        .value_kind:     global_buffer
      - .offset:         48
        .size:           8
        .value_kind:     by_value
      - .address_space:  global
        .offset:         56
        .size:           8
        .value_kind:     global_buffer
      - .offset:         64
        .size:           4
        .value_kind:     by_value
      - .offset:         68
        .size:           1
        .value_kind:     by_value
    .group_segment_fixed_size: 0
    .kernarg_segment_align: 8
    .kernarg_segment_size: 72
    .language:       OpenCL C
    .language_version:
      - 2
      - 0
    .max_flat_workgroup_size: 128
    .name:           _ZN9rocsparseL19gebsrmvn_2xn_kernelILj128ELj15ELj64EdEEvi20rocsparse_direction_NS_24const_host_device_scalarIT2_EEPKiS6_PKS3_S8_S4_PS3_21rocsparse_index_base_b
    .private_segment_fixed_size: 0
    .sgpr_count:     16
    .sgpr_spill_count: 0
    .symbol:         _ZN9rocsparseL19gebsrmvn_2xn_kernelILj128ELj15ELj64EdEEvi20rocsparse_direction_NS_24const_host_device_scalarIT2_EEPKiS6_PKS3_S8_S4_PS3_21rocsparse_index_base_b.kd
    .uniform_work_group_size: 1
    .uses_dynamic_stack: false
    .vgpr_count:     86
    .vgpr_spill_count: 0
    .wavefront_size: 32
  - .args:
      - .offset:         0
        .size:           4
        .value_kind:     by_value
      - .offset:         4
        .size:           4
        .value_kind:     by_value
      - .offset:         8
        .size:           8
        .value_kind:     by_value
      - .actual_access:  read_only
        .address_space:  global
        .offset:         16
        .size:           8
        .value_kind:     global_buffer
      - .actual_access:  read_only
        .address_space:  global
        .offset:         24
        .size:           8
        .value_kind:     global_buffer
      - .actual_access:  read_only
        .address_space:  global
        .offset:         32
        .size:           8
        .value_kind:     global_buffer
      - .actual_access:  read_only
        .address_space:  global
        .offset:         40
        .size:           8
        .value_kind:     global_buffer
      - .offset:         48
        .size:           8
        .value_kind:     by_value
      - .address_space:  global
        .offset:         56
        .size:           8
        .value_kind:     global_buffer
      - .offset:         64
        .size:           4
        .value_kind:     by_value
      - .offset:         68
        .size:           1
        .value_kind:     by_value
    .group_segment_fixed_size: 0
    .kernarg_segment_align: 8
    .kernarg_segment_size: 72
    .language:       OpenCL C
    .language_version:
      - 2
      - 0
    .max_flat_workgroup_size: 128
    .name:           _ZN9rocsparseL19gebsrmvn_2xn_kernelILj128ELj16ELj4EdEEvi20rocsparse_direction_NS_24const_host_device_scalarIT2_EEPKiS6_PKS3_S8_S4_PS3_21rocsparse_index_base_b
    .private_segment_fixed_size: 0
    .sgpr_count:     16
    .sgpr_spill_count: 0
    .symbol:         _ZN9rocsparseL19gebsrmvn_2xn_kernelILj128ELj16ELj4EdEEvi20rocsparse_direction_NS_24const_host_device_scalarIT2_EEPKiS6_PKS3_S8_S4_PS3_21rocsparse_index_base_b.kd
    .uniform_work_group_size: 1
    .uses_dynamic_stack: false
    .vgpr_count:     88
    .vgpr_spill_count: 0
    .wavefront_size: 32
  - .args:
      - .offset:         0
        .size:           4
        .value_kind:     by_value
      - .offset:         4
        .size:           4
        .value_kind:     by_value
      - .offset:         8
        .size:           8
        .value_kind:     by_value
      - .actual_access:  read_only
        .address_space:  global
        .offset:         16
        .size:           8
        .value_kind:     global_buffer
      - .actual_access:  read_only
        .address_space:  global
        .offset:         24
        .size:           8
        .value_kind:     global_buffer
      - .actual_access:  read_only
        .address_space:  global
        .offset:         32
        .size:           8
        .value_kind:     global_buffer
      - .actual_access:  read_only
        .address_space:  global
        .offset:         40
        .size:           8
        .value_kind:     global_buffer
      - .offset:         48
        .size:           8
        .value_kind:     by_value
      - .address_space:  global
        .offset:         56
        .size:           8
        .value_kind:     global_buffer
      - .offset:         64
        .size:           4
        .value_kind:     by_value
      - .offset:         68
        .size:           1
        .value_kind:     by_value
    .group_segment_fixed_size: 0
    .kernarg_segment_align: 8
    .kernarg_segment_size: 72
    .language:       OpenCL C
    .language_version:
      - 2
      - 0
    .max_flat_workgroup_size: 128
    .name:           _ZN9rocsparseL19gebsrmvn_2xn_kernelILj128ELj16ELj8EdEEvi20rocsparse_direction_NS_24const_host_device_scalarIT2_EEPKiS6_PKS3_S8_S4_PS3_21rocsparse_index_base_b
    .private_segment_fixed_size: 0
    .sgpr_count:     16
    .sgpr_spill_count: 0
    .symbol:         _ZN9rocsparseL19gebsrmvn_2xn_kernelILj128ELj16ELj8EdEEvi20rocsparse_direction_NS_24const_host_device_scalarIT2_EEPKiS6_PKS3_S8_S4_PS3_21rocsparse_index_base_b.kd
    .uniform_work_group_size: 1
    .uses_dynamic_stack: false
    .vgpr_count:     88
    .vgpr_spill_count: 0
    .wavefront_size: 32
  - .args:
      - .offset:         0
        .size:           4
        .value_kind:     by_value
      - .offset:         4
        .size:           4
        .value_kind:     by_value
      - .offset:         8
        .size:           8
        .value_kind:     by_value
      - .actual_access:  read_only
        .address_space:  global
        .offset:         16
        .size:           8
        .value_kind:     global_buffer
      - .actual_access:  read_only
        .address_space:  global
        .offset:         24
        .size:           8
        .value_kind:     global_buffer
      - .actual_access:  read_only
        .address_space:  global
        .offset:         32
        .size:           8
        .value_kind:     global_buffer
      - .actual_access:  read_only
        .address_space:  global
        .offset:         40
        .size:           8
        .value_kind:     global_buffer
      - .offset:         48
        .size:           8
        .value_kind:     by_value
      - .address_space:  global
        .offset:         56
        .size:           8
        .value_kind:     global_buffer
      - .offset:         64
        .size:           4
        .value_kind:     by_value
      - .offset:         68
        .size:           1
        .value_kind:     by_value
    .group_segment_fixed_size: 0
    .kernarg_segment_align: 8
    .kernarg_segment_size: 72
    .language:       OpenCL C
    .language_version:
      - 2
      - 0
    .max_flat_workgroup_size: 128
    .name:           _ZN9rocsparseL19gebsrmvn_2xn_kernelILj128ELj16ELj16EdEEvi20rocsparse_direction_NS_24const_host_device_scalarIT2_EEPKiS6_PKS3_S8_S4_PS3_21rocsparse_index_base_b
    .private_segment_fixed_size: 0
    .sgpr_count:     16
    .sgpr_spill_count: 0
    .symbol:         _ZN9rocsparseL19gebsrmvn_2xn_kernelILj128ELj16ELj16EdEEvi20rocsparse_direction_NS_24const_host_device_scalarIT2_EEPKiS6_PKS3_S8_S4_PS3_21rocsparse_index_base_b.kd
    .uniform_work_group_size: 1
    .uses_dynamic_stack: false
    .vgpr_count:     88
    .vgpr_spill_count: 0
    .wavefront_size: 32
  - .args:
      - .offset:         0
        .size:           4
        .value_kind:     by_value
      - .offset:         4
        .size:           4
        .value_kind:     by_value
      - .offset:         8
        .size:           8
        .value_kind:     by_value
      - .actual_access:  read_only
        .address_space:  global
        .offset:         16
        .size:           8
        .value_kind:     global_buffer
      - .actual_access:  read_only
        .address_space:  global
        .offset:         24
        .size:           8
        .value_kind:     global_buffer
      - .actual_access:  read_only
        .address_space:  global
        .offset:         32
        .size:           8
        .value_kind:     global_buffer
      - .actual_access:  read_only
        .address_space:  global
        .offset:         40
        .size:           8
        .value_kind:     global_buffer
      - .offset:         48
        .size:           8
        .value_kind:     by_value
      - .address_space:  global
        .offset:         56
        .size:           8
        .value_kind:     global_buffer
      - .offset:         64
        .size:           4
        .value_kind:     by_value
      - .offset:         68
        .size:           1
        .value_kind:     by_value
    .group_segment_fixed_size: 0
    .kernarg_segment_align: 8
    .kernarg_segment_size: 72
    .language:       OpenCL C
    .language_version:
      - 2
      - 0
    .max_flat_workgroup_size: 128
    .name:           _ZN9rocsparseL19gebsrmvn_2xn_kernelILj128ELj16ELj32EdEEvi20rocsparse_direction_NS_24const_host_device_scalarIT2_EEPKiS6_PKS3_S8_S4_PS3_21rocsparse_index_base_b
    .private_segment_fixed_size: 0
    .sgpr_count:     16
    .sgpr_spill_count: 0
    .symbol:         _ZN9rocsparseL19gebsrmvn_2xn_kernelILj128ELj16ELj32EdEEvi20rocsparse_direction_NS_24const_host_device_scalarIT2_EEPKiS6_PKS3_S8_S4_PS3_21rocsparse_index_base_b.kd
    .uniform_work_group_size: 1
    .uses_dynamic_stack: false
    .vgpr_count:     88
    .vgpr_spill_count: 0
    .wavefront_size: 32
  - .args:
      - .offset:         0
        .size:           4
        .value_kind:     by_value
      - .offset:         4
        .size:           4
        .value_kind:     by_value
      - .offset:         8
        .size:           8
        .value_kind:     by_value
      - .actual_access:  read_only
        .address_space:  global
        .offset:         16
        .size:           8
        .value_kind:     global_buffer
      - .actual_access:  read_only
        .address_space:  global
        .offset:         24
        .size:           8
        .value_kind:     global_buffer
      - .actual_access:  read_only
        .address_space:  global
        .offset:         32
        .size:           8
        .value_kind:     global_buffer
      - .actual_access:  read_only
        .address_space:  global
        .offset:         40
        .size:           8
        .value_kind:     global_buffer
      - .offset:         48
        .size:           8
        .value_kind:     by_value
      - .address_space:  global
        .offset:         56
        .size:           8
        .value_kind:     global_buffer
      - .offset:         64
        .size:           4
        .value_kind:     by_value
      - .offset:         68
        .size:           1
        .value_kind:     by_value
    .group_segment_fixed_size: 0
    .kernarg_segment_align: 8
    .kernarg_segment_size: 72
    .language:       OpenCL C
    .language_version:
      - 2
      - 0
    .max_flat_workgroup_size: 128
    .name:           _ZN9rocsparseL19gebsrmvn_2xn_kernelILj128ELj16ELj64EdEEvi20rocsparse_direction_NS_24const_host_device_scalarIT2_EEPKiS6_PKS3_S8_S4_PS3_21rocsparse_index_base_b
    .private_segment_fixed_size: 0
    .sgpr_count:     16
    .sgpr_spill_count: 0
    .symbol:         _ZN9rocsparseL19gebsrmvn_2xn_kernelILj128ELj16ELj64EdEEvi20rocsparse_direction_NS_24const_host_device_scalarIT2_EEPKiS6_PKS3_S8_S4_PS3_21rocsparse_index_base_b.kd
    .uniform_work_group_size: 1
    .uses_dynamic_stack: false
    .vgpr_count:     88
    .vgpr_spill_count: 0
    .wavefront_size: 32
  - .args:
      - .offset:         0
        .size:           4
        .value_kind:     by_value
      - .offset:         4
        .size:           4
        .value_kind:     by_value
      - .offset:         8
        .size:           8
        .value_kind:     by_value
      - .actual_access:  read_only
        .address_space:  global
        .offset:         16
        .size:           8
        .value_kind:     global_buffer
      - .actual_access:  read_only
        .address_space:  global
        .offset:         24
        .size:           8
        .value_kind:     global_buffer
      - .actual_access:  read_only
        .address_space:  global
        .offset:         32
        .size:           8
        .value_kind:     global_buffer
      - .offset:         40
        .size:           4
        .value_kind:     by_value
      - .offset:         44
        .size:           4
        .value_kind:     by_value
      - .actual_access:  read_only
        .address_space:  global
        .offset:         48
        .size:           8
        .value_kind:     global_buffer
      - .offset:         56
        .size:           8
        .value_kind:     by_value
      - .address_space:  global
        .offset:         64
        .size:           8
        .value_kind:     global_buffer
      - .offset:         72
        .size:           4
        .value_kind:     by_value
      - .offset:         76
        .size:           1
        .value_kind:     by_value
    .group_segment_fixed_size: 0
    .kernarg_segment_align: 8
    .kernarg_segment_size: 80
    .language:       OpenCL C
    .language_version:
      - 2
      - 0
    .max_flat_workgroup_size: 32
    .name:           _ZN9rocsparseL23gebsrmvn_general_kernelILj32ELj32EdEEvi20rocsparse_direction_NS_24const_host_device_scalarIT1_EEPKiS6_PKS3_iiS8_S4_PS3_21rocsparse_index_base_b
    .private_segment_fixed_size: 0
    .sgpr_count:     28
    .sgpr_spill_count: 0
    .symbol:         _ZN9rocsparseL23gebsrmvn_general_kernelILj32ELj32EdEEvi20rocsparse_direction_NS_24const_host_device_scalarIT1_EEPKiS6_PKS3_iiS8_S4_PS3_21rocsparse_index_base_b.kd
    .uniform_work_group_size: 1
    .uses_dynamic_stack: false
    .vgpr_count:     22
    .vgpr_spill_count: 0
    .wavefront_size: 32
  - .args:
      - .offset:         0
        .size:           4
        .value_kind:     by_value
      - .offset:         4
        .size:           4
        .value_kind:     by_value
      - .offset:         8
        .size:           8
        .value_kind:     by_value
      - .actual_access:  read_only
        .address_space:  global
        .offset:         16
        .size:           8
        .value_kind:     global_buffer
      - .actual_access:  read_only
        .address_space:  global
        .offset:         24
        .size:           8
        .value_kind:     global_buffer
      - .actual_access:  read_only
        .address_space:  global
        .offset:         32
        .size:           8
        .value_kind:     global_buffer
      - .actual_access:  read_only
        .address_space:  global
        .offset:         40
        .size:           8
        .value_kind:     global_buffer
      - .offset:         48
        .size:           8
        .value_kind:     by_value
      - .address_space:  global
        .offset:         56
        .size:           8
        .value_kind:     global_buffer
      - .offset:         64
        .size:           4
        .value_kind:     by_value
      - .offset:         68
        .size:           1
        .value_kind:     by_value
    .group_segment_fixed_size: 0
    .kernarg_segment_align: 8
    .kernarg_segment_size: 72
    .language:       OpenCL C
    .language_version:
      - 2
      - 0
    .max_flat_workgroup_size: 128
    .name:           _ZN9rocsparseL19gebsrmvn_2xn_kernelILj128ELj1ELj4E21rocsparse_complex_numIfEEEvi20rocsparse_direction_NS_24const_host_device_scalarIT2_EEPKiS8_PKS5_SA_S6_PS5_21rocsparse_index_base_b
    .private_segment_fixed_size: 0
    .sgpr_count:     16
    .sgpr_spill_count: 0
    .symbol:         _ZN9rocsparseL19gebsrmvn_2xn_kernelILj128ELj1ELj4E21rocsparse_complex_numIfEEEvi20rocsparse_direction_NS_24const_host_device_scalarIT2_EEPKiS8_PKS5_SA_S6_PS5_21rocsparse_index_base_b.kd
    .uniform_work_group_size: 1
    .uses_dynamic_stack: false
    .vgpr_count:     24
    .vgpr_spill_count: 0
    .wavefront_size: 32
  - .args:
      - .offset:         0
        .size:           4
        .value_kind:     by_value
      - .offset:         4
        .size:           4
        .value_kind:     by_value
      - .offset:         8
        .size:           8
        .value_kind:     by_value
      - .actual_access:  read_only
        .address_space:  global
        .offset:         16
        .size:           8
        .value_kind:     global_buffer
      - .actual_access:  read_only
        .address_space:  global
        .offset:         24
        .size:           8
        .value_kind:     global_buffer
      - .actual_access:  read_only
        .address_space:  global
        .offset:         32
        .size:           8
        .value_kind:     global_buffer
      - .actual_access:  read_only
        .address_space:  global
        .offset:         40
        .size:           8
        .value_kind:     global_buffer
      - .offset:         48
        .size:           8
        .value_kind:     by_value
      - .address_space:  global
        .offset:         56
        .size:           8
        .value_kind:     global_buffer
      - .offset:         64
        .size:           4
        .value_kind:     by_value
      - .offset:         68
        .size:           1
        .value_kind:     by_value
    .group_segment_fixed_size: 0
    .kernarg_segment_align: 8
    .kernarg_segment_size: 72
    .language:       OpenCL C
    .language_version:
      - 2
      - 0
    .max_flat_workgroup_size: 128
    .name:           _ZN9rocsparseL19gebsrmvn_2xn_kernelILj128ELj1ELj8E21rocsparse_complex_numIfEEEvi20rocsparse_direction_NS_24const_host_device_scalarIT2_EEPKiS8_PKS5_SA_S6_PS5_21rocsparse_index_base_b
    .private_segment_fixed_size: 0
    .sgpr_count:     16
    .sgpr_spill_count: 0
    .symbol:         _ZN9rocsparseL19gebsrmvn_2xn_kernelILj128ELj1ELj8E21rocsparse_complex_numIfEEEvi20rocsparse_direction_NS_24const_host_device_scalarIT2_EEPKiS8_PKS5_SA_S6_PS5_21rocsparse_index_base_b.kd
    .uniform_work_group_size: 1
    .uses_dynamic_stack: false
    .vgpr_count:     24
    .vgpr_spill_count: 0
    .wavefront_size: 32
  - .args:
      - .offset:         0
        .size:           4
        .value_kind:     by_value
      - .offset:         4
        .size:           4
        .value_kind:     by_value
      - .offset:         8
        .size:           8
        .value_kind:     by_value
      - .actual_access:  read_only
        .address_space:  global
        .offset:         16
        .size:           8
        .value_kind:     global_buffer
      - .actual_access:  read_only
        .address_space:  global
        .offset:         24
        .size:           8
        .value_kind:     global_buffer
      - .actual_access:  read_only
        .address_space:  global
        .offset:         32
        .size:           8
        .value_kind:     global_buffer
      - .actual_access:  read_only
        .address_space:  global
        .offset:         40
        .size:           8
        .value_kind:     global_buffer
      - .offset:         48
        .size:           8
        .value_kind:     by_value
      - .address_space:  global
        .offset:         56
        .size:           8
        .value_kind:     global_buffer
      - .offset:         64
        .size:           4
        .value_kind:     by_value
      - .offset:         68
        .size:           1
        .value_kind:     by_value
    .group_segment_fixed_size: 0
    .kernarg_segment_align: 8
    .kernarg_segment_size: 72
    .language:       OpenCL C
    .language_version:
      - 2
      - 0
    .max_flat_workgroup_size: 128
    .name:           _ZN9rocsparseL19gebsrmvn_2xn_kernelILj128ELj1ELj16E21rocsparse_complex_numIfEEEvi20rocsparse_direction_NS_24const_host_device_scalarIT2_EEPKiS8_PKS5_SA_S6_PS5_21rocsparse_index_base_b
    .private_segment_fixed_size: 0
    .sgpr_count:     16
    .sgpr_spill_count: 0
    .symbol:         _ZN9rocsparseL19gebsrmvn_2xn_kernelILj128ELj1ELj16E21rocsparse_complex_numIfEEEvi20rocsparse_direction_NS_24const_host_device_scalarIT2_EEPKiS8_PKS5_SA_S6_PS5_21rocsparse_index_base_b.kd
    .uniform_work_group_size: 1
    .uses_dynamic_stack: false
    .vgpr_count:     24
    .vgpr_spill_count: 0
    .wavefront_size: 32
  - .args:
      - .offset:         0
        .size:           4
        .value_kind:     by_value
      - .offset:         4
        .size:           4
        .value_kind:     by_value
      - .offset:         8
        .size:           8
        .value_kind:     by_value
      - .actual_access:  read_only
        .address_space:  global
        .offset:         16
        .size:           8
        .value_kind:     global_buffer
      - .actual_access:  read_only
        .address_space:  global
        .offset:         24
        .size:           8
        .value_kind:     global_buffer
      - .actual_access:  read_only
        .address_space:  global
        .offset:         32
        .size:           8
        .value_kind:     global_buffer
      - .actual_access:  read_only
        .address_space:  global
        .offset:         40
        .size:           8
        .value_kind:     global_buffer
      - .offset:         48
        .size:           8
        .value_kind:     by_value
      - .address_space:  global
        .offset:         56
        .size:           8
        .value_kind:     global_buffer
      - .offset:         64
        .size:           4
        .value_kind:     by_value
      - .offset:         68
        .size:           1
        .value_kind:     by_value
    .group_segment_fixed_size: 0
    .kernarg_segment_align: 8
    .kernarg_segment_size: 72
    .language:       OpenCL C
    .language_version:
      - 2
      - 0
    .max_flat_workgroup_size: 128
    .name:           _ZN9rocsparseL19gebsrmvn_2xn_kernelILj128ELj1ELj32E21rocsparse_complex_numIfEEEvi20rocsparse_direction_NS_24const_host_device_scalarIT2_EEPKiS8_PKS5_SA_S6_PS5_21rocsparse_index_base_b
    .private_segment_fixed_size: 0
    .sgpr_count:     16
    .sgpr_spill_count: 0
    .symbol:         _ZN9rocsparseL19gebsrmvn_2xn_kernelILj128ELj1ELj32E21rocsparse_complex_numIfEEEvi20rocsparse_direction_NS_24const_host_device_scalarIT2_EEPKiS8_PKS5_SA_S6_PS5_21rocsparse_index_base_b.kd
    .uniform_work_group_size: 1
    .uses_dynamic_stack: false
    .vgpr_count:     24
    .vgpr_spill_count: 0
    .wavefront_size: 32
  - .args:
      - .offset:         0
        .size:           4
        .value_kind:     by_value
      - .offset:         4
        .size:           4
        .value_kind:     by_value
      - .offset:         8
        .size:           8
        .value_kind:     by_value
      - .actual_access:  read_only
        .address_space:  global
        .offset:         16
        .size:           8
        .value_kind:     global_buffer
      - .actual_access:  read_only
        .address_space:  global
        .offset:         24
        .size:           8
        .value_kind:     global_buffer
      - .actual_access:  read_only
        .address_space:  global
        .offset:         32
        .size:           8
        .value_kind:     global_buffer
      - .actual_access:  read_only
        .address_space:  global
        .offset:         40
        .size:           8
        .value_kind:     global_buffer
      - .offset:         48
        .size:           8
        .value_kind:     by_value
      - .address_space:  global
        .offset:         56
        .size:           8
        .value_kind:     global_buffer
      - .offset:         64
        .size:           4
        .value_kind:     by_value
      - .offset:         68
        .size:           1
        .value_kind:     by_value
    .group_segment_fixed_size: 0
    .kernarg_segment_align: 8
    .kernarg_segment_size: 72
    .language:       OpenCL C
    .language_version:
      - 2
      - 0
    .max_flat_workgroup_size: 128
    .name:           _ZN9rocsparseL19gebsrmvn_2xn_kernelILj128ELj1ELj64E21rocsparse_complex_numIfEEEvi20rocsparse_direction_NS_24const_host_device_scalarIT2_EEPKiS8_PKS5_SA_S6_PS5_21rocsparse_index_base_b
    .private_segment_fixed_size: 0
    .sgpr_count:     16
    .sgpr_spill_count: 0
    .symbol:         _ZN9rocsparseL19gebsrmvn_2xn_kernelILj128ELj1ELj64E21rocsparse_complex_numIfEEEvi20rocsparse_direction_NS_24const_host_device_scalarIT2_EEPKiS8_PKS5_SA_S6_PS5_21rocsparse_index_base_b.kd
    .uniform_work_group_size: 1
    .uses_dynamic_stack: false
    .vgpr_count:     24
    .vgpr_spill_count: 0
    .wavefront_size: 32
  - .args:
      - .offset:         0
        .size:           4
        .value_kind:     by_value
      - .offset:         4
        .size:           4
        .value_kind:     by_value
      - .offset:         8
        .size:           8
        .value_kind:     by_value
      - .actual_access:  read_only
        .address_space:  global
        .offset:         16
        .size:           8
        .value_kind:     global_buffer
      - .actual_access:  read_only
        .address_space:  global
        .offset:         24
        .size:           8
        .value_kind:     global_buffer
      - .actual_access:  read_only
        .address_space:  global
        .offset:         32
        .size:           8
        .value_kind:     global_buffer
      - .actual_access:  read_only
        .address_space:  global
        .offset:         40
        .size:           8
        .value_kind:     global_buffer
      - .offset:         48
        .size:           8
        .value_kind:     by_value
      - .address_space:  global
        .offset:         56
        .size:           8
        .value_kind:     global_buffer
      - .offset:         64
        .size:           4
        .value_kind:     by_value
      - .offset:         68
        .size:           1
        .value_kind:     by_value
    .group_segment_fixed_size: 0
    .kernarg_segment_align: 8
    .kernarg_segment_size: 72
    .language:       OpenCL C
    .language_version:
      - 2
      - 0
    .max_flat_workgroup_size: 128
    .name:           _ZN9rocsparseL19gebsrmvn_2xn_kernelILj128ELj3ELj4E21rocsparse_complex_numIfEEEvi20rocsparse_direction_NS_24const_host_device_scalarIT2_EEPKiS8_PKS5_SA_S6_PS5_21rocsparse_index_base_b
    .private_segment_fixed_size: 0
    .sgpr_count:     16
    .sgpr_spill_count: 0
    .symbol:         _ZN9rocsparseL19gebsrmvn_2xn_kernelILj128ELj3ELj4E21rocsparse_complex_numIfEEEvi20rocsparse_direction_NS_24const_host_device_scalarIT2_EEPKiS8_PKS5_SA_S6_PS5_21rocsparse_index_base_b.kd
    .uniform_work_group_size: 1
    .uses_dynamic_stack: false
    .vgpr_count:     36
    .vgpr_spill_count: 0
    .wavefront_size: 32
  - .args:
      - .offset:         0
        .size:           4
        .value_kind:     by_value
      - .offset:         4
        .size:           4
        .value_kind:     by_value
      - .offset:         8
        .size:           8
        .value_kind:     by_value
      - .actual_access:  read_only
        .address_space:  global
        .offset:         16
        .size:           8
        .value_kind:     global_buffer
      - .actual_access:  read_only
        .address_space:  global
        .offset:         24
        .size:           8
        .value_kind:     global_buffer
      - .actual_access:  read_only
        .address_space:  global
        .offset:         32
        .size:           8
        .value_kind:     global_buffer
      - .actual_access:  read_only
        .address_space:  global
        .offset:         40
        .size:           8
        .value_kind:     global_buffer
      - .offset:         48
        .size:           8
        .value_kind:     by_value
      - .address_space:  global
        .offset:         56
        .size:           8
        .value_kind:     global_buffer
      - .offset:         64
        .size:           4
        .value_kind:     by_value
      - .offset:         68
        .size:           1
        .value_kind:     by_value
    .group_segment_fixed_size: 0
    .kernarg_segment_align: 8
    .kernarg_segment_size: 72
    .language:       OpenCL C
    .language_version:
      - 2
      - 0
    .max_flat_workgroup_size: 128
    .name:           _ZN9rocsparseL19gebsrmvn_2xn_kernelILj128ELj3ELj8E21rocsparse_complex_numIfEEEvi20rocsparse_direction_NS_24const_host_device_scalarIT2_EEPKiS8_PKS5_SA_S6_PS5_21rocsparse_index_base_b
    .private_segment_fixed_size: 0
    .sgpr_count:     16
    .sgpr_spill_count: 0
    .symbol:         _ZN9rocsparseL19gebsrmvn_2xn_kernelILj128ELj3ELj8E21rocsparse_complex_numIfEEEvi20rocsparse_direction_NS_24const_host_device_scalarIT2_EEPKiS8_PKS5_SA_S6_PS5_21rocsparse_index_base_b.kd
    .uniform_work_group_size: 1
    .uses_dynamic_stack: false
    .vgpr_count:     36
    .vgpr_spill_count: 0
    .wavefront_size: 32
  - .args:
      - .offset:         0
        .size:           4
        .value_kind:     by_value
      - .offset:         4
        .size:           4
        .value_kind:     by_value
      - .offset:         8
        .size:           8
        .value_kind:     by_value
      - .actual_access:  read_only
        .address_space:  global
        .offset:         16
        .size:           8
        .value_kind:     global_buffer
      - .actual_access:  read_only
        .address_space:  global
        .offset:         24
        .size:           8
        .value_kind:     global_buffer
      - .actual_access:  read_only
        .address_space:  global
        .offset:         32
        .size:           8
        .value_kind:     global_buffer
      - .actual_access:  read_only
        .address_space:  global
        .offset:         40
        .size:           8
        .value_kind:     global_buffer
      - .offset:         48
        .size:           8
        .value_kind:     by_value
      - .address_space:  global
        .offset:         56
        .size:           8
        .value_kind:     global_buffer
      - .offset:         64
        .size:           4
        .value_kind:     by_value
      - .offset:         68
        .size:           1
        .value_kind:     by_value
    .group_segment_fixed_size: 0
    .kernarg_segment_align: 8
    .kernarg_segment_size: 72
    .language:       OpenCL C
    .language_version:
      - 2
      - 0
    .max_flat_workgroup_size: 128
    .name:           _ZN9rocsparseL19gebsrmvn_2xn_kernelILj128ELj3ELj16E21rocsparse_complex_numIfEEEvi20rocsparse_direction_NS_24const_host_device_scalarIT2_EEPKiS8_PKS5_SA_S6_PS5_21rocsparse_index_base_b
    .private_segment_fixed_size: 0
    .sgpr_count:     16
    .sgpr_spill_count: 0
    .symbol:         _ZN9rocsparseL19gebsrmvn_2xn_kernelILj128ELj3ELj16E21rocsparse_complex_numIfEEEvi20rocsparse_direction_NS_24const_host_device_scalarIT2_EEPKiS8_PKS5_SA_S6_PS5_21rocsparse_index_base_b.kd
    .uniform_work_group_size: 1
    .uses_dynamic_stack: false
    .vgpr_count:     36
    .vgpr_spill_count: 0
    .wavefront_size: 32
  - .args:
      - .offset:         0
        .size:           4
        .value_kind:     by_value
      - .offset:         4
        .size:           4
        .value_kind:     by_value
      - .offset:         8
        .size:           8
        .value_kind:     by_value
      - .actual_access:  read_only
        .address_space:  global
        .offset:         16
        .size:           8
        .value_kind:     global_buffer
      - .actual_access:  read_only
        .address_space:  global
        .offset:         24
        .size:           8
        .value_kind:     global_buffer
      - .actual_access:  read_only
        .address_space:  global
        .offset:         32
        .size:           8
        .value_kind:     global_buffer
      - .actual_access:  read_only
        .address_space:  global
        .offset:         40
        .size:           8
        .value_kind:     global_buffer
      - .offset:         48
        .size:           8
        .value_kind:     by_value
      - .address_space:  global
        .offset:         56
        .size:           8
        .value_kind:     global_buffer
      - .offset:         64
        .size:           4
        .value_kind:     by_value
      - .offset:         68
        .size:           1
        .value_kind:     by_value
    .group_segment_fixed_size: 0
    .kernarg_segment_align: 8
    .kernarg_segment_size: 72
    .language:       OpenCL C
    .language_version:
      - 2
      - 0
    .max_flat_workgroup_size: 128
    .name:           _ZN9rocsparseL19gebsrmvn_2xn_kernelILj128ELj3ELj32E21rocsparse_complex_numIfEEEvi20rocsparse_direction_NS_24const_host_device_scalarIT2_EEPKiS8_PKS5_SA_S6_PS5_21rocsparse_index_base_b
    .private_segment_fixed_size: 0
    .sgpr_count:     16
    .sgpr_spill_count: 0
    .symbol:         _ZN9rocsparseL19gebsrmvn_2xn_kernelILj128ELj3ELj32E21rocsparse_complex_numIfEEEvi20rocsparse_direction_NS_24const_host_device_scalarIT2_EEPKiS8_PKS5_SA_S6_PS5_21rocsparse_index_base_b.kd
    .uniform_work_group_size: 1
    .uses_dynamic_stack: false
    .vgpr_count:     36
    .vgpr_spill_count: 0
    .wavefront_size: 32
  - .args:
      - .offset:         0
        .size:           4
        .value_kind:     by_value
      - .offset:         4
        .size:           4
        .value_kind:     by_value
      - .offset:         8
        .size:           8
        .value_kind:     by_value
      - .actual_access:  read_only
        .address_space:  global
        .offset:         16
        .size:           8
        .value_kind:     global_buffer
      - .actual_access:  read_only
        .address_space:  global
        .offset:         24
        .size:           8
        .value_kind:     global_buffer
      - .actual_access:  read_only
        .address_space:  global
        .offset:         32
        .size:           8
        .value_kind:     global_buffer
      - .actual_access:  read_only
        .address_space:  global
        .offset:         40
        .size:           8
        .value_kind:     global_buffer
      - .offset:         48
        .size:           8
        .value_kind:     by_value
      - .address_space:  global
        .offset:         56
        .size:           8
        .value_kind:     global_buffer
      - .offset:         64
        .size:           4
        .value_kind:     by_value
      - .offset:         68
        .size:           1
        .value_kind:     by_value
    .group_segment_fixed_size: 0
    .kernarg_segment_align: 8
    .kernarg_segment_size: 72
    .language:       OpenCL C
    .language_version:
      - 2
      - 0
    .max_flat_workgroup_size: 128
    .name:           _ZN9rocsparseL19gebsrmvn_2xn_kernelILj128ELj3ELj64E21rocsparse_complex_numIfEEEvi20rocsparse_direction_NS_24const_host_device_scalarIT2_EEPKiS8_PKS5_SA_S6_PS5_21rocsparse_index_base_b
    .private_segment_fixed_size: 0
    .sgpr_count:     16
    .sgpr_spill_count: 0
    .symbol:         _ZN9rocsparseL19gebsrmvn_2xn_kernelILj128ELj3ELj64E21rocsparse_complex_numIfEEEvi20rocsparse_direction_NS_24const_host_device_scalarIT2_EEPKiS8_PKS5_SA_S6_PS5_21rocsparse_index_base_b.kd
    .uniform_work_group_size: 1
    .uses_dynamic_stack: false
    .vgpr_count:     36
    .vgpr_spill_count: 0
    .wavefront_size: 32
  - .args:
      - .offset:         0
        .size:           4
        .value_kind:     by_value
      - .offset:         4
        .size:           4
        .value_kind:     by_value
      - .offset:         8
        .size:           8
        .value_kind:     by_value
      - .actual_access:  read_only
        .address_space:  global
        .offset:         16
        .size:           8
        .value_kind:     global_buffer
      - .actual_access:  read_only
        .address_space:  global
        .offset:         24
        .size:           8
        .value_kind:     global_buffer
      - .actual_access:  read_only
        .address_space:  global
        .offset:         32
        .size:           8
        .value_kind:     global_buffer
      - .actual_access:  read_only
        .address_space:  global
        .offset:         40
        .size:           8
        .value_kind:     global_buffer
      - .offset:         48
        .size:           8
        .value_kind:     by_value
      - .address_space:  global
        .offset:         56
        .size:           8
        .value_kind:     global_buffer
      - .offset:         64
        .size:           4
        .value_kind:     by_value
      - .offset:         68
        .size:           1
        .value_kind:     by_value
    .group_segment_fixed_size: 0
    .kernarg_segment_align: 8
    .kernarg_segment_size: 72
    .language:       OpenCL C
    .language_version:
      - 2
      - 0
    .max_flat_workgroup_size: 128
    .name:           _ZN9rocsparseL19gebsrmvn_2xn_kernelILj128ELj4ELj4E21rocsparse_complex_numIfEEEvi20rocsparse_direction_NS_24const_host_device_scalarIT2_EEPKiS8_PKS5_SA_S6_PS5_21rocsparse_index_base_b
    .private_segment_fixed_size: 0
    .sgpr_count:     16
    .sgpr_spill_count: 0
    .symbol:         _ZN9rocsparseL19gebsrmvn_2xn_kernelILj128ELj4ELj4E21rocsparse_complex_numIfEEEvi20rocsparse_direction_NS_24const_host_device_scalarIT2_EEPKiS8_PKS5_SA_S6_PS5_21rocsparse_index_base_b.kd
    .uniform_work_group_size: 1
    .uses_dynamic_stack: false
    .vgpr_count:     44
    .vgpr_spill_count: 0
    .wavefront_size: 32
  - .args:
      - .offset:         0
        .size:           4
        .value_kind:     by_value
      - .offset:         4
        .size:           4
        .value_kind:     by_value
      - .offset:         8
        .size:           8
        .value_kind:     by_value
      - .actual_access:  read_only
        .address_space:  global
        .offset:         16
        .size:           8
        .value_kind:     global_buffer
      - .actual_access:  read_only
        .address_space:  global
        .offset:         24
        .size:           8
        .value_kind:     global_buffer
      - .actual_access:  read_only
        .address_space:  global
        .offset:         32
        .size:           8
        .value_kind:     global_buffer
      - .actual_access:  read_only
        .address_space:  global
        .offset:         40
        .size:           8
        .value_kind:     global_buffer
      - .offset:         48
        .size:           8
        .value_kind:     by_value
      - .address_space:  global
        .offset:         56
        .size:           8
        .value_kind:     global_buffer
      - .offset:         64
        .size:           4
        .value_kind:     by_value
      - .offset:         68
        .size:           1
        .value_kind:     by_value
    .group_segment_fixed_size: 0
    .kernarg_segment_align: 8
    .kernarg_segment_size: 72
    .language:       OpenCL C
    .language_version:
      - 2
      - 0
    .max_flat_workgroup_size: 128
    .name:           _ZN9rocsparseL19gebsrmvn_2xn_kernelILj128ELj4ELj8E21rocsparse_complex_numIfEEEvi20rocsparse_direction_NS_24const_host_device_scalarIT2_EEPKiS8_PKS5_SA_S6_PS5_21rocsparse_index_base_b
    .private_segment_fixed_size: 0
    .sgpr_count:     16
    .sgpr_spill_count: 0
    .symbol:         _ZN9rocsparseL19gebsrmvn_2xn_kernelILj128ELj4ELj8E21rocsparse_complex_numIfEEEvi20rocsparse_direction_NS_24const_host_device_scalarIT2_EEPKiS8_PKS5_SA_S6_PS5_21rocsparse_index_base_b.kd
    .uniform_work_group_size: 1
    .uses_dynamic_stack: false
    .vgpr_count:     44
    .vgpr_spill_count: 0
    .wavefront_size: 32
  - .args:
      - .offset:         0
        .size:           4
        .value_kind:     by_value
      - .offset:         4
        .size:           4
        .value_kind:     by_value
      - .offset:         8
        .size:           8
        .value_kind:     by_value
      - .actual_access:  read_only
        .address_space:  global
        .offset:         16
        .size:           8
        .value_kind:     global_buffer
      - .actual_access:  read_only
        .address_space:  global
        .offset:         24
        .size:           8
        .value_kind:     global_buffer
      - .actual_access:  read_only
        .address_space:  global
        .offset:         32
        .size:           8
        .value_kind:     global_buffer
      - .actual_access:  read_only
        .address_space:  global
        .offset:         40
        .size:           8
        .value_kind:     global_buffer
      - .offset:         48
        .size:           8
        .value_kind:     by_value
      - .address_space:  global
        .offset:         56
        .size:           8
        .value_kind:     global_buffer
      - .offset:         64
        .size:           4
        .value_kind:     by_value
      - .offset:         68
        .size:           1
        .value_kind:     by_value
    .group_segment_fixed_size: 0
    .kernarg_segment_align: 8
    .kernarg_segment_size: 72
    .language:       OpenCL C
    .language_version:
      - 2
      - 0
    .max_flat_workgroup_size: 128
    .name:           _ZN9rocsparseL19gebsrmvn_2xn_kernelILj128ELj4ELj16E21rocsparse_complex_numIfEEEvi20rocsparse_direction_NS_24const_host_device_scalarIT2_EEPKiS8_PKS5_SA_S6_PS5_21rocsparse_index_base_b
    .private_segment_fixed_size: 0
    .sgpr_count:     16
    .sgpr_spill_count: 0
    .symbol:         _ZN9rocsparseL19gebsrmvn_2xn_kernelILj128ELj4ELj16E21rocsparse_complex_numIfEEEvi20rocsparse_direction_NS_24const_host_device_scalarIT2_EEPKiS8_PKS5_SA_S6_PS5_21rocsparse_index_base_b.kd
    .uniform_work_group_size: 1
    .uses_dynamic_stack: false
    .vgpr_count:     44
    .vgpr_spill_count: 0
    .wavefront_size: 32
  - .args:
      - .offset:         0
        .size:           4
        .value_kind:     by_value
      - .offset:         4
        .size:           4
        .value_kind:     by_value
      - .offset:         8
        .size:           8
        .value_kind:     by_value
      - .actual_access:  read_only
        .address_space:  global
        .offset:         16
        .size:           8
        .value_kind:     global_buffer
      - .actual_access:  read_only
        .address_space:  global
        .offset:         24
        .size:           8
        .value_kind:     global_buffer
      - .actual_access:  read_only
        .address_space:  global
        .offset:         32
        .size:           8
        .value_kind:     global_buffer
      - .actual_access:  read_only
        .address_space:  global
        .offset:         40
        .size:           8
        .value_kind:     global_buffer
      - .offset:         48
        .size:           8
        .value_kind:     by_value
      - .address_space:  global
        .offset:         56
        .size:           8
        .value_kind:     global_buffer
      - .offset:         64
        .size:           4
        .value_kind:     by_value
      - .offset:         68
        .size:           1
        .value_kind:     by_value
    .group_segment_fixed_size: 0
    .kernarg_segment_align: 8
    .kernarg_segment_size: 72
    .language:       OpenCL C
    .language_version:
      - 2
      - 0
    .max_flat_workgroup_size: 128
    .name:           _ZN9rocsparseL19gebsrmvn_2xn_kernelILj128ELj4ELj32E21rocsparse_complex_numIfEEEvi20rocsparse_direction_NS_24const_host_device_scalarIT2_EEPKiS8_PKS5_SA_S6_PS5_21rocsparse_index_base_b
    .private_segment_fixed_size: 0
    .sgpr_count:     16
    .sgpr_spill_count: 0
    .symbol:         _ZN9rocsparseL19gebsrmvn_2xn_kernelILj128ELj4ELj32E21rocsparse_complex_numIfEEEvi20rocsparse_direction_NS_24const_host_device_scalarIT2_EEPKiS8_PKS5_SA_S6_PS5_21rocsparse_index_base_b.kd
    .uniform_work_group_size: 1
    .uses_dynamic_stack: false
    .vgpr_count:     44
    .vgpr_spill_count: 0
    .wavefront_size: 32
  - .args:
      - .offset:         0
        .size:           4
        .value_kind:     by_value
      - .offset:         4
        .size:           4
        .value_kind:     by_value
      - .offset:         8
        .size:           8
        .value_kind:     by_value
      - .actual_access:  read_only
        .address_space:  global
        .offset:         16
        .size:           8
        .value_kind:     global_buffer
      - .actual_access:  read_only
        .address_space:  global
        .offset:         24
        .size:           8
        .value_kind:     global_buffer
      - .actual_access:  read_only
        .address_space:  global
        .offset:         32
        .size:           8
        .value_kind:     global_buffer
      - .actual_access:  read_only
        .address_space:  global
        .offset:         40
        .size:           8
        .value_kind:     global_buffer
      - .offset:         48
        .size:           8
        .value_kind:     by_value
      - .address_space:  global
        .offset:         56
        .size:           8
        .value_kind:     global_buffer
      - .offset:         64
        .size:           4
        .value_kind:     by_value
      - .offset:         68
        .size:           1
        .value_kind:     by_value
    .group_segment_fixed_size: 0
    .kernarg_segment_align: 8
    .kernarg_segment_size: 72
    .language:       OpenCL C
    .language_version:
      - 2
      - 0
    .max_flat_workgroup_size: 128
    .name:           _ZN9rocsparseL19gebsrmvn_2xn_kernelILj128ELj4ELj64E21rocsparse_complex_numIfEEEvi20rocsparse_direction_NS_24const_host_device_scalarIT2_EEPKiS8_PKS5_SA_S6_PS5_21rocsparse_index_base_b
    .private_segment_fixed_size: 0
    .sgpr_count:     16
    .sgpr_spill_count: 0
    .symbol:         _ZN9rocsparseL19gebsrmvn_2xn_kernelILj128ELj4ELj64E21rocsparse_complex_numIfEEEvi20rocsparse_direction_NS_24const_host_device_scalarIT2_EEPKiS8_PKS5_SA_S6_PS5_21rocsparse_index_base_b.kd
    .uniform_work_group_size: 1
    .uses_dynamic_stack: false
    .vgpr_count:     44
    .vgpr_spill_count: 0
    .wavefront_size: 32
  - .args:
      - .offset:         0
        .size:           4
        .value_kind:     by_value
      - .offset:         4
        .size:           4
        .value_kind:     by_value
      - .offset:         8
        .size:           8
        .value_kind:     by_value
      - .actual_access:  read_only
        .address_space:  global
        .offset:         16
        .size:           8
        .value_kind:     global_buffer
      - .actual_access:  read_only
        .address_space:  global
        .offset:         24
        .size:           8
        .value_kind:     global_buffer
      - .actual_access:  read_only
        .address_space:  global
        .offset:         32
        .size:           8
        .value_kind:     global_buffer
      - .actual_access:  read_only
        .address_space:  global
        .offset:         40
        .size:           8
        .value_kind:     global_buffer
      - .offset:         48
        .size:           8
        .value_kind:     by_value
      - .address_space:  global
        .offset:         56
        .size:           8
        .value_kind:     global_buffer
      - .offset:         64
        .size:           4
        .value_kind:     by_value
      - .offset:         68
        .size:           1
        .value_kind:     by_value
    .group_segment_fixed_size: 0
    .kernarg_segment_align: 8
    .kernarg_segment_size: 72
    .language:       OpenCL C
    .language_version:
      - 2
      - 0
    .max_flat_workgroup_size: 128
    .name:           _ZN9rocsparseL19gebsrmvn_2xn_kernelILj128ELj5ELj4E21rocsparse_complex_numIfEEEvi20rocsparse_direction_NS_24const_host_device_scalarIT2_EEPKiS8_PKS5_SA_S6_PS5_21rocsparse_index_base_b
    .private_segment_fixed_size: 0
    .sgpr_count:     16
    .sgpr_spill_count: 0
    .symbol:         _ZN9rocsparseL19gebsrmvn_2xn_kernelILj128ELj5ELj4E21rocsparse_complex_numIfEEEvi20rocsparse_direction_NS_24const_host_device_scalarIT2_EEPKiS8_PKS5_SA_S6_PS5_21rocsparse_index_base_b.kd
    .uniform_work_group_size: 1
    .uses_dynamic_stack: false
    .vgpr_count:     50
    .vgpr_spill_count: 0
    .wavefront_size: 32
  - .args:
      - .offset:         0
        .size:           4
        .value_kind:     by_value
      - .offset:         4
        .size:           4
        .value_kind:     by_value
      - .offset:         8
        .size:           8
        .value_kind:     by_value
      - .actual_access:  read_only
        .address_space:  global
        .offset:         16
        .size:           8
        .value_kind:     global_buffer
      - .actual_access:  read_only
        .address_space:  global
        .offset:         24
        .size:           8
        .value_kind:     global_buffer
      - .actual_access:  read_only
        .address_space:  global
        .offset:         32
        .size:           8
        .value_kind:     global_buffer
      - .actual_access:  read_only
        .address_space:  global
        .offset:         40
        .size:           8
        .value_kind:     global_buffer
      - .offset:         48
        .size:           8
        .value_kind:     by_value
      - .address_space:  global
        .offset:         56
        .size:           8
        .value_kind:     global_buffer
      - .offset:         64
        .size:           4
        .value_kind:     by_value
      - .offset:         68
        .size:           1
        .value_kind:     by_value
    .group_segment_fixed_size: 0
    .kernarg_segment_align: 8
    .kernarg_segment_size: 72
    .language:       OpenCL C
    .language_version:
      - 2
      - 0
    .max_flat_workgroup_size: 128
    .name:           _ZN9rocsparseL19gebsrmvn_2xn_kernelILj128ELj5ELj8E21rocsparse_complex_numIfEEEvi20rocsparse_direction_NS_24const_host_device_scalarIT2_EEPKiS8_PKS5_SA_S6_PS5_21rocsparse_index_base_b
    .private_segment_fixed_size: 0
    .sgpr_count:     16
    .sgpr_spill_count: 0
    .symbol:         _ZN9rocsparseL19gebsrmvn_2xn_kernelILj128ELj5ELj8E21rocsparse_complex_numIfEEEvi20rocsparse_direction_NS_24const_host_device_scalarIT2_EEPKiS8_PKS5_SA_S6_PS5_21rocsparse_index_base_b.kd
    .uniform_work_group_size: 1
    .uses_dynamic_stack: false
    .vgpr_count:     50
    .vgpr_spill_count: 0
    .wavefront_size: 32
  - .args:
      - .offset:         0
        .size:           4
        .value_kind:     by_value
      - .offset:         4
        .size:           4
        .value_kind:     by_value
      - .offset:         8
        .size:           8
        .value_kind:     by_value
      - .actual_access:  read_only
        .address_space:  global
        .offset:         16
        .size:           8
        .value_kind:     global_buffer
      - .actual_access:  read_only
        .address_space:  global
        .offset:         24
        .size:           8
        .value_kind:     global_buffer
      - .actual_access:  read_only
        .address_space:  global
        .offset:         32
        .size:           8
        .value_kind:     global_buffer
      - .actual_access:  read_only
        .address_space:  global
        .offset:         40
        .size:           8
        .value_kind:     global_buffer
      - .offset:         48
        .size:           8
        .value_kind:     by_value
      - .address_space:  global
        .offset:         56
        .size:           8
        .value_kind:     global_buffer
      - .offset:         64
        .size:           4
        .value_kind:     by_value
      - .offset:         68
        .size:           1
        .value_kind:     by_value
    .group_segment_fixed_size: 0
    .kernarg_segment_align: 8
    .kernarg_segment_size: 72
    .language:       OpenCL C
    .language_version:
      - 2
      - 0
    .max_flat_workgroup_size: 128
    .name:           _ZN9rocsparseL19gebsrmvn_2xn_kernelILj128ELj5ELj16E21rocsparse_complex_numIfEEEvi20rocsparse_direction_NS_24const_host_device_scalarIT2_EEPKiS8_PKS5_SA_S6_PS5_21rocsparse_index_base_b
    .private_segment_fixed_size: 0
    .sgpr_count:     16
    .sgpr_spill_count: 0
    .symbol:         _ZN9rocsparseL19gebsrmvn_2xn_kernelILj128ELj5ELj16E21rocsparse_complex_numIfEEEvi20rocsparse_direction_NS_24const_host_device_scalarIT2_EEPKiS8_PKS5_SA_S6_PS5_21rocsparse_index_base_b.kd
    .uniform_work_group_size: 1
    .uses_dynamic_stack: false
    .vgpr_count:     50
    .vgpr_spill_count: 0
    .wavefront_size: 32
  - .args:
      - .offset:         0
        .size:           4
        .value_kind:     by_value
      - .offset:         4
        .size:           4
        .value_kind:     by_value
      - .offset:         8
        .size:           8
        .value_kind:     by_value
      - .actual_access:  read_only
        .address_space:  global
        .offset:         16
        .size:           8
        .value_kind:     global_buffer
      - .actual_access:  read_only
        .address_space:  global
        .offset:         24
        .size:           8
        .value_kind:     global_buffer
      - .actual_access:  read_only
        .address_space:  global
        .offset:         32
        .size:           8
        .value_kind:     global_buffer
      - .actual_access:  read_only
        .address_space:  global
        .offset:         40
        .size:           8
        .value_kind:     global_buffer
      - .offset:         48
        .size:           8
        .value_kind:     by_value
      - .address_space:  global
        .offset:         56
        .size:           8
        .value_kind:     global_buffer
      - .offset:         64
        .size:           4
        .value_kind:     by_value
      - .offset:         68
        .size:           1
        .value_kind:     by_value
    .group_segment_fixed_size: 0
    .kernarg_segment_align: 8
    .kernarg_segment_size: 72
    .language:       OpenCL C
    .language_version:
      - 2
      - 0
    .max_flat_workgroup_size: 128
    .name:           _ZN9rocsparseL19gebsrmvn_2xn_kernelILj128ELj5ELj32E21rocsparse_complex_numIfEEEvi20rocsparse_direction_NS_24const_host_device_scalarIT2_EEPKiS8_PKS5_SA_S6_PS5_21rocsparse_index_base_b
    .private_segment_fixed_size: 0
    .sgpr_count:     16
    .sgpr_spill_count: 0
    .symbol:         _ZN9rocsparseL19gebsrmvn_2xn_kernelILj128ELj5ELj32E21rocsparse_complex_numIfEEEvi20rocsparse_direction_NS_24const_host_device_scalarIT2_EEPKiS8_PKS5_SA_S6_PS5_21rocsparse_index_base_b.kd
    .uniform_work_group_size: 1
    .uses_dynamic_stack: false
    .vgpr_count:     50
    .vgpr_spill_count: 0
    .wavefront_size: 32
  - .args:
      - .offset:         0
        .size:           4
        .value_kind:     by_value
      - .offset:         4
        .size:           4
        .value_kind:     by_value
      - .offset:         8
        .size:           8
        .value_kind:     by_value
      - .actual_access:  read_only
        .address_space:  global
        .offset:         16
        .size:           8
        .value_kind:     global_buffer
      - .actual_access:  read_only
        .address_space:  global
        .offset:         24
        .size:           8
        .value_kind:     global_buffer
      - .actual_access:  read_only
        .address_space:  global
        .offset:         32
        .size:           8
        .value_kind:     global_buffer
      - .actual_access:  read_only
        .address_space:  global
        .offset:         40
        .size:           8
        .value_kind:     global_buffer
      - .offset:         48
        .size:           8
        .value_kind:     by_value
      - .address_space:  global
        .offset:         56
        .size:           8
        .value_kind:     global_buffer
      - .offset:         64
        .size:           4
        .value_kind:     by_value
      - .offset:         68
        .size:           1
        .value_kind:     by_value
    .group_segment_fixed_size: 0
    .kernarg_segment_align: 8
    .kernarg_segment_size: 72
    .language:       OpenCL C
    .language_version:
      - 2
      - 0
    .max_flat_workgroup_size: 128
    .name:           _ZN9rocsparseL19gebsrmvn_2xn_kernelILj128ELj5ELj64E21rocsparse_complex_numIfEEEvi20rocsparse_direction_NS_24const_host_device_scalarIT2_EEPKiS8_PKS5_SA_S6_PS5_21rocsparse_index_base_b
    .private_segment_fixed_size: 0
    .sgpr_count:     16
    .sgpr_spill_count: 0
    .symbol:         _ZN9rocsparseL19gebsrmvn_2xn_kernelILj128ELj5ELj64E21rocsparse_complex_numIfEEEvi20rocsparse_direction_NS_24const_host_device_scalarIT2_EEPKiS8_PKS5_SA_S6_PS5_21rocsparse_index_base_b.kd
    .uniform_work_group_size: 1
    .uses_dynamic_stack: false
    .vgpr_count:     50
    .vgpr_spill_count: 0
    .wavefront_size: 32
  - .args:
      - .offset:         0
        .size:           4
        .value_kind:     by_value
      - .offset:         4
        .size:           4
        .value_kind:     by_value
      - .offset:         8
        .size:           8
        .value_kind:     by_value
      - .actual_access:  read_only
        .address_space:  global
        .offset:         16
        .size:           8
        .value_kind:     global_buffer
      - .actual_access:  read_only
        .address_space:  global
        .offset:         24
        .size:           8
        .value_kind:     global_buffer
      - .actual_access:  read_only
        .address_space:  global
        .offset:         32
        .size:           8
        .value_kind:     global_buffer
      - .actual_access:  read_only
        .address_space:  global
        .offset:         40
        .size:           8
        .value_kind:     global_buffer
      - .offset:         48
        .size:           8
        .value_kind:     by_value
      - .address_space:  global
        .offset:         56
        .size:           8
        .value_kind:     global_buffer
      - .offset:         64
        .size:           4
        .value_kind:     by_value
      - .offset:         68
        .size:           1
        .value_kind:     by_value
    .group_segment_fixed_size: 0
    .kernarg_segment_align: 8
    .kernarg_segment_size: 72
    .language:       OpenCL C
    .language_version:
      - 2
      - 0
    .max_flat_workgroup_size: 128
    .name:           _ZN9rocsparseL19gebsrmvn_2xn_kernelILj128ELj6ELj4E21rocsparse_complex_numIfEEEvi20rocsparse_direction_NS_24const_host_device_scalarIT2_EEPKiS8_PKS5_SA_S6_PS5_21rocsparse_index_base_b
    .private_segment_fixed_size: 0
    .sgpr_count:     16
    .sgpr_spill_count: 0
    .symbol:         _ZN9rocsparseL19gebsrmvn_2xn_kernelILj128ELj6ELj4E21rocsparse_complex_numIfEEEvi20rocsparse_direction_NS_24const_host_device_scalarIT2_EEPKiS8_PKS5_SA_S6_PS5_21rocsparse_index_base_b.kd
    .uniform_work_group_size: 1
    .uses_dynamic_stack: false
    .vgpr_count:     56
    .vgpr_spill_count: 0
    .wavefront_size: 32
  - .args:
      - .offset:         0
        .size:           4
        .value_kind:     by_value
      - .offset:         4
        .size:           4
        .value_kind:     by_value
      - .offset:         8
        .size:           8
        .value_kind:     by_value
      - .actual_access:  read_only
        .address_space:  global
        .offset:         16
        .size:           8
        .value_kind:     global_buffer
      - .actual_access:  read_only
        .address_space:  global
        .offset:         24
        .size:           8
        .value_kind:     global_buffer
      - .actual_access:  read_only
        .address_space:  global
        .offset:         32
        .size:           8
        .value_kind:     global_buffer
      - .actual_access:  read_only
        .address_space:  global
        .offset:         40
        .size:           8
        .value_kind:     global_buffer
      - .offset:         48
        .size:           8
        .value_kind:     by_value
      - .address_space:  global
        .offset:         56
        .size:           8
        .value_kind:     global_buffer
      - .offset:         64
        .size:           4
        .value_kind:     by_value
      - .offset:         68
        .size:           1
        .value_kind:     by_value
    .group_segment_fixed_size: 0
    .kernarg_segment_align: 8
    .kernarg_segment_size: 72
    .language:       OpenCL C
    .language_version:
      - 2
      - 0
    .max_flat_workgroup_size: 128
    .name:           _ZN9rocsparseL19gebsrmvn_2xn_kernelILj128ELj6ELj8E21rocsparse_complex_numIfEEEvi20rocsparse_direction_NS_24const_host_device_scalarIT2_EEPKiS8_PKS5_SA_S6_PS5_21rocsparse_index_base_b
    .private_segment_fixed_size: 0
    .sgpr_count:     16
    .sgpr_spill_count: 0
    .symbol:         _ZN9rocsparseL19gebsrmvn_2xn_kernelILj128ELj6ELj8E21rocsparse_complex_numIfEEEvi20rocsparse_direction_NS_24const_host_device_scalarIT2_EEPKiS8_PKS5_SA_S6_PS5_21rocsparse_index_base_b.kd
    .uniform_work_group_size: 1
    .uses_dynamic_stack: false
    .vgpr_count:     56
    .vgpr_spill_count: 0
    .wavefront_size: 32
  - .args:
      - .offset:         0
        .size:           4
        .value_kind:     by_value
      - .offset:         4
        .size:           4
        .value_kind:     by_value
      - .offset:         8
        .size:           8
        .value_kind:     by_value
      - .actual_access:  read_only
        .address_space:  global
        .offset:         16
        .size:           8
        .value_kind:     global_buffer
      - .actual_access:  read_only
        .address_space:  global
        .offset:         24
        .size:           8
        .value_kind:     global_buffer
      - .actual_access:  read_only
        .address_space:  global
        .offset:         32
        .size:           8
        .value_kind:     global_buffer
      - .actual_access:  read_only
        .address_space:  global
        .offset:         40
        .size:           8
        .value_kind:     global_buffer
      - .offset:         48
        .size:           8
        .value_kind:     by_value
      - .address_space:  global
        .offset:         56
        .size:           8
        .value_kind:     global_buffer
      - .offset:         64
        .size:           4
        .value_kind:     by_value
      - .offset:         68
        .size:           1
        .value_kind:     by_value
    .group_segment_fixed_size: 0
    .kernarg_segment_align: 8
    .kernarg_segment_size: 72
    .language:       OpenCL C
    .language_version:
      - 2
      - 0
    .max_flat_workgroup_size: 128
    .name:           _ZN9rocsparseL19gebsrmvn_2xn_kernelILj128ELj6ELj16E21rocsparse_complex_numIfEEEvi20rocsparse_direction_NS_24const_host_device_scalarIT2_EEPKiS8_PKS5_SA_S6_PS5_21rocsparse_index_base_b
    .private_segment_fixed_size: 0
    .sgpr_count:     16
    .sgpr_spill_count: 0
    .symbol:         _ZN9rocsparseL19gebsrmvn_2xn_kernelILj128ELj6ELj16E21rocsparse_complex_numIfEEEvi20rocsparse_direction_NS_24const_host_device_scalarIT2_EEPKiS8_PKS5_SA_S6_PS5_21rocsparse_index_base_b.kd
    .uniform_work_group_size: 1
    .uses_dynamic_stack: false
    .vgpr_count:     56
    .vgpr_spill_count: 0
    .wavefront_size: 32
  - .args:
      - .offset:         0
        .size:           4
        .value_kind:     by_value
      - .offset:         4
        .size:           4
        .value_kind:     by_value
      - .offset:         8
        .size:           8
        .value_kind:     by_value
      - .actual_access:  read_only
        .address_space:  global
        .offset:         16
        .size:           8
        .value_kind:     global_buffer
      - .actual_access:  read_only
        .address_space:  global
        .offset:         24
        .size:           8
        .value_kind:     global_buffer
      - .actual_access:  read_only
        .address_space:  global
        .offset:         32
        .size:           8
        .value_kind:     global_buffer
      - .actual_access:  read_only
        .address_space:  global
        .offset:         40
        .size:           8
        .value_kind:     global_buffer
      - .offset:         48
        .size:           8
        .value_kind:     by_value
      - .address_space:  global
        .offset:         56
        .size:           8
        .value_kind:     global_buffer
      - .offset:         64
        .size:           4
        .value_kind:     by_value
      - .offset:         68
        .size:           1
        .value_kind:     by_value
    .group_segment_fixed_size: 0
    .kernarg_segment_align: 8
    .kernarg_segment_size: 72
    .language:       OpenCL C
    .language_version:
      - 2
      - 0
    .max_flat_workgroup_size: 128
    .name:           _ZN9rocsparseL19gebsrmvn_2xn_kernelILj128ELj6ELj32E21rocsparse_complex_numIfEEEvi20rocsparse_direction_NS_24const_host_device_scalarIT2_EEPKiS8_PKS5_SA_S6_PS5_21rocsparse_index_base_b
    .private_segment_fixed_size: 0
    .sgpr_count:     16
    .sgpr_spill_count: 0
    .symbol:         _ZN9rocsparseL19gebsrmvn_2xn_kernelILj128ELj6ELj32E21rocsparse_complex_numIfEEEvi20rocsparse_direction_NS_24const_host_device_scalarIT2_EEPKiS8_PKS5_SA_S6_PS5_21rocsparse_index_base_b.kd
    .uniform_work_group_size: 1
    .uses_dynamic_stack: false
    .vgpr_count:     56
    .vgpr_spill_count: 0
    .wavefront_size: 32
  - .args:
      - .offset:         0
        .size:           4
        .value_kind:     by_value
      - .offset:         4
        .size:           4
        .value_kind:     by_value
      - .offset:         8
        .size:           8
        .value_kind:     by_value
      - .actual_access:  read_only
        .address_space:  global
        .offset:         16
        .size:           8
        .value_kind:     global_buffer
      - .actual_access:  read_only
        .address_space:  global
        .offset:         24
        .size:           8
        .value_kind:     global_buffer
      - .actual_access:  read_only
        .address_space:  global
        .offset:         32
        .size:           8
        .value_kind:     global_buffer
      - .actual_access:  read_only
        .address_space:  global
        .offset:         40
        .size:           8
        .value_kind:     global_buffer
      - .offset:         48
        .size:           8
        .value_kind:     by_value
      - .address_space:  global
        .offset:         56
        .size:           8
        .value_kind:     global_buffer
      - .offset:         64
        .size:           4
        .value_kind:     by_value
      - .offset:         68
        .size:           1
        .value_kind:     by_value
    .group_segment_fixed_size: 0
    .kernarg_segment_align: 8
    .kernarg_segment_size: 72
    .language:       OpenCL C
    .language_version:
      - 2
      - 0
    .max_flat_workgroup_size: 128
    .name:           _ZN9rocsparseL19gebsrmvn_2xn_kernelILj128ELj6ELj64E21rocsparse_complex_numIfEEEvi20rocsparse_direction_NS_24const_host_device_scalarIT2_EEPKiS8_PKS5_SA_S6_PS5_21rocsparse_index_base_b
    .private_segment_fixed_size: 0
    .sgpr_count:     16
    .sgpr_spill_count: 0
    .symbol:         _ZN9rocsparseL19gebsrmvn_2xn_kernelILj128ELj6ELj64E21rocsparse_complex_numIfEEEvi20rocsparse_direction_NS_24const_host_device_scalarIT2_EEPKiS8_PKS5_SA_S6_PS5_21rocsparse_index_base_b.kd
    .uniform_work_group_size: 1
    .uses_dynamic_stack: false
    .vgpr_count:     56
    .vgpr_spill_count: 0
    .wavefront_size: 32
  - .args:
      - .offset:         0
        .size:           4
        .value_kind:     by_value
      - .offset:         4
        .size:           4
        .value_kind:     by_value
      - .offset:         8
        .size:           8
        .value_kind:     by_value
      - .actual_access:  read_only
        .address_space:  global
        .offset:         16
        .size:           8
        .value_kind:     global_buffer
      - .actual_access:  read_only
        .address_space:  global
        .offset:         24
        .size:           8
        .value_kind:     global_buffer
      - .actual_access:  read_only
        .address_space:  global
        .offset:         32
        .size:           8
        .value_kind:     global_buffer
      - .actual_access:  read_only
        .address_space:  global
        .offset:         40
        .size:           8
        .value_kind:     global_buffer
      - .offset:         48
        .size:           8
        .value_kind:     by_value
      - .address_space:  global
        .offset:         56
        .size:           8
        .value_kind:     global_buffer
      - .offset:         64
        .size:           4
        .value_kind:     by_value
      - .offset:         68
        .size:           1
        .value_kind:     by_value
    .group_segment_fixed_size: 0
    .kernarg_segment_align: 8
    .kernarg_segment_size: 72
    .language:       OpenCL C
    .language_version:
      - 2
      - 0
    .max_flat_workgroup_size: 128
    .name:           _ZN9rocsparseL19gebsrmvn_2xn_kernelILj128ELj7ELj4E21rocsparse_complex_numIfEEEvi20rocsparse_direction_NS_24const_host_device_scalarIT2_EEPKiS8_PKS5_SA_S6_PS5_21rocsparse_index_base_b
    .private_segment_fixed_size: 0
    .sgpr_count:     16
    .sgpr_spill_count: 0
    .symbol:         _ZN9rocsparseL19gebsrmvn_2xn_kernelILj128ELj7ELj4E21rocsparse_complex_numIfEEEvi20rocsparse_direction_NS_24const_host_device_scalarIT2_EEPKiS8_PKS5_SA_S6_PS5_21rocsparse_index_base_b.kd
    .uniform_work_group_size: 1
    .uses_dynamic_stack: false
    .vgpr_count:     62
    .vgpr_spill_count: 0
    .wavefront_size: 32
  - .args:
      - .offset:         0
        .size:           4
        .value_kind:     by_value
      - .offset:         4
        .size:           4
        .value_kind:     by_value
      - .offset:         8
        .size:           8
        .value_kind:     by_value
      - .actual_access:  read_only
        .address_space:  global
        .offset:         16
        .size:           8
        .value_kind:     global_buffer
      - .actual_access:  read_only
        .address_space:  global
        .offset:         24
        .size:           8
        .value_kind:     global_buffer
      - .actual_access:  read_only
        .address_space:  global
        .offset:         32
        .size:           8
        .value_kind:     global_buffer
      - .actual_access:  read_only
        .address_space:  global
        .offset:         40
        .size:           8
        .value_kind:     global_buffer
      - .offset:         48
        .size:           8
        .value_kind:     by_value
      - .address_space:  global
        .offset:         56
        .size:           8
        .value_kind:     global_buffer
      - .offset:         64
        .size:           4
        .value_kind:     by_value
      - .offset:         68
        .size:           1
        .value_kind:     by_value
    .group_segment_fixed_size: 0
    .kernarg_segment_align: 8
    .kernarg_segment_size: 72
    .language:       OpenCL C
    .language_version:
      - 2
      - 0
    .max_flat_workgroup_size: 128
    .name:           _ZN9rocsparseL19gebsrmvn_2xn_kernelILj128ELj7ELj8E21rocsparse_complex_numIfEEEvi20rocsparse_direction_NS_24const_host_device_scalarIT2_EEPKiS8_PKS5_SA_S6_PS5_21rocsparse_index_base_b
    .private_segment_fixed_size: 0
    .sgpr_count:     16
    .sgpr_spill_count: 0
    .symbol:         _ZN9rocsparseL19gebsrmvn_2xn_kernelILj128ELj7ELj8E21rocsparse_complex_numIfEEEvi20rocsparse_direction_NS_24const_host_device_scalarIT2_EEPKiS8_PKS5_SA_S6_PS5_21rocsparse_index_base_b.kd
    .uniform_work_group_size: 1
    .uses_dynamic_stack: false
    .vgpr_count:     62
    .vgpr_spill_count: 0
    .wavefront_size: 32
  - .args:
      - .offset:         0
        .size:           4
        .value_kind:     by_value
      - .offset:         4
        .size:           4
        .value_kind:     by_value
      - .offset:         8
        .size:           8
        .value_kind:     by_value
      - .actual_access:  read_only
        .address_space:  global
        .offset:         16
        .size:           8
        .value_kind:     global_buffer
      - .actual_access:  read_only
        .address_space:  global
        .offset:         24
        .size:           8
        .value_kind:     global_buffer
      - .actual_access:  read_only
        .address_space:  global
        .offset:         32
        .size:           8
        .value_kind:     global_buffer
      - .actual_access:  read_only
        .address_space:  global
        .offset:         40
        .size:           8
        .value_kind:     global_buffer
      - .offset:         48
        .size:           8
        .value_kind:     by_value
      - .address_space:  global
        .offset:         56
        .size:           8
        .value_kind:     global_buffer
      - .offset:         64
        .size:           4
        .value_kind:     by_value
      - .offset:         68
        .size:           1
        .value_kind:     by_value
    .group_segment_fixed_size: 0
    .kernarg_segment_align: 8
    .kernarg_segment_size: 72
    .language:       OpenCL C
    .language_version:
      - 2
      - 0
    .max_flat_workgroup_size: 128
    .name:           _ZN9rocsparseL19gebsrmvn_2xn_kernelILj128ELj7ELj16E21rocsparse_complex_numIfEEEvi20rocsparse_direction_NS_24const_host_device_scalarIT2_EEPKiS8_PKS5_SA_S6_PS5_21rocsparse_index_base_b
    .private_segment_fixed_size: 0
    .sgpr_count:     16
    .sgpr_spill_count: 0
    .symbol:         _ZN9rocsparseL19gebsrmvn_2xn_kernelILj128ELj7ELj16E21rocsparse_complex_numIfEEEvi20rocsparse_direction_NS_24const_host_device_scalarIT2_EEPKiS8_PKS5_SA_S6_PS5_21rocsparse_index_base_b.kd
    .uniform_work_group_size: 1
    .uses_dynamic_stack: false
    .vgpr_count:     62
    .vgpr_spill_count: 0
    .wavefront_size: 32
  - .args:
      - .offset:         0
        .size:           4
        .value_kind:     by_value
      - .offset:         4
        .size:           4
        .value_kind:     by_value
      - .offset:         8
        .size:           8
        .value_kind:     by_value
      - .actual_access:  read_only
        .address_space:  global
        .offset:         16
        .size:           8
        .value_kind:     global_buffer
      - .actual_access:  read_only
        .address_space:  global
        .offset:         24
        .size:           8
        .value_kind:     global_buffer
      - .actual_access:  read_only
        .address_space:  global
        .offset:         32
        .size:           8
        .value_kind:     global_buffer
      - .actual_access:  read_only
        .address_space:  global
        .offset:         40
        .size:           8
        .value_kind:     global_buffer
      - .offset:         48
        .size:           8
        .value_kind:     by_value
      - .address_space:  global
        .offset:         56
        .size:           8
        .value_kind:     global_buffer
      - .offset:         64
        .size:           4
        .value_kind:     by_value
      - .offset:         68
        .size:           1
        .value_kind:     by_value
    .group_segment_fixed_size: 0
    .kernarg_segment_align: 8
    .kernarg_segment_size: 72
    .language:       OpenCL C
    .language_version:
      - 2
      - 0
    .max_flat_workgroup_size: 128
    .name:           _ZN9rocsparseL19gebsrmvn_2xn_kernelILj128ELj7ELj32E21rocsparse_complex_numIfEEEvi20rocsparse_direction_NS_24const_host_device_scalarIT2_EEPKiS8_PKS5_SA_S6_PS5_21rocsparse_index_base_b
    .private_segment_fixed_size: 0
    .sgpr_count:     16
    .sgpr_spill_count: 0
    .symbol:         _ZN9rocsparseL19gebsrmvn_2xn_kernelILj128ELj7ELj32E21rocsparse_complex_numIfEEEvi20rocsparse_direction_NS_24const_host_device_scalarIT2_EEPKiS8_PKS5_SA_S6_PS5_21rocsparse_index_base_b.kd
    .uniform_work_group_size: 1
    .uses_dynamic_stack: false
    .vgpr_count:     62
    .vgpr_spill_count: 0
    .wavefront_size: 32
  - .args:
      - .offset:         0
        .size:           4
        .value_kind:     by_value
      - .offset:         4
        .size:           4
        .value_kind:     by_value
      - .offset:         8
        .size:           8
        .value_kind:     by_value
      - .actual_access:  read_only
        .address_space:  global
        .offset:         16
        .size:           8
        .value_kind:     global_buffer
      - .actual_access:  read_only
        .address_space:  global
        .offset:         24
        .size:           8
        .value_kind:     global_buffer
      - .actual_access:  read_only
        .address_space:  global
        .offset:         32
        .size:           8
        .value_kind:     global_buffer
      - .actual_access:  read_only
        .address_space:  global
        .offset:         40
        .size:           8
        .value_kind:     global_buffer
      - .offset:         48
        .size:           8
        .value_kind:     by_value
      - .address_space:  global
        .offset:         56
        .size:           8
        .value_kind:     global_buffer
      - .offset:         64
        .size:           4
        .value_kind:     by_value
      - .offset:         68
        .size:           1
        .value_kind:     by_value
    .group_segment_fixed_size: 0
    .kernarg_segment_align: 8
    .kernarg_segment_size: 72
    .language:       OpenCL C
    .language_version:
      - 2
      - 0
    .max_flat_workgroup_size: 128
    .name:           _ZN9rocsparseL19gebsrmvn_2xn_kernelILj128ELj7ELj64E21rocsparse_complex_numIfEEEvi20rocsparse_direction_NS_24const_host_device_scalarIT2_EEPKiS8_PKS5_SA_S6_PS5_21rocsparse_index_base_b
    .private_segment_fixed_size: 0
    .sgpr_count:     16
    .sgpr_spill_count: 0
    .symbol:         _ZN9rocsparseL19gebsrmvn_2xn_kernelILj128ELj7ELj64E21rocsparse_complex_numIfEEEvi20rocsparse_direction_NS_24const_host_device_scalarIT2_EEPKiS8_PKS5_SA_S6_PS5_21rocsparse_index_base_b.kd
    .uniform_work_group_size: 1
    .uses_dynamic_stack: false
    .vgpr_count:     62
    .vgpr_spill_count: 0
    .wavefront_size: 32
  - .args:
      - .offset:         0
        .size:           4
        .value_kind:     by_value
      - .offset:         4
        .size:           4
        .value_kind:     by_value
      - .offset:         8
        .size:           8
        .value_kind:     by_value
      - .actual_access:  read_only
        .address_space:  global
        .offset:         16
        .size:           8
        .value_kind:     global_buffer
      - .actual_access:  read_only
        .address_space:  global
        .offset:         24
        .size:           8
        .value_kind:     global_buffer
      - .actual_access:  read_only
        .address_space:  global
        .offset:         32
        .size:           8
        .value_kind:     global_buffer
      - .actual_access:  read_only
        .address_space:  global
        .offset:         40
        .size:           8
        .value_kind:     global_buffer
      - .offset:         48
        .size:           8
        .value_kind:     by_value
      - .address_space:  global
        .offset:         56
        .size:           8
        .value_kind:     global_buffer
      - .offset:         64
        .size:           4
        .value_kind:     by_value
      - .offset:         68
        .size:           1
        .value_kind:     by_value
    .group_segment_fixed_size: 0
    .kernarg_segment_align: 8
    .kernarg_segment_size: 72
    .language:       OpenCL C
    .language_version:
      - 2
      - 0
    .max_flat_workgroup_size: 128
    .name:           _ZN9rocsparseL19gebsrmvn_2xn_kernelILj128ELj8ELj4E21rocsparse_complex_numIfEEEvi20rocsparse_direction_NS_24const_host_device_scalarIT2_EEPKiS8_PKS5_SA_S6_PS5_21rocsparse_index_base_b
    .private_segment_fixed_size: 0
    .sgpr_count:     16
    .sgpr_spill_count: 0
    .symbol:         _ZN9rocsparseL19gebsrmvn_2xn_kernelILj128ELj8ELj4E21rocsparse_complex_numIfEEEvi20rocsparse_direction_NS_24const_host_device_scalarIT2_EEPKiS8_PKS5_SA_S6_PS5_21rocsparse_index_base_b.kd
    .uniform_work_group_size: 1
    .uses_dynamic_stack: false
    .vgpr_count:     68
    .vgpr_spill_count: 0
    .wavefront_size: 32
  - .args:
      - .offset:         0
        .size:           4
        .value_kind:     by_value
      - .offset:         4
        .size:           4
        .value_kind:     by_value
      - .offset:         8
        .size:           8
        .value_kind:     by_value
      - .actual_access:  read_only
        .address_space:  global
        .offset:         16
        .size:           8
        .value_kind:     global_buffer
      - .actual_access:  read_only
        .address_space:  global
        .offset:         24
        .size:           8
        .value_kind:     global_buffer
      - .actual_access:  read_only
        .address_space:  global
        .offset:         32
        .size:           8
        .value_kind:     global_buffer
      - .actual_access:  read_only
        .address_space:  global
        .offset:         40
        .size:           8
        .value_kind:     global_buffer
      - .offset:         48
        .size:           8
        .value_kind:     by_value
      - .address_space:  global
        .offset:         56
        .size:           8
        .value_kind:     global_buffer
      - .offset:         64
        .size:           4
        .value_kind:     by_value
      - .offset:         68
        .size:           1
        .value_kind:     by_value
    .group_segment_fixed_size: 0
    .kernarg_segment_align: 8
    .kernarg_segment_size: 72
    .language:       OpenCL C
    .language_version:
      - 2
      - 0
    .max_flat_workgroup_size: 128
    .name:           _ZN9rocsparseL19gebsrmvn_2xn_kernelILj128ELj8ELj8E21rocsparse_complex_numIfEEEvi20rocsparse_direction_NS_24const_host_device_scalarIT2_EEPKiS8_PKS5_SA_S6_PS5_21rocsparse_index_base_b
    .private_segment_fixed_size: 0
    .sgpr_count:     16
    .sgpr_spill_count: 0
    .symbol:         _ZN9rocsparseL19gebsrmvn_2xn_kernelILj128ELj8ELj8E21rocsparse_complex_numIfEEEvi20rocsparse_direction_NS_24const_host_device_scalarIT2_EEPKiS8_PKS5_SA_S6_PS5_21rocsparse_index_base_b.kd
    .uniform_work_group_size: 1
    .uses_dynamic_stack: false
    .vgpr_count:     68
    .vgpr_spill_count: 0
    .wavefront_size: 32
  - .args:
      - .offset:         0
        .size:           4
        .value_kind:     by_value
      - .offset:         4
        .size:           4
        .value_kind:     by_value
      - .offset:         8
        .size:           8
        .value_kind:     by_value
      - .actual_access:  read_only
        .address_space:  global
        .offset:         16
        .size:           8
        .value_kind:     global_buffer
      - .actual_access:  read_only
        .address_space:  global
        .offset:         24
        .size:           8
        .value_kind:     global_buffer
      - .actual_access:  read_only
        .address_space:  global
        .offset:         32
        .size:           8
        .value_kind:     global_buffer
      - .actual_access:  read_only
        .address_space:  global
        .offset:         40
        .size:           8
        .value_kind:     global_buffer
      - .offset:         48
        .size:           8
        .value_kind:     by_value
      - .address_space:  global
        .offset:         56
        .size:           8
        .value_kind:     global_buffer
      - .offset:         64
        .size:           4
        .value_kind:     by_value
      - .offset:         68
        .size:           1
        .value_kind:     by_value
    .group_segment_fixed_size: 0
    .kernarg_segment_align: 8
    .kernarg_segment_size: 72
    .language:       OpenCL C
    .language_version:
      - 2
      - 0
    .max_flat_workgroup_size: 128
    .name:           _ZN9rocsparseL19gebsrmvn_2xn_kernelILj128ELj8ELj16E21rocsparse_complex_numIfEEEvi20rocsparse_direction_NS_24const_host_device_scalarIT2_EEPKiS8_PKS5_SA_S6_PS5_21rocsparse_index_base_b
    .private_segment_fixed_size: 0
    .sgpr_count:     16
    .sgpr_spill_count: 0
    .symbol:         _ZN9rocsparseL19gebsrmvn_2xn_kernelILj128ELj8ELj16E21rocsparse_complex_numIfEEEvi20rocsparse_direction_NS_24const_host_device_scalarIT2_EEPKiS8_PKS5_SA_S6_PS5_21rocsparse_index_base_b.kd
    .uniform_work_group_size: 1
    .uses_dynamic_stack: false
    .vgpr_count:     68
    .vgpr_spill_count: 0
    .wavefront_size: 32
  - .args:
      - .offset:         0
        .size:           4
        .value_kind:     by_value
      - .offset:         4
        .size:           4
        .value_kind:     by_value
      - .offset:         8
        .size:           8
        .value_kind:     by_value
      - .actual_access:  read_only
        .address_space:  global
        .offset:         16
        .size:           8
        .value_kind:     global_buffer
      - .actual_access:  read_only
        .address_space:  global
        .offset:         24
        .size:           8
        .value_kind:     global_buffer
      - .actual_access:  read_only
        .address_space:  global
        .offset:         32
        .size:           8
        .value_kind:     global_buffer
      - .actual_access:  read_only
        .address_space:  global
        .offset:         40
        .size:           8
        .value_kind:     global_buffer
      - .offset:         48
        .size:           8
        .value_kind:     by_value
      - .address_space:  global
        .offset:         56
        .size:           8
        .value_kind:     global_buffer
      - .offset:         64
        .size:           4
        .value_kind:     by_value
      - .offset:         68
        .size:           1
        .value_kind:     by_value
    .group_segment_fixed_size: 0
    .kernarg_segment_align: 8
    .kernarg_segment_size: 72
    .language:       OpenCL C
    .language_version:
      - 2
      - 0
    .max_flat_workgroup_size: 128
    .name:           _ZN9rocsparseL19gebsrmvn_2xn_kernelILj128ELj8ELj32E21rocsparse_complex_numIfEEEvi20rocsparse_direction_NS_24const_host_device_scalarIT2_EEPKiS8_PKS5_SA_S6_PS5_21rocsparse_index_base_b
    .private_segment_fixed_size: 0
    .sgpr_count:     16
    .sgpr_spill_count: 0
    .symbol:         _ZN9rocsparseL19gebsrmvn_2xn_kernelILj128ELj8ELj32E21rocsparse_complex_numIfEEEvi20rocsparse_direction_NS_24const_host_device_scalarIT2_EEPKiS8_PKS5_SA_S6_PS5_21rocsparse_index_base_b.kd
    .uniform_work_group_size: 1
    .uses_dynamic_stack: false
    .vgpr_count:     68
    .vgpr_spill_count: 0
    .wavefront_size: 32
  - .args:
      - .offset:         0
        .size:           4
        .value_kind:     by_value
      - .offset:         4
        .size:           4
        .value_kind:     by_value
      - .offset:         8
        .size:           8
        .value_kind:     by_value
      - .actual_access:  read_only
        .address_space:  global
        .offset:         16
        .size:           8
        .value_kind:     global_buffer
      - .actual_access:  read_only
        .address_space:  global
        .offset:         24
        .size:           8
        .value_kind:     global_buffer
      - .actual_access:  read_only
        .address_space:  global
        .offset:         32
        .size:           8
        .value_kind:     global_buffer
      - .actual_access:  read_only
        .address_space:  global
        .offset:         40
        .size:           8
        .value_kind:     global_buffer
      - .offset:         48
        .size:           8
        .value_kind:     by_value
      - .address_space:  global
        .offset:         56
        .size:           8
        .value_kind:     global_buffer
      - .offset:         64
        .size:           4
        .value_kind:     by_value
      - .offset:         68
        .size:           1
        .value_kind:     by_value
    .group_segment_fixed_size: 0
    .kernarg_segment_align: 8
    .kernarg_segment_size: 72
    .language:       OpenCL C
    .language_version:
      - 2
      - 0
    .max_flat_workgroup_size: 128
    .name:           _ZN9rocsparseL19gebsrmvn_2xn_kernelILj128ELj8ELj64E21rocsparse_complex_numIfEEEvi20rocsparse_direction_NS_24const_host_device_scalarIT2_EEPKiS8_PKS5_SA_S6_PS5_21rocsparse_index_base_b
    .private_segment_fixed_size: 0
    .sgpr_count:     16
    .sgpr_spill_count: 0
    .symbol:         _ZN9rocsparseL19gebsrmvn_2xn_kernelILj128ELj8ELj64E21rocsparse_complex_numIfEEEvi20rocsparse_direction_NS_24const_host_device_scalarIT2_EEPKiS8_PKS5_SA_S6_PS5_21rocsparse_index_base_b.kd
    .uniform_work_group_size: 1
    .uses_dynamic_stack: false
    .vgpr_count:     68
    .vgpr_spill_count: 0
    .wavefront_size: 32
  - .args:
      - .offset:         0
        .size:           4
        .value_kind:     by_value
      - .offset:         4
        .size:           4
        .value_kind:     by_value
      - .offset:         8
        .size:           8
        .value_kind:     by_value
      - .actual_access:  read_only
        .address_space:  global
        .offset:         16
        .size:           8
        .value_kind:     global_buffer
      - .actual_access:  read_only
        .address_space:  global
        .offset:         24
        .size:           8
        .value_kind:     global_buffer
      - .actual_access:  read_only
        .address_space:  global
        .offset:         32
        .size:           8
        .value_kind:     global_buffer
      - .actual_access:  read_only
        .address_space:  global
        .offset:         40
        .size:           8
        .value_kind:     global_buffer
      - .offset:         48
        .size:           8
        .value_kind:     by_value
      - .address_space:  global
        .offset:         56
        .size:           8
        .value_kind:     global_buffer
      - .offset:         64
        .size:           4
        .value_kind:     by_value
      - .offset:         68
        .size:           1
        .value_kind:     by_value
    .group_segment_fixed_size: 0
    .kernarg_segment_align: 8
    .kernarg_segment_size: 72
    .language:       OpenCL C
    .language_version:
      - 2
      - 0
    .max_flat_workgroup_size: 128
    .name:           _ZN9rocsparseL19gebsrmvn_2xn_kernelILj128ELj9ELj4E21rocsparse_complex_numIfEEEvi20rocsparse_direction_NS_24const_host_device_scalarIT2_EEPKiS8_PKS5_SA_S6_PS5_21rocsparse_index_base_b
    .private_segment_fixed_size: 0
    .sgpr_count:     16
    .sgpr_spill_count: 0
    .symbol:         _ZN9rocsparseL19gebsrmvn_2xn_kernelILj128ELj9ELj4E21rocsparse_complex_numIfEEEvi20rocsparse_direction_NS_24const_host_device_scalarIT2_EEPKiS8_PKS5_SA_S6_PS5_21rocsparse_index_base_b.kd
    .uniform_work_group_size: 1
    .uses_dynamic_stack: false
    .vgpr_count:     74
    .vgpr_spill_count: 0
    .wavefront_size: 32
  - .args:
      - .offset:         0
        .size:           4
        .value_kind:     by_value
      - .offset:         4
        .size:           4
        .value_kind:     by_value
      - .offset:         8
        .size:           8
        .value_kind:     by_value
      - .actual_access:  read_only
        .address_space:  global
        .offset:         16
        .size:           8
        .value_kind:     global_buffer
      - .actual_access:  read_only
        .address_space:  global
        .offset:         24
        .size:           8
        .value_kind:     global_buffer
      - .actual_access:  read_only
        .address_space:  global
        .offset:         32
        .size:           8
        .value_kind:     global_buffer
      - .actual_access:  read_only
        .address_space:  global
        .offset:         40
        .size:           8
        .value_kind:     global_buffer
      - .offset:         48
        .size:           8
        .value_kind:     by_value
      - .address_space:  global
        .offset:         56
        .size:           8
        .value_kind:     global_buffer
      - .offset:         64
        .size:           4
        .value_kind:     by_value
      - .offset:         68
        .size:           1
        .value_kind:     by_value
    .group_segment_fixed_size: 0
    .kernarg_segment_align: 8
    .kernarg_segment_size: 72
    .language:       OpenCL C
    .language_version:
      - 2
      - 0
    .max_flat_workgroup_size: 128
    .name:           _ZN9rocsparseL19gebsrmvn_2xn_kernelILj128ELj9ELj8E21rocsparse_complex_numIfEEEvi20rocsparse_direction_NS_24const_host_device_scalarIT2_EEPKiS8_PKS5_SA_S6_PS5_21rocsparse_index_base_b
    .private_segment_fixed_size: 0
    .sgpr_count:     16
    .sgpr_spill_count: 0
    .symbol:         _ZN9rocsparseL19gebsrmvn_2xn_kernelILj128ELj9ELj8E21rocsparse_complex_numIfEEEvi20rocsparse_direction_NS_24const_host_device_scalarIT2_EEPKiS8_PKS5_SA_S6_PS5_21rocsparse_index_base_b.kd
    .uniform_work_group_size: 1
    .uses_dynamic_stack: false
    .vgpr_count:     74
    .vgpr_spill_count: 0
    .wavefront_size: 32
  - .args:
      - .offset:         0
        .size:           4
        .value_kind:     by_value
      - .offset:         4
        .size:           4
        .value_kind:     by_value
      - .offset:         8
        .size:           8
        .value_kind:     by_value
      - .actual_access:  read_only
        .address_space:  global
        .offset:         16
        .size:           8
        .value_kind:     global_buffer
      - .actual_access:  read_only
        .address_space:  global
        .offset:         24
        .size:           8
        .value_kind:     global_buffer
      - .actual_access:  read_only
        .address_space:  global
        .offset:         32
        .size:           8
        .value_kind:     global_buffer
      - .actual_access:  read_only
        .address_space:  global
        .offset:         40
        .size:           8
        .value_kind:     global_buffer
      - .offset:         48
        .size:           8
        .value_kind:     by_value
      - .address_space:  global
        .offset:         56
        .size:           8
        .value_kind:     global_buffer
      - .offset:         64
        .size:           4
        .value_kind:     by_value
      - .offset:         68
        .size:           1
        .value_kind:     by_value
    .group_segment_fixed_size: 0
    .kernarg_segment_align: 8
    .kernarg_segment_size: 72
    .language:       OpenCL C
    .language_version:
      - 2
      - 0
    .max_flat_workgroup_size: 128
    .name:           _ZN9rocsparseL19gebsrmvn_2xn_kernelILj128ELj9ELj16E21rocsparse_complex_numIfEEEvi20rocsparse_direction_NS_24const_host_device_scalarIT2_EEPKiS8_PKS5_SA_S6_PS5_21rocsparse_index_base_b
    .private_segment_fixed_size: 0
    .sgpr_count:     16
    .sgpr_spill_count: 0
    .symbol:         _ZN9rocsparseL19gebsrmvn_2xn_kernelILj128ELj9ELj16E21rocsparse_complex_numIfEEEvi20rocsparse_direction_NS_24const_host_device_scalarIT2_EEPKiS8_PKS5_SA_S6_PS5_21rocsparse_index_base_b.kd
    .uniform_work_group_size: 1
    .uses_dynamic_stack: false
    .vgpr_count:     74
    .vgpr_spill_count: 0
    .wavefront_size: 32
  - .args:
      - .offset:         0
        .size:           4
        .value_kind:     by_value
      - .offset:         4
        .size:           4
        .value_kind:     by_value
      - .offset:         8
        .size:           8
        .value_kind:     by_value
      - .actual_access:  read_only
        .address_space:  global
        .offset:         16
        .size:           8
        .value_kind:     global_buffer
      - .actual_access:  read_only
        .address_space:  global
        .offset:         24
        .size:           8
        .value_kind:     global_buffer
      - .actual_access:  read_only
        .address_space:  global
        .offset:         32
        .size:           8
        .value_kind:     global_buffer
      - .actual_access:  read_only
        .address_space:  global
        .offset:         40
        .size:           8
        .value_kind:     global_buffer
      - .offset:         48
        .size:           8
        .value_kind:     by_value
      - .address_space:  global
        .offset:         56
        .size:           8
        .value_kind:     global_buffer
      - .offset:         64
        .size:           4
        .value_kind:     by_value
      - .offset:         68
        .size:           1
        .value_kind:     by_value
    .group_segment_fixed_size: 0
    .kernarg_segment_align: 8
    .kernarg_segment_size: 72
    .language:       OpenCL C
    .language_version:
      - 2
      - 0
    .max_flat_workgroup_size: 128
    .name:           _ZN9rocsparseL19gebsrmvn_2xn_kernelILj128ELj9ELj32E21rocsparse_complex_numIfEEEvi20rocsparse_direction_NS_24const_host_device_scalarIT2_EEPKiS8_PKS5_SA_S6_PS5_21rocsparse_index_base_b
    .private_segment_fixed_size: 0
    .sgpr_count:     16
    .sgpr_spill_count: 0
    .symbol:         _ZN9rocsparseL19gebsrmvn_2xn_kernelILj128ELj9ELj32E21rocsparse_complex_numIfEEEvi20rocsparse_direction_NS_24const_host_device_scalarIT2_EEPKiS8_PKS5_SA_S6_PS5_21rocsparse_index_base_b.kd
    .uniform_work_group_size: 1
    .uses_dynamic_stack: false
    .vgpr_count:     74
    .vgpr_spill_count: 0
    .wavefront_size: 32
  - .args:
      - .offset:         0
        .size:           4
        .value_kind:     by_value
      - .offset:         4
        .size:           4
        .value_kind:     by_value
      - .offset:         8
        .size:           8
        .value_kind:     by_value
      - .actual_access:  read_only
        .address_space:  global
        .offset:         16
        .size:           8
        .value_kind:     global_buffer
      - .actual_access:  read_only
        .address_space:  global
        .offset:         24
        .size:           8
        .value_kind:     global_buffer
      - .actual_access:  read_only
        .address_space:  global
        .offset:         32
        .size:           8
        .value_kind:     global_buffer
      - .actual_access:  read_only
        .address_space:  global
        .offset:         40
        .size:           8
        .value_kind:     global_buffer
      - .offset:         48
        .size:           8
        .value_kind:     by_value
      - .address_space:  global
        .offset:         56
        .size:           8
        .value_kind:     global_buffer
      - .offset:         64
        .size:           4
        .value_kind:     by_value
      - .offset:         68
        .size:           1
        .value_kind:     by_value
    .group_segment_fixed_size: 0
    .kernarg_segment_align: 8
    .kernarg_segment_size: 72
    .language:       OpenCL C
    .language_version:
      - 2
      - 0
    .max_flat_workgroup_size: 128
    .name:           _ZN9rocsparseL19gebsrmvn_2xn_kernelILj128ELj9ELj64E21rocsparse_complex_numIfEEEvi20rocsparse_direction_NS_24const_host_device_scalarIT2_EEPKiS8_PKS5_SA_S6_PS5_21rocsparse_index_base_b
    .private_segment_fixed_size: 0
    .sgpr_count:     16
    .sgpr_spill_count: 0
    .symbol:         _ZN9rocsparseL19gebsrmvn_2xn_kernelILj128ELj9ELj64E21rocsparse_complex_numIfEEEvi20rocsparse_direction_NS_24const_host_device_scalarIT2_EEPKiS8_PKS5_SA_S6_PS5_21rocsparse_index_base_b.kd
    .uniform_work_group_size: 1
    .uses_dynamic_stack: false
    .vgpr_count:     74
    .vgpr_spill_count: 0
    .wavefront_size: 32
  - .args:
      - .offset:         0
        .size:           4
        .value_kind:     by_value
      - .offset:         4
        .size:           4
        .value_kind:     by_value
      - .offset:         8
        .size:           8
        .value_kind:     by_value
      - .actual_access:  read_only
        .address_space:  global
        .offset:         16
        .size:           8
        .value_kind:     global_buffer
      - .actual_access:  read_only
        .address_space:  global
        .offset:         24
        .size:           8
        .value_kind:     global_buffer
      - .actual_access:  read_only
        .address_space:  global
        .offset:         32
        .size:           8
        .value_kind:     global_buffer
      - .actual_access:  read_only
        .address_space:  global
        .offset:         40
        .size:           8
        .value_kind:     global_buffer
      - .offset:         48
        .size:           8
        .value_kind:     by_value
      - .address_space:  global
        .offset:         56
        .size:           8
        .value_kind:     global_buffer
      - .offset:         64
        .size:           4
        .value_kind:     by_value
      - .offset:         68
        .size:           1
        .value_kind:     by_value
    .group_segment_fixed_size: 0
    .kernarg_segment_align: 8
    .kernarg_segment_size: 72
    .language:       OpenCL C
    .language_version:
      - 2
      - 0
    .max_flat_workgroup_size: 128
    .name:           _ZN9rocsparseL19gebsrmvn_2xn_kernelILj128ELj10ELj4E21rocsparse_complex_numIfEEEvi20rocsparse_direction_NS_24const_host_device_scalarIT2_EEPKiS8_PKS5_SA_S6_PS5_21rocsparse_index_base_b
    .private_segment_fixed_size: 0
    .sgpr_count:     16
    .sgpr_spill_count: 0
    .symbol:         _ZN9rocsparseL19gebsrmvn_2xn_kernelILj128ELj10ELj4E21rocsparse_complex_numIfEEEvi20rocsparse_direction_NS_24const_host_device_scalarIT2_EEPKiS8_PKS5_SA_S6_PS5_21rocsparse_index_base_b.kd
    .uniform_work_group_size: 1
    .uses_dynamic_stack: false
    .vgpr_count:     80
    .vgpr_spill_count: 0
    .wavefront_size: 32
  - .args:
      - .offset:         0
        .size:           4
        .value_kind:     by_value
      - .offset:         4
        .size:           4
        .value_kind:     by_value
      - .offset:         8
        .size:           8
        .value_kind:     by_value
      - .actual_access:  read_only
        .address_space:  global
        .offset:         16
        .size:           8
        .value_kind:     global_buffer
      - .actual_access:  read_only
        .address_space:  global
        .offset:         24
        .size:           8
        .value_kind:     global_buffer
      - .actual_access:  read_only
        .address_space:  global
        .offset:         32
        .size:           8
        .value_kind:     global_buffer
      - .actual_access:  read_only
        .address_space:  global
        .offset:         40
        .size:           8
        .value_kind:     global_buffer
      - .offset:         48
        .size:           8
        .value_kind:     by_value
      - .address_space:  global
        .offset:         56
        .size:           8
        .value_kind:     global_buffer
      - .offset:         64
        .size:           4
        .value_kind:     by_value
      - .offset:         68
        .size:           1
        .value_kind:     by_value
    .group_segment_fixed_size: 0
    .kernarg_segment_align: 8
    .kernarg_segment_size: 72
    .language:       OpenCL C
    .language_version:
      - 2
      - 0
    .max_flat_workgroup_size: 128
    .name:           _ZN9rocsparseL19gebsrmvn_2xn_kernelILj128ELj10ELj8E21rocsparse_complex_numIfEEEvi20rocsparse_direction_NS_24const_host_device_scalarIT2_EEPKiS8_PKS5_SA_S6_PS5_21rocsparse_index_base_b
    .private_segment_fixed_size: 0
    .sgpr_count:     16
    .sgpr_spill_count: 0
    .symbol:         _ZN9rocsparseL19gebsrmvn_2xn_kernelILj128ELj10ELj8E21rocsparse_complex_numIfEEEvi20rocsparse_direction_NS_24const_host_device_scalarIT2_EEPKiS8_PKS5_SA_S6_PS5_21rocsparse_index_base_b.kd
    .uniform_work_group_size: 1
    .uses_dynamic_stack: false
    .vgpr_count:     80
    .vgpr_spill_count: 0
    .wavefront_size: 32
  - .args:
      - .offset:         0
        .size:           4
        .value_kind:     by_value
      - .offset:         4
        .size:           4
        .value_kind:     by_value
      - .offset:         8
        .size:           8
        .value_kind:     by_value
      - .actual_access:  read_only
        .address_space:  global
        .offset:         16
        .size:           8
        .value_kind:     global_buffer
      - .actual_access:  read_only
        .address_space:  global
        .offset:         24
        .size:           8
        .value_kind:     global_buffer
      - .actual_access:  read_only
        .address_space:  global
        .offset:         32
        .size:           8
        .value_kind:     global_buffer
      - .actual_access:  read_only
        .address_space:  global
        .offset:         40
        .size:           8
        .value_kind:     global_buffer
      - .offset:         48
        .size:           8
        .value_kind:     by_value
      - .address_space:  global
        .offset:         56
        .size:           8
        .value_kind:     global_buffer
      - .offset:         64
        .size:           4
        .value_kind:     by_value
      - .offset:         68
        .size:           1
        .value_kind:     by_value
    .group_segment_fixed_size: 0
    .kernarg_segment_align: 8
    .kernarg_segment_size: 72
    .language:       OpenCL C
    .language_version:
      - 2
      - 0
    .max_flat_workgroup_size: 128
    .name:           _ZN9rocsparseL19gebsrmvn_2xn_kernelILj128ELj10ELj16E21rocsparse_complex_numIfEEEvi20rocsparse_direction_NS_24const_host_device_scalarIT2_EEPKiS8_PKS5_SA_S6_PS5_21rocsparse_index_base_b
    .private_segment_fixed_size: 0
    .sgpr_count:     16
    .sgpr_spill_count: 0
    .symbol:         _ZN9rocsparseL19gebsrmvn_2xn_kernelILj128ELj10ELj16E21rocsparse_complex_numIfEEEvi20rocsparse_direction_NS_24const_host_device_scalarIT2_EEPKiS8_PKS5_SA_S6_PS5_21rocsparse_index_base_b.kd
    .uniform_work_group_size: 1
    .uses_dynamic_stack: false
    .vgpr_count:     80
    .vgpr_spill_count: 0
    .wavefront_size: 32
  - .args:
      - .offset:         0
        .size:           4
        .value_kind:     by_value
      - .offset:         4
        .size:           4
        .value_kind:     by_value
      - .offset:         8
        .size:           8
        .value_kind:     by_value
      - .actual_access:  read_only
        .address_space:  global
        .offset:         16
        .size:           8
        .value_kind:     global_buffer
      - .actual_access:  read_only
        .address_space:  global
        .offset:         24
        .size:           8
        .value_kind:     global_buffer
      - .actual_access:  read_only
        .address_space:  global
        .offset:         32
        .size:           8
        .value_kind:     global_buffer
      - .actual_access:  read_only
        .address_space:  global
        .offset:         40
        .size:           8
        .value_kind:     global_buffer
      - .offset:         48
        .size:           8
        .value_kind:     by_value
      - .address_space:  global
        .offset:         56
        .size:           8
        .value_kind:     global_buffer
      - .offset:         64
        .size:           4
        .value_kind:     by_value
      - .offset:         68
        .size:           1
        .value_kind:     by_value
    .group_segment_fixed_size: 0
    .kernarg_segment_align: 8
    .kernarg_segment_size: 72
    .language:       OpenCL C
    .language_version:
      - 2
      - 0
    .max_flat_workgroup_size: 128
    .name:           _ZN9rocsparseL19gebsrmvn_2xn_kernelILj128ELj10ELj32E21rocsparse_complex_numIfEEEvi20rocsparse_direction_NS_24const_host_device_scalarIT2_EEPKiS8_PKS5_SA_S6_PS5_21rocsparse_index_base_b
    .private_segment_fixed_size: 0
    .sgpr_count:     16
    .sgpr_spill_count: 0
    .symbol:         _ZN9rocsparseL19gebsrmvn_2xn_kernelILj128ELj10ELj32E21rocsparse_complex_numIfEEEvi20rocsparse_direction_NS_24const_host_device_scalarIT2_EEPKiS8_PKS5_SA_S6_PS5_21rocsparse_index_base_b.kd
    .uniform_work_group_size: 1
    .uses_dynamic_stack: false
    .vgpr_count:     80
    .vgpr_spill_count: 0
    .wavefront_size: 32
  - .args:
      - .offset:         0
        .size:           4
        .value_kind:     by_value
      - .offset:         4
        .size:           4
        .value_kind:     by_value
      - .offset:         8
        .size:           8
        .value_kind:     by_value
      - .actual_access:  read_only
        .address_space:  global
        .offset:         16
        .size:           8
        .value_kind:     global_buffer
      - .actual_access:  read_only
        .address_space:  global
        .offset:         24
        .size:           8
        .value_kind:     global_buffer
      - .actual_access:  read_only
        .address_space:  global
        .offset:         32
        .size:           8
        .value_kind:     global_buffer
      - .actual_access:  read_only
        .address_space:  global
        .offset:         40
        .size:           8
        .value_kind:     global_buffer
      - .offset:         48
        .size:           8
        .value_kind:     by_value
      - .address_space:  global
        .offset:         56
        .size:           8
        .value_kind:     global_buffer
      - .offset:         64
        .size:           4
        .value_kind:     by_value
      - .offset:         68
        .size:           1
        .value_kind:     by_value
    .group_segment_fixed_size: 0
    .kernarg_segment_align: 8
    .kernarg_segment_size: 72
    .language:       OpenCL C
    .language_version:
      - 2
      - 0
    .max_flat_workgroup_size: 128
    .name:           _ZN9rocsparseL19gebsrmvn_2xn_kernelILj128ELj10ELj64E21rocsparse_complex_numIfEEEvi20rocsparse_direction_NS_24const_host_device_scalarIT2_EEPKiS8_PKS5_SA_S6_PS5_21rocsparse_index_base_b
    .private_segment_fixed_size: 0
    .sgpr_count:     16
    .sgpr_spill_count: 0
    .symbol:         _ZN9rocsparseL19gebsrmvn_2xn_kernelILj128ELj10ELj64E21rocsparse_complex_numIfEEEvi20rocsparse_direction_NS_24const_host_device_scalarIT2_EEPKiS8_PKS5_SA_S6_PS5_21rocsparse_index_base_b.kd
    .uniform_work_group_size: 1
    .uses_dynamic_stack: false
    .vgpr_count:     80
    .vgpr_spill_count: 0
    .wavefront_size: 32
  - .args:
      - .offset:         0
        .size:           4
        .value_kind:     by_value
      - .offset:         4
        .size:           4
        .value_kind:     by_value
      - .offset:         8
        .size:           8
        .value_kind:     by_value
      - .actual_access:  read_only
        .address_space:  global
        .offset:         16
        .size:           8
        .value_kind:     global_buffer
      - .actual_access:  read_only
        .address_space:  global
        .offset:         24
        .size:           8
        .value_kind:     global_buffer
      - .actual_access:  read_only
        .address_space:  global
        .offset:         32
        .size:           8
        .value_kind:     global_buffer
      - .actual_access:  read_only
        .address_space:  global
        .offset:         40
        .size:           8
        .value_kind:     global_buffer
      - .offset:         48
        .size:           8
        .value_kind:     by_value
      - .address_space:  global
        .offset:         56
        .size:           8
        .value_kind:     global_buffer
      - .offset:         64
        .size:           4
        .value_kind:     by_value
      - .offset:         68
        .size:           1
        .value_kind:     by_value
    .group_segment_fixed_size: 0
    .kernarg_segment_align: 8
    .kernarg_segment_size: 72
    .language:       OpenCL C
    .language_version:
      - 2
      - 0
    .max_flat_workgroup_size: 128
    .name:           _ZN9rocsparseL19gebsrmvn_2xn_kernelILj128ELj11ELj4E21rocsparse_complex_numIfEEEvi20rocsparse_direction_NS_24const_host_device_scalarIT2_EEPKiS8_PKS5_SA_S6_PS5_21rocsparse_index_base_b
    .private_segment_fixed_size: 0
    .sgpr_count:     16
    .sgpr_spill_count: 0
    .symbol:         _ZN9rocsparseL19gebsrmvn_2xn_kernelILj128ELj11ELj4E21rocsparse_complex_numIfEEEvi20rocsparse_direction_NS_24const_host_device_scalarIT2_EEPKiS8_PKS5_SA_S6_PS5_21rocsparse_index_base_b.kd
    .uniform_work_group_size: 1
    .uses_dynamic_stack: false
    .vgpr_count:     86
    .vgpr_spill_count: 0
    .wavefront_size: 32
  - .args:
      - .offset:         0
        .size:           4
        .value_kind:     by_value
      - .offset:         4
        .size:           4
        .value_kind:     by_value
      - .offset:         8
        .size:           8
        .value_kind:     by_value
      - .actual_access:  read_only
        .address_space:  global
        .offset:         16
        .size:           8
        .value_kind:     global_buffer
      - .actual_access:  read_only
        .address_space:  global
        .offset:         24
        .size:           8
        .value_kind:     global_buffer
      - .actual_access:  read_only
        .address_space:  global
        .offset:         32
        .size:           8
        .value_kind:     global_buffer
      - .actual_access:  read_only
        .address_space:  global
        .offset:         40
        .size:           8
        .value_kind:     global_buffer
      - .offset:         48
        .size:           8
        .value_kind:     by_value
      - .address_space:  global
        .offset:         56
        .size:           8
        .value_kind:     global_buffer
      - .offset:         64
        .size:           4
        .value_kind:     by_value
      - .offset:         68
        .size:           1
        .value_kind:     by_value
    .group_segment_fixed_size: 0
    .kernarg_segment_align: 8
    .kernarg_segment_size: 72
    .language:       OpenCL C
    .language_version:
      - 2
      - 0
    .max_flat_workgroup_size: 128
    .name:           _ZN9rocsparseL19gebsrmvn_2xn_kernelILj128ELj11ELj8E21rocsparse_complex_numIfEEEvi20rocsparse_direction_NS_24const_host_device_scalarIT2_EEPKiS8_PKS5_SA_S6_PS5_21rocsparse_index_base_b
    .private_segment_fixed_size: 0
    .sgpr_count:     16
    .sgpr_spill_count: 0
    .symbol:         _ZN9rocsparseL19gebsrmvn_2xn_kernelILj128ELj11ELj8E21rocsparse_complex_numIfEEEvi20rocsparse_direction_NS_24const_host_device_scalarIT2_EEPKiS8_PKS5_SA_S6_PS5_21rocsparse_index_base_b.kd
    .uniform_work_group_size: 1
    .uses_dynamic_stack: false
    .vgpr_count:     86
    .vgpr_spill_count: 0
    .wavefront_size: 32
  - .args:
      - .offset:         0
        .size:           4
        .value_kind:     by_value
      - .offset:         4
        .size:           4
        .value_kind:     by_value
      - .offset:         8
        .size:           8
        .value_kind:     by_value
      - .actual_access:  read_only
        .address_space:  global
        .offset:         16
        .size:           8
        .value_kind:     global_buffer
      - .actual_access:  read_only
        .address_space:  global
        .offset:         24
        .size:           8
        .value_kind:     global_buffer
      - .actual_access:  read_only
        .address_space:  global
        .offset:         32
        .size:           8
        .value_kind:     global_buffer
      - .actual_access:  read_only
        .address_space:  global
        .offset:         40
        .size:           8
        .value_kind:     global_buffer
      - .offset:         48
        .size:           8
        .value_kind:     by_value
      - .address_space:  global
        .offset:         56
        .size:           8
        .value_kind:     global_buffer
      - .offset:         64
        .size:           4
        .value_kind:     by_value
      - .offset:         68
        .size:           1
        .value_kind:     by_value
    .group_segment_fixed_size: 0
    .kernarg_segment_align: 8
    .kernarg_segment_size: 72
    .language:       OpenCL C
    .language_version:
      - 2
      - 0
    .max_flat_workgroup_size: 128
    .name:           _ZN9rocsparseL19gebsrmvn_2xn_kernelILj128ELj11ELj16E21rocsparse_complex_numIfEEEvi20rocsparse_direction_NS_24const_host_device_scalarIT2_EEPKiS8_PKS5_SA_S6_PS5_21rocsparse_index_base_b
    .private_segment_fixed_size: 0
    .sgpr_count:     16
    .sgpr_spill_count: 0
    .symbol:         _ZN9rocsparseL19gebsrmvn_2xn_kernelILj128ELj11ELj16E21rocsparse_complex_numIfEEEvi20rocsparse_direction_NS_24const_host_device_scalarIT2_EEPKiS8_PKS5_SA_S6_PS5_21rocsparse_index_base_b.kd
    .uniform_work_group_size: 1
    .uses_dynamic_stack: false
    .vgpr_count:     86
    .vgpr_spill_count: 0
    .wavefront_size: 32
  - .args:
      - .offset:         0
        .size:           4
        .value_kind:     by_value
      - .offset:         4
        .size:           4
        .value_kind:     by_value
      - .offset:         8
        .size:           8
        .value_kind:     by_value
      - .actual_access:  read_only
        .address_space:  global
        .offset:         16
        .size:           8
        .value_kind:     global_buffer
      - .actual_access:  read_only
        .address_space:  global
        .offset:         24
        .size:           8
        .value_kind:     global_buffer
      - .actual_access:  read_only
        .address_space:  global
        .offset:         32
        .size:           8
        .value_kind:     global_buffer
      - .actual_access:  read_only
        .address_space:  global
        .offset:         40
        .size:           8
        .value_kind:     global_buffer
      - .offset:         48
        .size:           8
        .value_kind:     by_value
      - .address_space:  global
        .offset:         56
        .size:           8
        .value_kind:     global_buffer
      - .offset:         64
        .size:           4
        .value_kind:     by_value
      - .offset:         68
        .size:           1
        .value_kind:     by_value
    .group_segment_fixed_size: 0
    .kernarg_segment_align: 8
    .kernarg_segment_size: 72
    .language:       OpenCL C
    .language_version:
      - 2
      - 0
    .max_flat_workgroup_size: 128
    .name:           _ZN9rocsparseL19gebsrmvn_2xn_kernelILj128ELj11ELj32E21rocsparse_complex_numIfEEEvi20rocsparse_direction_NS_24const_host_device_scalarIT2_EEPKiS8_PKS5_SA_S6_PS5_21rocsparse_index_base_b
    .private_segment_fixed_size: 0
    .sgpr_count:     16
    .sgpr_spill_count: 0
    .symbol:         _ZN9rocsparseL19gebsrmvn_2xn_kernelILj128ELj11ELj32E21rocsparse_complex_numIfEEEvi20rocsparse_direction_NS_24const_host_device_scalarIT2_EEPKiS8_PKS5_SA_S6_PS5_21rocsparse_index_base_b.kd
    .uniform_work_group_size: 1
    .uses_dynamic_stack: false
    .vgpr_count:     86
    .vgpr_spill_count: 0
    .wavefront_size: 32
  - .args:
      - .offset:         0
        .size:           4
        .value_kind:     by_value
      - .offset:         4
        .size:           4
        .value_kind:     by_value
      - .offset:         8
        .size:           8
        .value_kind:     by_value
      - .actual_access:  read_only
        .address_space:  global
        .offset:         16
        .size:           8
        .value_kind:     global_buffer
      - .actual_access:  read_only
        .address_space:  global
        .offset:         24
        .size:           8
        .value_kind:     global_buffer
      - .actual_access:  read_only
        .address_space:  global
        .offset:         32
        .size:           8
        .value_kind:     global_buffer
      - .actual_access:  read_only
        .address_space:  global
        .offset:         40
        .size:           8
        .value_kind:     global_buffer
      - .offset:         48
        .size:           8
        .value_kind:     by_value
      - .address_space:  global
        .offset:         56
        .size:           8
        .value_kind:     global_buffer
      - .offset:         64
        .size:           4
        .value_kind:     by_value
      - .offset:         68
        .size:           1
        .value_kind:     by_value
    .group_segment_fixed_size: 0
    .kernarg_segment_align: 8
    .kernarg_segment_size: 72
    .language:       OpenCL C
    .language_version:
      - 2
      - 0
    .max_flat_workgroup_size: 128
    .name:           _ZN9rocsparseL19gebsrmvn_2xn_kernelILj128ELj11ELj64E21rocsparse_complex_numIfEEEvi20rocsparse_direction_NS_24const_host_device_scalarIT2_EEPKiS8_PKS5_SA_S6_PS5_21rocsparse_index_base_b
    .private_segment_fixed_size: 0
    .sgpr_count:     16
    .sgpr_spill_count: 0
    .symbol:         _ZN9rocsparseL19gebsrmvn_2xn_kernelILj128ELj11ELj64E21rocsparse_complex_numIfEEEvi20rocsparse_direction_NS_24const_host_device_scalarIT2_EEPKiS8_PKS5_SA_S6_PS5_21rocsparse_index_base_b.kd
    .uniform_work_group_size: 1
    .uses_dynamic_stack: false
    .vgpr_count:     86
    .vgpr_spill_count: 0
    .wavefront_size: 32
  - .args:
      - .offset:         0
        .size:           4
        .value_kind:     by_value
      - .offset:         4
        .size:           4
        .value_kind:     by_value
      - .offset:         8
        .size:           8
        .value_kind:     by_value
      - .actual_access:  read_only
        .address_space:  global
        .offset:         16
        .size:           8
        .value_kind:     global_buffer
      - .actual_access:  read_only
        .address_space:  global
        .offset:         24
        .size:           8
        .value_kind:     global_buffer
      - .actual_access:  read_only
        .address_space:  global
        .offset:         32
        .size:           8
        .value_kind:     global_buffer
      - .actual_access:  read_only
        .address_space:  global
        .offset:         40
        .size:           8
        .value_kind:     global_buffer
      - .offset:         48
        .size:           8
        .value_kind:     by_value
      - .address_space:  global
        .offset:         56
        .size:           8
        .value_kind:     global_buffer
      - .offset:         64
        .size:           4
        .value_kind:     by_value
      - .offset:         68
        .size:           1
        .value_kind:     by_value
    .group_segment_fixed_size: 0
    .kernarg_segment_align: 8
    .kernarg_segment_size: 72
    .language:       OpenCL C
    .language_version:
      - 2
      - 0
    .max_flat_workgroup_size: 128
    .name:           _ZN9rocsparseL19gebsrmvn_2xn_kernelILj128ELj12ELj4E21rocsparse_complex_numIfEEEvi20rocsparse_direction_NS_24const_host_device_scalarIT2_EEPKiS8_PKS5_SA_S6_PS5_21rocsparse_index_base_b
    .private_segment_fixed_size: 0
    .sgpr_count:     16
    .sgpr_spill_count: 0
    .symbol:         _ZN9rocsparseL19gebsrmvn_2xn_kernelILj128ELj12ELj4E21rocsparse_complex_numIfEEEvi20rocsparse_direction_NS_24const_host_device_scalarIT2_EEPKiS8_PKS5_SA_S6_PS5_21rocsparse_index_base_b.kd
    .uniform_work_group_size: 1
    .uses_dynamic_stack: false
    .vgpr_count:     92
    .vgpr_spill_count: 0
    .wavefront_size: 32
  - .args:
      - .offset:         0
        .size:           4
        .value_kind:     by_value
      - .offset:         4
        .size:           4
        .value_kind:     by_value
      - .offset:         8
        .size:           8
        .value_kind:     by_value
      - .actual_access:  read_only
        .address_space:  global
        .offset:         16
        .size:           8
        .value_kind:     global_buffer
      - .actual_access:  read_only
        .address_space:  global
        .offset:         24
        .size:           8
        .value_kind:     global_buffer
      - .actual_access:  read_only
        .address_space:  global
        .offset:         32
        .size:           8
        .value_kind:     global_buffer
      - .actual_access:  read_only
        .address_space:  global
        .offset:         40
        .size:           8
        .value_kind:     global_buffer
      - .offset:         48
        .size:           8
        .value_kind:     by_value
      - .address_space:  global
        .offset:         56
        .size:           8
        .value_kind:     global_buffer
      - .offset:         64
        .size:           4
        .value_kind:     by_value
      - .offset:         68
        .size:           1
        .value_kind:     by_value
    .group_segment_fixed_size: 0
    .kernarg_segment_align: 8
    .kernarg_segment_size: 72
    .language:       OpenCL C
    .language_version:
      - 2
      - 0
    .max_flat_workgroup_size: 128
    .name:           _ZN9rocsparseL19gebsrmvn_2xn_kernelILj128ELj12ELj8E21rocsparse_complex_numIfEEEvi20rocsparse_direction_NS_24const_host_device_scalarIT2_EEPKiS8_PKS5_SA_S6_PS5_21rocsparse_index_base_b
    .private_segment_fixed_size: 0
    .sgpr_count:     16
    .sgpr_spill_count: 0
    .symbol:         _ZN9rocsparseL19gebsrmvn_2xn_kernelILj128ELj12ELj8E21rocsparse_complex_numIfEEEvi20rocsparse_direction_NS_24const_host_device_scalarIT2_EEPKiS8_PKS5_SA_S6_PS5_21rocsparse_index_base_b.kd
    .uniform_work_group_size: 1
    .uses_dynamic_stack: false
    .vgpr_count:     92
    .vgpr_spill_count: 0
    .wavefront_size: 32
  - .args:
      - .offset:         0
        .size:           4
        .value_kind:     by_value
      - .offset:         4
        .size:           4
        .value_kind:     by_value
      - .offset:         8
        .size:           8
        .value_kind:     by_value
      - .actual_access:  read_only
        .address_space:  global
        .offset:         16
        .size:           8
        .value_kind:     global_buffer
      - .actual_access:  read_only
        .address_space:  global
        .offset:         24
        .size:           8
        .value_kind:     global_buffer
      - .actual_access:  read_only
        .address_space:  global
        .offset:         32
        .size:           8
        .value_kind:     global_buffer
      - .actual_access:  read_only
        .address_space:  global
        .offset:         40
        .size:           8
        .value_kind:     global_buffer
      - .offset:         48
        .size:           8
        .value_kind:     by_value
      - .address_space:  global
        .offset:         56
        .size:           8
        .value_kind:     global_buffer
      - .offset:         64
        .size:           4
        .value_kind:     by_value
      - .offset:         68
        .size:           1
        .value_kind:     by_value
    .group_segment_fixed_size: 0
    .kernarg_segment_align: 8
    .kernarg_segment_size: 72
    .language:       OpenCL C
    .language_version:
      - 2
      - 0
    .max_flat_workgroup_size: 128
    .name:           _ZN9rocsparseL19gebsrmvn_2xn_kernelILj128ELj12ELj16E21rocsparse_complex_numIfEEEvi20rocsparse_direction_NS_24const_host_device_scalarIT2_EEPKiS8_PKS5_SA_S6_PS5_21rocsparse_index_base_b
    .private_segment_fixed_size: 0
    .sgpr_count:     16
    .sgpr_spill_count: 0
    .symbol:         _ZN9rocsparseL19gebsrmvn_2xn_kernelILj128ELj12ELj16E21rocsparse_complex_numIfEEEvi20rocsparse_direction_NS_24const_host_device_scalarIT2_EEPKiS8_PKS5_SA_S6_PS5_21rocsparse_index_base_b.kd
    .uniform_work_group_size: 1
    .uses_dynamic_stack: false
    .vgpr_count:     92
    .vgpr_spill_count: 0
    .wavefront_size: 32
  - .args:
      - .offset:         0
        .size:           4
        .value_kind:     by_value
      - .offset:         4
        .size:           4
        .value_kind:     by_value
      - .offset:         8
        .size:           8
        .value_kind:     by_value
      - .actual_access:  read_only
        .address_space:  global
        .offset:         16
        .size:           8
        .value_kind:     global_buffer
      - .actual_access:  read_only
        .address_space:  global
        .offset:         24
        .size:           8
        .value_kind:     global_buffer
      - .actual_access:  read_only
        .address_space:  global
        .offset:         32
        .size:           8
        .value_kind:     global_buffer
      - .actual_access:  read_only
        .address_space:  global
        .offset:         40
        .size:           8
        .value_kind:     global_buffer
      - .offset:         48
        .size:           8
        .value_kind:     by_value
      - .address_space:  global
        .offset:         56
        .size:           8
        .value_kind:     global_buffer
      - .offset:         64
        .size:           4
        .value_kind:     by_value
      - .offset:         68
        .size:           1
        .value_kind:     by_value
    .group_segment_fixed_size: 0
    .kernarg_segment_align: 8
    .kernarg_segment_size: 72
    .language:       OpenCL C
    .language_version:
      - 2
      - 0
    .max_flat_workgroup_size: 128
    .name:           _ZN9rocsparseL19gebsrmvn_2xn_kernelILj128ELj12ELj32E21rocsparse_complex_numIfEEEvi20rocsparse_direction_NS_24const_host_device_scalarIT2_EEPKiS8_PKS5_SA_S6_PS5_21rocsparse_index_base_b
    .private_segment_fixed_size: 0
    .sgpr_count:     16
    .sgpr_spill_count: 0
    .symbol:         _ZN9rocsparseL19gebsrmvn_2xn_kernelILj128ELj12ELj32E21rocsparse_complex_numIfEEEvi20rocsparse_direction_NS_24const_host_device_scalarIT2_EEPKiS8_PKS5_SA_S6_PS5_21rocsparse_index_base_b.kd
    .uniform_work_group_size: 1
    .uses_dynamic_stack: false
    .vgpr_count:     92
    .vgpr_spill_count: 0
    .wavefront_size: 32
  - .args:
      - .offset:         0
        .size:           4
        .value_kind:     by_value
      - .offset:         4
        .size:           4
        .value_kind:     by_value
      - .offset:         8
        .size:           8
        .value_kind:     by_value
      - .actual_access:  read_only
        .address_space:  global
        .offset:         16
        .size:           8
        .value_kind:     global_buffer
      - .actual_access:  read_only
        .address_space:  global
        .offset:         24
        .size:           8
        .value_kind:     global_buffer
      - .actual_access:  read_only
        .address_space:  global
        .offset:         32
        .size:           8
        .value_kind:     global_buffer
      - .actual_access:  read_only
        .address_space:  global
        .offset:         40
        .size:           8
        .value_kind:     global_buffer
      - .offset:         48
        .size:           8
        .value_kind:     by_value
      - .address_space:  global
        .offset:         56
        .size:           8
        .value_kind:     global_buffer
      - .offset:         64
        .size:           4
        .value_kind:     by_value
      - .offset:         68
        .size:           1
        .value_kind:     by_value
    .group_segment_fixed_size: 0
    .kernarg_segment_align: 8
    .kernarg_segment_size: 72
    .language:       OpenCL C
    .language_version:
      - 2
      - 0
    .max_flat_workgroup_size: 128
    .name:           _ZN9rocsparseL19gebsrmvn_2xn_kernelILj128ELj12ELj64E21rocsparse_complex_numIfEEEvi20rocsparse_direction_NS_24const_host_device_scalarIT2_EEPKiS8_PKS5_SA_S6_PS5_21rocsparse_index_base_b
    .private_segment_fixed_size: 0
    .sgpr_count:     16
    .sgpr_spill_count: 0
    .symbol:         _ZN9rocsparseL19gebsrmvn_2xn_kernelILj128ELj12ELj64E21rocsparse_complex_numIfEEEvi20rocsparse_direction_NS_24const_host_device_scalarIT2_EEPKiS8_PKS5_SA_S6_PS5_21rocsparse_index_base_b.kd
    .uniform_work_group_size: 1
    .uses_dynamic_stack: false
    .vgpr_count:     92
    .vgpr_spill_count: 0
    .wavefront_size: 32
  - .args:
      - .offset:         0
        .size:           4
        .value_kind:     by_value
      - .offset:         4
        .size:           4
        .value_kind:     by_value
      - .offset:         8
        .size:           8
        .value_kind:     by_value
      - .actual_access:  read_only
        .address_space:  global
        .offset:         16
        .size:           8
        .value_kind:     global_buffer
      - .actual_access:  read_only
        .address_space:  global
        .offset:         24
        .size:           8
        .value_kind:     global_buffer
      - .actual_access:  read_only
        .address_space:  global
        .offset:         32
        .size:           8
        .value_kind:     global_buffer
      - .actual_access:  read_only
        .address_space:  global
        .offset:         40
        .size:           8
        .value_kind:     global_buffer
      - .offset:         48
        .size:           8
        .value_kind:     by_value
      - .address_space:  global
        .offset:         56
        .size:           8
        .value_kind:     global_buffer
      - .offset:         64
        .size:           4
        .value_kind:     by_value
      - .offset:         68
        .size:           1
        .value_kind:     by_value
    .group_segment_fixed_size: 0
    .kernarg_segment_align: 8
    .kernarg_segment_size: 72
    .language:       OpenCL C
    .language_version:
      - 2
      - 0
    .max_flat_workgroup_size: 128
    .name:           _ZN9rocsparseL19gebsrmvn_2xn_kernelILj128ELj13ELj4E21rocsparse_complex_numIfEEEvi20rocsparse_direction_NS_24const_host_device_scalarIT2_EEPKiS8_PKS5_SA_S6_PS5_21rocsparse_index_base_b
    .private_segment_fixed_size: 0
    .sgpr_count:     16
    .sgpr_spill_count: 0
    .symbol:         _ZN9rocsparseL19gebsrmvn_2xn_kernelILj128ELj13ELj4E21rocsparse_complex_numIfEEEvi20rocsparse_direction_NS_24const_host_device_scalarIT2_EEPKiS8_PKS5_SA_S6_PS5_21rocsparse_index_base_b.kd
    .uniform_work_group_size: 1
    .uses_dynamic_stack: false
    .vgpr_count:     96
    .vgpr_spill_count: 0
    .wavefront_size: 32
  - .args:
      - .offset:         0
        .size:           4
        .value_kind:     by_value
      - .offset:         4
        .size:           4
        .value_kind:     by_value
      - .offset:         8
        .size:           8
        .value_kind:     by_value
      - .actual_access:  read_only
        .address_space:  global
        .offset:         16
        .size:           8
        .value_kind:     global_buffer
      - .actual_access:  read_only
        .address_space:  global
        .offset:         24
        .size:           8
        .value_kind:     global_buffer
      - .actual_access:  read_only
        .address_space:  global
        .offset:         32
        .size:           8
        .value_kind:     global_buffer
      - .actual_access:  read_only
        .address_space:  global
        .offset:         40
        .size:           8
        .value_kind:     global_buffer
      - .offset:         48
        .size:           8
        .value_kind:     by_value
      - .address_space:  global
        .offset:         56
        .size:           8
        .value_kind:     global_buffer
      - .offset:         64
        .size:           4
        .value_kind:     by_value
      - .offset:         68
        .size:           1
        .value_kind:     by_value
    .group_segment_fixed_size: 0
    .kernarg_segment_align: 8
    .kernarg_segment_size: 72
    .language:       OpenCL C
    .language_version:
      - 2
      - 0
    .max_flat_workgroup_size: 128
    .name:           _ZN9rocsparseL19gebsrmvn_2xn_kernelILj128ELj13ELj8E21rocsparse_complex_numIfEEEvi20rocsparse_direction_NS_24const_host_device_scalarIT2_EEPKiS8_PKS5_SA_S6_PS5_21rocsparse_index_base_b
    .private_segment_fixed_size: 0
    .sgpr_count:     16
    .sgpr_spill_count: 0
    .symbol:         _ZN9rocsparseL19gebsrmvn_2xn_kernelILj128ELj13ELj8E21rocsparse_complex_numIfEEEvi20rocsparse_direction_NS_24const_host_device_scalarIT2_EEPKiS8_PKS5_SA_S6_PS5_21rocsparse_index_base_b.kd
    .uniform_work_group_size: 1
    .uses_dynamic_stack: false
    .vgpr_count:     96
    .vgpr_spill_count: 0
    .wavefront_size: 32
  - .args:
      - .offset:         0
        .size:           4
        .value_kind:     by_value
      - .offset:         4
        .size:           4
        .value_kind:     by_value
      - .offset:         8
        .size:           8
        .value_kind:     by_value
      - .actual_access:  read_only
        .address_space:  global
        .offset:         16
        .size:           8
        .value_kind:     global_buffer
      - .actual_access:  read_only
        .address_space:  global
        .offset:         24
        .size:           8
        .value_kind:     global_buffer
      - .actual_access:  read_only
        .address_space:  global
        .offset:         32
        .size:           8
        .value_kind:     global_buffer
      - .actual_access:  read_only
        .address_space:  global
        .offset:         40
        .size:           8
        .value_kind:     global_buffer
      - .offset:         48
        .size:           8
        .value_kind:     by_value
      - .address_space:  global
        .offset:         56
        .size:           8
        .value_kind:     global_buffer
      - .offset:         64
        .size:           4
        .value_kind:     by_value
      - .offset:         68
        .size:           1
        .value_kind:     by_value
    .group_segment_fixed_size: 0
    .kernarg_segment_align: 8
    .kernarg_segment_size: 72
    .language:       OpenCL C
    .language_version:
      - 2
      - 0
    .max_flat_workgroup_size: 128
    .name:           _ZN9rocsparseL19gebsrmvn_2xn_kernelILj128ELj13ELj16E21rocsparse_complex_numIfEEEvi20rocsparse_direction_NS_24const_host_device_scalarIT2_EEPKiS8_PKS5_SA_S6_PS5_21rocsparse_index_base_b
    .private_segment_fixed_size: 0
    .sgpr_count:     16
    .sgpr_spill_count: 0
    .symbol:         _ZN9rocsparseL19gebsrmvn_2xn_kernelILj128ELj13ELj16E21rocsparse_complex_numIfEEEvi20rocsparse_direction_NS_24const_host_device_scalarIT2_EEPKiS8_PKS5_SA_S6_PS5_21rocsparse_index_base_b.kd
    .uniform_work_group_size: 1
    .uses_dynamic_stack: false
    .vgpr_count:     96
    .vgpr_spill_count: 0
    .wavefront_size: 32
  - .args:
      - .offset:         0
        .size:           4
        .value_kind:     by_value
      - .offset:         4
        .size:           4
        .value_kind:     by_value
      - .offset:         8
        .size:           8
        .value_kind:     by_value
      - .actual_access:  read_only
        .address_space:  global
        .offset:         16
        .size:           8
        .value_kind:     global_buffer
      - .actual_access:  read_only
        .address_space:  global
        .offset:         24
        .size:           8
        .value_kind:     global_buffer
      - .actual_access:  read_only
        .address_space:  global
        .offset:         32
        .size:           8
        .value_kind:     global_buffer
      - .actual_access:  read_only
        .address_space:  global
        .offset:         40
        .size:           8
        .value_kind:     global_buffer
      - .offset:         48
        .size:           8
        .value_kind:     by_value
      - .address_space:  global
        .offset:         56
        .size:           8
        .value_kind:     global_buffer
      - .offset:         64
        .size:           4
        .value_kind:     by_value
      - .offset:         68
        .size:           1
        .value_kind:     by_value
    .group_segment_fixed_size: 0
    .kernarg_segment_align: 8
    .kernarg_segment_size: 72
    .language:       OpenCL C
    .language_version:
      - 2
      - 0
    .max_flat_workgroup_size: 128
    .name:           _ZN9rocsparseL19gebsrmvn_2xn_kernelILj128ELj13ELj32E21rocsparse_complex_numIfEEEvi20rocsparse_direction_NS_24const_host_device_scalarIT2_EEPKiS8_PKS5_SA_S6_PS5_21rocsparse_index_base_b
    .private_segment_fixed_size: 0
    .sgpr_count:     16
    .sgpr_spill_count: 0
    .symbol:         _ZN9rocsparseL19gebsrmvn_2xn_kernelILj128ELj13ELj32E21rocsparse_complex_numIfEEEvi20rocsparse_direction_NS_24const_host_device_scalarIT2_EEPKiS8_PKS5_SA_S6_PS5_21rocsparse_index_base_b.kd
    .uniform_work_group_size: 1
    .uses_dynamic_stack: false
    .vgpr_count:     96
    .vgpr_spill_count: 0
    .wavefront_size: 32
  - .args:
      - .offset:         0
        .size:           4
        .value_kind:     by_value
      - .offset:         4
        .size:           4
        .value_kind:     by_value
      - .offset:         8
        .size:           8
        .value_kind:     by_value
      - .actual_access:  read_only
        .address_space:  global
        .offset:         16
        .size:           8
        .value_kind:     global_buffer
      - .actual_access:  read_only
        .address_space:  global
        .offset:         24
        .size:           8
        .value_kind:     global_buffer
      - .actual_access:  read_only
        .address_space:  global
        .offset:         32
        .size:           8
        .value_kind:     global_buffer
      - .actual_access:  read_only
        .address_space:  global
        .offset:         40
        .size:           8
        .value_kind:     global_buffer
      - .offset:         48
        .size:           8
        .value_kind:     by_value
      - .address_space:  global
        .offset:         56
        .size:           8
        .value_kind:     global_buffer
      - .offset:         64
        .size:           4
        .value_kind:     by_value
      - .offset:         68
        .size:           1
        .value_kind:     by_value
    .group_segment_fixed_size: 0
    .kernarg_segment_align: 8
    .kernarg_segment_size: 72
    .language:       OpenCL C
    .language_version:
      - 2
      - 0
    .max_flat_workgroup_size: 128
    .name:           _ZN9rocsparseL19gebsrmvn_2xn_kernelILj128ELj13ELj64E21rocsparse_complex_numIfEEEvi20rocsparse_direction_NS_24const_host_device_scalarIT2_EEPKiS8_PKS5_SA_S6_PS5_21rocsparse_index_base_b
    .private_segment_fixed_size: 0
    .sgpr_count:     16
    .sgpr_spill_count: 0
    .symbol:         _ZN9rocsparseL19gebsrmvn_2xn_kernelILj128ELj13ELj64E21rocsparse_complex_numIfEEEvi20rocsparse_direction_NS_24const_host_device_scalarIT2_EEPKiS8_PKS5_SA_S6_PS5_21rocsparse_index_base_b.kd
    .uniform_work_group_size: 1
    .uses_dynamic_stack: false
    .vgpr_count:     96
    .vgpr_spill_count: 0
    .wavefront_size: 32
  - .args:
      - .offset:         0
        .size:           4
        .value_kind:     by_value
      - .offset:         4
        .size:           4
        .value_kind:     by_value
      - .offset:         8
        .size:           8
        .value_kind:     by_value
      - .actual_access:  read_only
        .address_space:  global
        .offset:         16
        .size:           8
        .value_kind:     global_buffer
      - .actual_access:  read_only
        .address_space:  global
        .offset:         24
        .size:           8
        .value_kind:     global_buffer
      - .actual_access:  read_only
        .address_space:  global
        .offset:         32
        .size:           8
        .value_kind:     global_buffer
      - .actual_access:  read_only
        .address_space:  global
        .offset:         40
        .size:           8
        .value_kind:     global_buffer
      - .offset:         48
        .size:           8
        .value_kind:     by_value
      - .address_space:  global
        .offset:         56
        .size:           8
        .value_kind:     global_buffer
      - .offset:         64
        .size:           4
        .value_kind:     by_value
      - .offset:         68
        .size:           1
        .value_kind:     by_value
    .group_segment_fixed_size: 0
    .kernarg_segment_align: 8
    .kernarg_segment_size: 72
    .language:       OpenCL C
    .language_version:
      - 2
      - 0
    .max_flat_workgroup_size: 128
    .name:           _ZN9rocsparseL19gebsrmvn_2xn_kernelILj128ELj14ELj4E21rocsparse_complex_numIfEEEvi20rocsparse_direction_NS_24const_host_device_scalarIT2_EEPKiS8_PKS5_SA_S6_PS5_21rocsparse_index_base_b
    .private_segment_fixed_size: 0
    .sgpr_count:     16
    .sgpr_spill_count: 0
    .symbol:         _ZN9rocsparseL19gebsrmvn_2xn_kernelILj128ELj14ELj4E21rocsparse_complex_numIfEEEvi20rocsparse_direction_NS_24const_host_device_scalarIT2_EEPKiS8_PKS5_SA_S6_PS5_21rocsparse_index_base_b.kd
    .uniform_work_group_size: 1
    .uses_dynamic_stack: false
    .vgpr_count:     100
    .vgpr_spill_count: 0
    .wavefront_size: 32
  - .args:
      - .offset:         0
        .size:           4
        .value_kind:     by_value
      - .offset:         4
        .size:           4
        .value_kind:     by_value
      - .offset:         8
        .size:           8
        .value_kind:     by_value
      - .actual_access:  read_only
        .address_space:  global
        .offset:         16
        .size:           8
        .value_kind:     global_buffer
      - .actual_access:  read_only
        .address_space:  global
        .offset:         24
        .size:           8
        .value_kind:     global_buffer
      - .actual_access:  read_only
        .address_space:  global
        .offset:         32
        .size:           8
        .value_kind:     global_buffer
      - .actual_access:  read_only
        .address_space:  global
        .offset:         40
        .size:           8
        .value_kind:     global_buffer
      - .offset:         48
        .size:           8
        .value_kind:     by_value
      - .address_space:  global
        .offset:         56
        .size:           8
        .value_kind:     global_buffer
      - .offset:         64
        .size:           4
        .value_kind:     by_value
      - .offset:         68
        .size:           1
        .value_kind:     by_value
    .group_segment_fixed_size: 0
    .kernarg_segment_align: 8
    .kernarg_segment_size: 72
    .language:       OpenCL C
    .language_version:
      - 2
      - 0
    .max_flat_workgroup_size: 128
    .name:           _ZN9rocsparseL19gebsrmvn_2xn_kernelILj128ELj14ELj8E21rocsparse_complex_numIfEEEvi20rocsparse_direction_NS_24const_host_device_scalarIT2_EEPKiS8_PKS5_SA_S6_PS5_21rocsparse_index_base_b
    .private_segment_fixed_size: 0
    .sgpr_count:     16
    .sgpr_spill_count: 0
    .symbol:         _ZN9rocsparseL19gebsrmvn_2xn_kernelILj128ELj14ELj8E21rocsparse_complex_numIfEEEvi20rocsparse_direction_NS_24const_host_device_scalarIT2_EEPKiS8_PKS5_SA_S6_PS5_21rocsparse_index_base_b.kd
    .uniform_work_group_size: 1
    .uses_dynamic_stack: false
    .vgpr_count:     100
    .vgpr_spill_count: 0
    .wavefront_size: 32
  - .args:
      - .offset:         0
        .size:           4
        .value_kind:     by_value
      - .offset:         4
        .size:           4
        .value_kind:     by_value
      - .offset:         8
        .size:           8
        .value_kind:     by_value
      - .actual_access:  read_only
        .address_space:  global
        .offset:         16
        .size:           8
        .value_kind:     global_buffer
      - .actual_access:  read_only
        .address_space:  global
        .offset:         24
        .size:           8
        .value_kind:     global_buffer
      - .actual_access:  read_only
        .address_space:  global
        .offset:         32
        .size:           8
        .value_kind:     global_buffer
      - .actual_access:  read_only
        .address_space:  global
        .offset:         40
        .size:           8
        .value_kind:     global_buffer
      - .offset:         48
        .size:           8
        .value_kind:     by_value
      - .address_space:  global
        .offset:         56
        .size:           8
        .value_kind:     global_buffer
      - .offset:         64
        .size:           4
        .value_kind:     by_value
      - .offset:         68
        .size:           1
        .value_kind:     by_value
    .group_segment_fixed_size: 0
    .kernarg_segment_align: 8
    .kernarg_segment_size: 72
    .language:       OpenCL C
    .language_version:
      - 2
      - 0
    .max_flat_workgroup_size: 128
    .name:           _ZN9rocsparseL19gebsrmvn_2xn_kernelILj128ELj14ELj16E21rocsparse_complex_numIfEEEvi20rocsparse_direction_NS_24const_host_device_scalarIT2_EEPKiS8_PKS5_SA_S6_PS5_21rocsparse_index_base_b
    .private_segment_fixed_size: 0
    .sgpr_count:     16
    .sgpr_spill_count: 0
    .symbol:         _ZN9rocsparseL19gebsrmvn_2xn_kernelILj128ELj14ELj16E21rocsparse_complex_numIfEEEvi20rocsparse_direction_NS_24const_host_device_scalarIT2_EEPKiS8_PKS5_SA_S6_PS5_21rocsparse_index_base_b.kd
    .uniform_work_group_size: 1
    .uses_dynamic_stack: false
    .vgpr_count:     100
    .vgpr_spill_count: 0
    .wavefront_size: 32
  - .args:
      - .offset:         0
        .size:           4
        .value_kind:     by_value
      - .offset:         4
        .size:           4
        .value_kind:     by_value
      - .offset:         8
        .size:           8
        .value_kind:     by_value
      - .actual_access:  read_only
        .address_space:  global
        .offset:         16
        .size:           8
        .value_kind:     global_buffer
      - .actual_access:  read_only
        .address_space:  global
        .offset:         24
        .size:           8
        .value_kind:     global_buffer
      - .actual_access:  read_only
        .address_space:  global
        .offset:         32
        .size:           8
        .value_kind:     global_buffer
      - .actual_access:  read_only
        .address_space:  global
        .offset:         40
        .size:           8
        .value_kind:     global_buffer
      - .offset:         48
        .size:           8
        .value_kind:     by_value
      - .address_space:  global
        .offset:         56
        .size:           8
        .value_kind:     global_buffer
      - .offset:         64
        .size:           4
        .value_kind:     by_value
      - .offset:         68
        .size:           1
        .value_kind:     by_value
    .group_segment_fixed_size: 0
    .kernarg_segment_align: 8
    .kernarg_segment_size: 72
    .language:       OpenCL C
    .language_version:
      - 2
      - 0
    .max_flat_workgroup_size: 128
    .name:           _ZN9rocsparseL19gebsrmvn_2xn_kernelILj128ELj14ELj32E21rocsparse_complex_numIfEEEvi20rocsparse_direction_NS_24const_host_device_scalarIT2_EEPKiS8_PKS5_SA_S6_PS5_21rocsparse_index_base_b
    .private_segment_fixed_size: 0
    .sgpr_count:     16
    .sgpr_spill_count: 0
    .symbol:         _ZN9rocsparseL19gebsrmvn_2xn_kernelILj128ELj14ELj32E21rocsparse_complex_numIfEEEvi20rocsparse_direction_NS_24const_host_device_scalarIT2_EEPKiS8_PKS5_SA_S6_PS5_21rocsparse_index_base_b.kd
    .uniform_work_group_size: 1
    .uses_dynamic_stack: false
    .vgpr_count:     100
    .vgpr_spill_count: 0
    .wavefront_size: 32
  - .args:
      - .offset:         0
        .size:           4
        .value_kind:     by_value
      - .offset:         4
        .size:           4
        .value_kind:     by_value
      - .offset:         8
        .size:           8
        .value_kind:     by_value
      - .actual_access:  read_only
        .address_space:  global
        .offset:         16
        .size:           8
        .value_kind:     global_buffer
      - .actual_access:  read_only
        .address_space:  global
        .offset:         24
        .size:           8
        .value_kind:     global_buffer
      - .actual_access:  read_only
        .address_space:  global
        .offset:         32
        .size:           8
        .value_kind:     global_buffer
      - .actual_access:  read_only
        .address_space:  global
        .offset:         40
        .size:           8
        .value_kind:     global_buffer
      - .offset:         48
        .size:           8
        .value_kind:     by_value
      - .address_space:  global
        .offset:         56
        .size:           8
        .value_kind:     global_buffer
      - .offset:         64
        .size:           4
        .value_kind:     by_value
      - .offset:         68
        .size:           1
        .value_kind:     by_value
    .group_segment_fixed_size: 0
    .kernarg_segment_align: 8
    .kernarg_segment_size: 72
    .language:       OpenCL C
    .language_version:
      - 2
      - 0
    .max_flat_workgroup_size: 128
    .name:           _ZN9rocsparseL19gebsrmvn_2xn_kernelILj128ELj14ELj64E21rocsparse_complex_numIfEEEvi20rocsparse_direction_NS_24const_host_device_scalarIT2_EEPKiS8_PKS5_SA_S6_PS5_21rocsparse_index_base_b
    .private_segment_fixed_size: 0
    .sgpr_count:     16
    .sgpr_spill_count: 0
    .symbol:         _ZN9rocsparseL19gebsrmvn_2xn_kernelILj128ELj14ELj64E21rocsparse_complex_numIfEEEvi20rocsparse_direction_NS_24const_host_device_scalarIT2_EEPKiS8_PKS5_SA_S6_PS5_21rocsparse_index_base_b.kd
    .uniform_work_group_size: 1
    .uses_dynamic_stack: false
    .vgpr_count:     100
    .vgpr_spill_count: 0
    .wavefront_size: 32
  - .args:
      - .offset:         0
        .size:           4
        .value_kind:     by_value
      - .offset:         4
        .size:           4
        .value_kind:     by_value
      - .offset:         8
        .size:           8
        .value_kind:     by_value
      - .actual_access:  read_only
        .address_space:  global
        .offset:         16
        .size:           8
        .value_kind:     global_buffer
      - .actual_access:  read_only
        .address_space:  global
        .offset:         24
        .size:           8
        .value_kind:     global_buffer
      - .actual_access:  read_only
        .address_space:  global
        .offset:         32
        .size:           8
        .value_kind:     global_buffer
      - .actual_access:  read_only
        .address_space:  global
        .offset:         40
        .size:           8
        .value_kind:     global_buffer
      - .offset:         48
        .size:           8
        .value_kind:     by_value
      - .address_space:  global
        .offset:         56
        .size:           8
        .value_kind:     global_buffer
      - .offset:         64
        .size:           4
        .value_kind:     by_value
      - .offset:         68
        .size:           1
        .value_kind:     by_value
    .group_segment_fixed_size: 0
    .kernarg_segment_align: 8
    .kernarg_segment_size: 72
    .language:       OpenCL C
    .language_version:
      - 2
      - 0
    .max_flat_workgroup_size: 128
    .name:           _ZN9rocsparseL19gebsrmvn_2xn_kernelILj128ELj15ELj4E21rocsparse_complex_numIfEEEvi20rocsparse_direction_NS_24const_host_device_scalarIT2_EEPKiS8_PKS5_SA_S6_PS5_21rocsparse_index_base_b
    .private_segment_fixed_size: 0
    .sgpr_count:     16
    .sgpr_spill_count: 0
    .symbol:         _ZN9rocsparseL19gebsrmvn_2xn_kernelILj128ELj15ELj4E21rocsparse_complex_numIfEEEvi20rocsparse_direction_NS_24const_host_device_scalarIT2_EEPKiS8_PKS5_SA_S6_PS5_21rocsparse_index_base_b.kd
    .uniform_work_group_size: 1
    .uses_dynamic_stack: false
    .vgpr_count:     100
    .vgpr_spill_count: 0
    .wavefront_size: 32
  - .args:
      - .offset:         0
        .size:           4
        .value_kind:     by_value
      - .offset:         4
        .size:           4
        .value_kind:     by_value
      - .offset:         8
        .size:           8
        .value_kind:     by_value
      - .actual_access:  read_only
        .address_space:  global
        .offset:         16
        .size:           8
        .value_kind:     global_buffer
      - .actual_access:  read_only
        .address_space:  global
        .offset:         24
        .size:           8
        .value_kind:     global_buffer
      - .actual_access:  read_only
        .address_space:  global
        .offset:         32
        .size:           8
        .value_kind:     global_buffer
      - .actual_access:  read_only
        .address_space:  global
        .offset:         40
        .size:           8
        .value_kind:     global_buffer
      - .offset:         48
        .size:           8
        .value_kind:     by_value
      - .address_space:  global
        .offset:         56
        .size:           8
        .value_kind:     global_buffer
      - .offset:         64
        .size:           4
        .value_kind:     by_value
      - .offset:         68
        .size:           1
        .value_kind:     by_value
    .group_segment_fixed_size: 0
    .kernarg_segment_align: 8
    .kernarg_segment_size: 72
    .language:       OpenCL C
    .language_version:
      - 2
      - 0
    .max_flat_workgroup_size: 128
    .name:           _ZN9rocsparseL19gebsrmvn_2xn_kernelILj128ELj15ELj8E21rocsparse_complex_numIfEEEvi20rocsparse_direction_NS_24const_host_device_scalarIT2_EEPKiS8_PKS5_SA_S6_PS5_21rocsparse_index_base_b
    .private_segment_fixed_size: 0
    .sgpr_count:     16
    .sgpr_spill_count: 0
    .symbol:         _ZN9rocsparseL19gebsrmvn_2xn_kernelILj128ELj15ELj8E21rocsparse_complex_numIfEEEvi20rocsparse_direction_NS_24const_host_device_scalarIT2_EEPKiS8_PKS5_SA_S6_PS5_21rocsparse_index_base_b.kd
    .uniform_work_group_size: 1
    .uses_dynamic_stack: false
    .vgpr_count:     100
    .vgpr_spill_count: 0
    .wavefront_size: 32
  - .args:
      - .offset:         0
        .size:           4
        .value_kind:     by_value
      - .offset:         4
        .size:           4
        .value_kind:     by_value
      - .offset:         8
        .size:           8
        .value_kind:     by_value
      - .actual_access:  read_only
        .address_space:  global
        .offset:         16
        .size:           8
        .value_kind:     global_buffer
      - .actual_access:  read_only
        .address_space:  global
        .offset:         24
        .size:           8
        .value_kind:     global_buffer
      - .actual_access:  read_only
        .address_space:  global
        .offset:         32
        .size:           8
        .value_kind:     global_buffer
      - .actual_access:  read_only
        .address_space:  global
        .offset:         40
        .size:           8
        .value_kind:     global_buffer
      - .offset:         48
        .size:           8
        .value_kind:     by_value
      - .address_space:  global
        .offset:         56
        .size:           8
        .value_kind:     global_buffer
      - .offset:         64
        .size:           4
        .value_kind:     by_value
      - .offset:         68
        .size:           1
        .value_kind:     by_value
    .group_segment_fixed_size: 0
    .kernarg_segment_align: 8
    .kernarg_segment_size: 72
    .language:       OpenCL C
    .language_version:
      - 2
      - 0
    .max_flat_workgroup_size: 128
    .name:           _ZN9rocsparseL19gebsrmvn_2xn_kernelILj128ELj15ELj16E21rocsparse_complex_numIfEEEvi20rocsparse_direction_NS_24const_host_device_scalarIT2_EEPKiS8_PKS5_SA_S6_PS5_21rocsparse_index_base_b
    .private_segment_fixed_size: 0
    .sgpr_count:     16
    .sgpr_spill_count: 0
    .symbol:         _ZN9rocsparseL19gebsrmvn_2xn_kernelILj128ELj15ELj16E21rocsparse_complex_numIfEEEvi20rocsparse_direction_NS_24const_host_device_scalarIT2_EEPKiS8_PKS5_SA_S6_PS5_21rocsparse_index_base_b.kd
    .uniform_work_group_size: 1
    .uses_dynamic_stack: false
    .vgpr_count:     100
    .vgpr_spill_count: 0
    .wavefront_size: 32
  - .args:
      - .offset:         0
        .size:           4
        .value_kind:     by_value
      - .offset:         4
        .size:           4
        .value_kind:     by_value
      - .offset:         8
        .size:           8
        .value_kind:     by_value
      - .actual_access:  read_only
        .address_space:  global
        .offset:         16
        .size:           8
        .value_kind:     global_buffer
      - .actual_access:  read_only
        .address_space:  global
        .offset:         24
        .size:           8
        .value_kind:     global_buffer
      - .actual_access:  read_only
        .address_space:  global
        .offset:         32
        .size:           8
        .value_kind:     global_buffer
      - .actual_access:  read_only
        .address_space:  global
        .offset:         40
        .size:           8
        .value_kind:     global_buffer
      - .offset:         48
        .size:           8
        .value_kind:     by_value
      - .address_space:  global
        .offset:         56
        .size:           8
        .value_kind:     global_buffer
      - .offset:         64
        .size:           4
        .value_kind:     by_value
      - .offset:         68
        .size:           1
        .value_kind:     by_value
    .group_segment_fixed_size: 0
    .kernarg_segment_align: 8
    .kernarg_segment_size: 72
    .language:       OpenCL C
    .language_version:
      - 2
      - 0
    .max_flat_workgroup_size: 128
    .name:           _ZN9rocsparseL19gebsrmvn_2xn_kernelILj128ELj15ELj32E21rocsparse_complex_numIfEEEvi20rocsparse_direction_NS_24const_host_device_scalarIT2_EEPKiS8_PKS5_SA_S6_PS5_21rocsparse_index_base_b
    .private_segment_fixed_size: 0
    .sgpr_count:     16
    .sgpr_spill_count: 0
    .symbol:         _ZN9rocsparseL19gebsrmvn_2xn_kernelILj128ELj15ELj32E21rocsparse_complex_numIfEEEvi20rocsparse_direction_NS_24const_host_device_scalarIT2_EEPKiS8_PKS5_SA_S6_PS5_21rocsparse_index_base_b.kd
    .uniform_work_group_size: 1
    .uses_dynamic_stack: false
    .vgpr_count:     100
    .vgpr_spill_count: 0
    .wavefront_size: 32
  - .args:
      - .offset:         0
        .size:           4
        .value_kind:     by_value
      - .offset:         4
        .size:           4
        .value_kind:     by_value
      - .offset:         8
        .size:           8
        .value_kind:     by_value
      - .actual_access:  read_only
        .address_space:  global
        .offset:         16
        .size:           8
        .value_kind:     global_buffer
      - .actual_access:  read_only
        .address_space:  global
        .offset:         24
        .size:           8
        .value_kind:     global_buffer
      - .actual_access:  read_only
        .address_space:  global
        .offset:         32
        .size:           8
        .value_kind:     global_buffer
      - .actual_access:  read_only
        .address_space:  global
        .offset:         40
        .size:           8
        .value_kind:     global_buffer
      - .offset:         48
        .size:           8
        .value_kind:     by_value
      - .address_space:  global
        .offset:         56
        .size:           8
        .value_kind:     global_buffer
      - .offset:         64
        .size:           4
        .value_kind:     by_value
      - .offset:         68
        .size:           1
        .value_kind:     by_value
    .group_segment_fixed_size: 0
    .kernarg_segment_align: 8
    .kernarg_segment_size: 72
    .language:       OpenCL C
    .language_version:
      - 2
      - 0
    .max_flat_workgroup_size: 128
    .name:           _ZN9rocsparseL19gebsrmvn_2xn_kernelILj128ELj15ELj64E21rocsparse_complex_numIfEEEvi20rocsparse_direction_NS_24const_host_device_scalarIT2_EEPKiS8_PKS5_SA_S6_PS5_21rocsparse_index_base_b
    .private_segment_fixed_size: 0
    .sgpr_count:     16
    .sgpr_spill_count: 0
    .symbol:         _ZN9rocsparseL19gebsrmvn_2xn_kernelILj128ELj15ELj64E21rocsparse_complex_numIfEEEvi20rocsparse_direction_NS_24const_host_device_scalarIT2_EEPKiS8_PKS5_SA_S6_PS5_21rocsparse_index_base_b.kd
    .uniform_work_group_size: 1
    .uses_dynamic_stack: false
    .vgpr_count:     100
    .vgpr_spill_count: 0
    .wavefront_size: 32
  - .args:
      - .offset:         0
        .size:           4
        .value_kind:     by_value
      - .offset:         4
        .size:           4
        .value_kind:     by_value
      - .offset:         8
        .size:           8
        .value_kind:     by_value
      - .actual_access:  read_only
        .address_space:  global
        .offset:         16
        .size:           8
        .value_kind:     global_buffer
      - .actual_access:  read_only
        .address_space:  global
        .offset:         24
        .size:           8
        .value_kind:     global_buffer
      - .actual_access:  read_only
        .address_space:  global
        .offset:         32
        .size:           8
        .value_kind:     global_buffer
      - .actual_access:  read_only
        .address_space:  global
        .offset:         40
        .size:           8
        .value_kind:     global_buffer
      - .offset:         48
        .size:           8
        .value_kind:     by_value
      - .address_space:  global
        .offset:         56
        .size:           8
        .value_kind:     global_buffer
      - .offset:         64
        .size:           4
        .value_kind:     by_value
      - .offset:         68
        .size:           1
        .value_kind:     by_value
    .group_segment_fixed_size: 0
    .kernarg_segment_align: 8
    .kernarg_segment_size: 72
    .language:       OpenCL C
    .language_version:
      - 2
      - 0
    .max_flat_workgroup_size: 128
    .name:           _ZN9rocsparseL19gebsrmvn_2xn_kernelILj128ELj16ELj4E21rocsparse_complex_numIfEEEvi20rocsparse_direction_NS_24const_host_device_scalarIT2_EEPKiS8_PKS5_SA_S6_PS5_21rocsparse_index_base_b
    .private_segment_fixed_size: 0
    .sgpr_count:     16
    .sgpr_spill_count: 0
    .symbol:         _ZN9rocsparseL19gebsrmvn_2xn_kernelILj128ELj16ELj4E21rocsparse_complex_numIfEEEvi20rocsparse_direction_NS_24const_host_device_scalarIT2_EEPKiS8_PKS5_SA_S6_PS5_21rocsparse_index_base_b.kd
    .uniform_work_group_size: 1
    .uses_dynamic_stack: false
    .vgpr_count:     102
    .vgpr_spill_count: 0
    .wavefront_size: 32
  - .args:
      - .offset:         0
        .size:           4
        .value_kind:     by_value
      - .offset:         4
        .size:           4
        .value_kind:     by_value
      - .offset:         8
        .size:           8
        .value_kind:     by_value
      - .actual_access:  read_only
        .address_space:  global
        .offset:         16
        .size:           8
        .value_kind:     global_buffer
      - .actual_access:  read_only
        .address_space:  global
        .offset:         24
        .size:           8
        .value_kind:     global_buffer
      - .actual_access:  read_only
        .address_space:  global
        .offset:         32
        .size:           8
        .value_kind:     global_buffer
      - .actual_access:  read_only
        .address_space:  global
        .offset:         40
        .size:           8
        .value_kind:     global_buffer
      - .offset:         48
        .size:           8
        .value_kind:     by_value
      - .address_space:  global
        .offset:         56
        .size:           8
        .value_kind:     global_buffer
      - .offset:         64
        .size:           4
        .value_kind:     by_value
      - .offset:         68
        .size:           1
        .value_kind:     by_value
    .group_segment_fixed_size: 0
    .kernarg_segment_align: 8
    .kernarg_segment_size: 72
    .language:       OpenCL C
    .language_version:
      - 2
      - 0
    .max_flat_workgroup_size: 128
    .name:           _ZN9rocsparseL19gebsrmvn_2xn_kernelILj128ELj16ELj8E21rocsparse_complex_numIfEEEvi20rocsparse_direction_NS_24const_host_device_scalarIT2_EEPKiS8_PKS5_SA_S6_PS5_21rocsparse_index_base_b
    .private_segment_fixed_size: 0
    .sgpr_count:     16
    .sgpr_spill_count: 0
    .symbol:         _ZN9rocsparseL19gebsrmvn_2xn_kernelILj128ELj16ELj8E21rocsparse_complex_numIfEEEvi20rocsparse_direction_NS_24const_host_device_scalarIT2_EEPKiS8_PKS5_SA_S6_PS5_21rocsparse_index_base_b.kd
    .uniform_work_group_size: 1
    .uses_dynamic_stack: false
    .vgpr_count:     102
    .vgpr_spill_count: 0
    .wavefront_size: 32
  - .args:
      - .offset:         0
        .size:           4
        .value_kind:     by_value
      - .offset:         4
        .size:           4
        .value_kind:     by_value
      - .offset:         8
        .size:           8
        .value_kind:     by_value
      - .actual_access:  read_only
        .address_space:  global
        .offset:         16
        .size:           8
        .value_kind:     global_buffer
      - .actual_access:  read_only
        .address_space:  global
        .offset:         24
        .size:           8
        .value_kind:     global_buffer
      - .actual_access:  read_only
        .address_space:  global
        .offset:         32
        .size:           8
        .value_kind:     global_buffer
      - .actual_access:  read_only
        .address_space:  global
        .offset:         40
        .size:           8
        .value_kind:     global_buffer
      - .offset:         48
        .size:           8
        .value_kind:     by_value
      - .address_space:  global
        .offset:         56
        .size:           8
        .value_kind:     global_buffer
      - .offset:         64
        .size:           4
        .value_kind:     by_value
      - .offset:         68
        .size:           1
        .value_kind:     by_value
    .group_segment_fixed_size: 0
    .kernarg_segment_align: 8
    .kernarg_segment_size: 72
    .language:       OpenCL C
    .language_version:
      - 2
      - 0
    .max_flat_workgroup_size: 128
    .name:           _ZN9rocsparseL19gebsrmvn_2xn_kernelILj128ELj16ELj16E21rocsparse_complex_numIfEEEvi20rocsparse_direction_NS_24const_host_device_scalarIT2_EEPKiS8_PKS5_SA_S6_PS5_21rocsparse_index_base_b
    .private_segment_fixed_size: 0
    .sgpr_count:     16
    .sgpr_spill_count: 0
    .symbol:         _ZN9rocsparseL19gebsrmvn_2xn_kernelILj128ELj16ELj16E21rocsparse_complex_numIfEEEvi20rocsparse_direction_NS_24const_host_device_scalarIT2_EEPKiS8_PKS5_SA_S6_PS5_21rocsparse_index_base_b.kd
    .uniform_work_group_size: 1
    .uses_dynamic_stack: false
    .vgpr_count:     102
    .vgpr_spill_count: 0
    .wavefront_size: 32
  - .args:
      - .offset:         0
        .size:           4
        .value_kind:     by_value
      - .offset:         4
        .size:           4
        .value_kind:     by_value
      - .offset:         8
        .size:           8
        .value_kind:     by_value
      - .actual_access:  read_only
        .address_space:  global
        .offset:         16
        .size:           8
        .value_kind:     global_buffer
      - .actual_access:  read_only
        .address_space:  global
        .offset:         24
        .size:           8
        .value_kind:     global_buffer
      - .actual_access:  read_only
        .address_space:  global
        .offset:         32
        .size:           8
        .value_kind:     global_buffer
      - .actual_access:  read_only
        .address_space:  global
        .offset:         40
        .size:           8
        .value_kind:     global_buffer
      - .offset:         48
        .size:           8
        .value_kind:     by_value
      - .address_space:  global
        .offset:         56
        .size:           8
        .value_kind:     global_buffer
      - .offset:         64
        .size:           4
        .value_kind:     by_value
      - .offset:         68
        .size:           1
        .value_kind:     by_value
    .group_segment_fixed_size: 0
    .kernarg_segment_align: 8
    .kernarg_segment_size: 72
    .language:       OpenCL C
    .language_version:
      - 2
      - 0
    .max_flat_workgroup_size: 128
    .name:           _ZN9rocsparseL19gebsrmvn_2xn_kernelILj128ELj16ELj32E21rocsparse_complex_numIfEEEvi20rocsparse_direction_NS_24const_host_device_scalarIT2_EEPKiS8_PKS5_SA_S6_PS5_21rocsparse_index_base_b
    .private_segment_fixed_size: 0
    .sgpr_count:     16
    .sgpr_spill_count: 0
    .symbol:         _ZN9rocsparseL19gebsrmvn_2xn_kernelILj128ELj16ELj32E21rocsparse_complex_numIfEEEvi20rocsparse_direction_NS_24const_host_device_scalarIT2_EEPKiS8_PKS5_SA_S6_PS5_21rocsparse_index_base_b.kd
    .uniform_work_group_size: 1
    .uses_dynamic_stack: false
    .vgpr_count:     102
    .vgpr_spill_count: 0
    .wavefront_size: 32
  - .args:
      - .offset:         0
        .size:           4
        .value_kind:     by_value
      - .offset:         4
        .size:           4
        .value_kind:     by_value
      - .offset:         8
        .size:           8
        .value_kind:     by_value
      - .actual_access:  read_only
        .address_space:  global
        .offset:         16
        .size:           8
        .value_kind:     global_buffer
      - .actual_access:  read_only
        .address_space:  global
        .offset:         24
        .size:           8
        .value_kind:     global_buffer
      - .actual_access:  read_only
        .address_space:  global
        .offset:         32
        .size:           8
        .value_kind:     global_buffer
      - .actual_access:  read_only
        .address_space:  global
        .offset:         40
        .size:           8
        .value_kind:     global_buffer
      - .offset:         48
        .size:           8
        .value_kind:     by_value
      - .address_space:  global
        .offset:         56
        .size:           8
        .value_kind:     global_buffer
      - .offset:         64
        .size:           4
        .value_kind:     by_value
      - .offset:         68
        .size:           1
        .value_kind:     by_value
    .group_segment_fixed_size: 0
    .kernarg_segment_align: 8
    .kernarg_segment_size: 72
    .language:       OpenCL C
    .language_version:
      - 2
      - 0
    .max_flat_workgroup_size: 128
    .name:           _ZN9rocsparseL19gebsrmvn_2xn_kernelILj128ELj16ELj64E21rocsparse_complex_numIfEEEvi20rocsparse_direction_NS_24const_host_device_scalarIT2_EEPKiS8_PKS5_SA_S6_PS5_21rocsparse_index_base_b
    .private_segment_fixed_size: 0
    .sgpr_count:     16
    .sgpr_spill_count: 0
    .symbol:         _ZN9rocsparseL19gebsrmvn_2xn_kernelILj128ELj16ELj64E21rocsparse_complex_numIfEEEvi20rocsparse_direction_NS_24const_host_device_scalarIT2_EEPKiS8_PKS5_SA_S6_PS5_21rocsparse_index_base_b.kd
    .uniform_work_group_size: 1
    .uses_dynamic_stack: false
    .vgpr_count:     102
    .vgpr_spill_count: 0
    .wavefront_size: 32
  - .args:
      - .offset:         0
        .size:           4
        .value_kind:     by_value
      - .offset:         4
        .size:           4
        .value_kind:     by_value
      - .offset:         8
        .size:           8
        .value_kind:     by_value
      - .actual_access:  read_only
        .address_space:  global
        .offset:         16
        .size:           8
        .value_kind:     global_buffer
      - .actual_access:  read_only
        .address_space:  global
        .offset:         24
        .size:           8
        .value_kind:     global_buffer
      - .actual_access:  read_only
        .address_space:  global
        .offset:         32
        .size:           8
        .value_kind:     global_buffer
      - .offset:         40
        .size:           4
        .value_kind:     by_value
      - .offset:         44
        .size:           4
        .value_kind:     by_value
      - .actual_access:  read_only
        .address_space:  global
        .offset:         48
        .size:           8
        .value_kind:     global_buffer
      - .offset:         56
        .size:           8
        .value_kind:     by_value
      - .address_space:  global
        .offset:         64
        .size:           8
        .value_kind:     global_buffer
      - .offset:         72
        .size:           4
        .value_kind:     by_value
      - .offset:         76
        .size:           1
        .value_kind:     by_value
    .group_segment_fixed_size: 0
    .kernarg_segment_align: 8
    .kernarg_segment_size: 80
    .language:       OpenCL C
    .language_version:
      - 2
      - 0
    .max_flat_workgroup_size: 32
    .name:           _ZN9rocsparseL23gebsrmvn_general_kernelILj32ELj32E21rocsparse_complex_numIfEEEvi20rocsparse_direction_NS_24const_host_device_scalarIT1_EEPKiS8_PKS5_iiSA_S6_PS5_21rocsparse_index_base_b
    .private_segment_fixed_size: 0
    .sgpr_count:     28
    .sgpr_spill_count: 0
    .symbol:         _ZN9rocsparseL23gebsrmvn_general_kernelILj32ELj32E21rocsparse_complex_numIfEEEvi20rocsparse_direction_NS_24const_host_device_scalarIT1_EEPKiS8_PKS5_iiSA_S6_PS5_21rocsparse_index_base_b.kd
    .uniform_work_group_size: 1
    .uses_dynamic_stack: false
    .vgpr_count:     26
    .vgpr_spill_count: 0
    .wavefront_size: 32
  - .args:
      - .offset:         0
        .size:           4
        .value_kind:     by_value
      - .offset:         4
        .size:           4
        .value_kind:     by_value
      - .offset:         8
        .size:           16
        .value_kind:     by_value
      - .actual_access:  read_only
        .address_space:  global
        .offset:         24
        .size:           8
        .value_kind:     global_buffer
      - .actual_access:  read_only
        .address_space:  global
        .offset:         32
        .size:           8
        .value_kind:     global_buffer
      - .actual_access:  read_only
        .address_space:  global
        .offset:         40
        .size:           8
        .value_kind:     global_buffer
      - .actual_access:  read_only
        .address_space:  global
        .offset:         48
        .size:           8
        .value_kind:     global_buffer
      - .offset:         56
        .size:           16
        .value_kind:     by_value
      - .address_space:  global
        .offset:         72
        .size:           8
        .value_kind:     global_buffer
      - .offset:         80
        .size:           4
        .value_kind:     by_value
      - .offset:         84
        .size:           1
        .value_kind:     by_value
    .group_segment_fixed_size: 0
    .kernarg_segment_align: 8
    .kernarg_segment_size: 88
    .language:       OpenCL C
    .language_version:
      - 2
      - 0
    .max_flat_workgroup_size: 128
    .name:           _ZN9rocsparseL19gebsrmvn_2xn_kernelILj128ELj1ELj4E21rocsparse_complex_numIdEEEvi20rocsparse_direction_NS_24const_host_device_scalarIT2_EEPKiS8_PKS5_SA_S6_PS5_21rocsparse_index_base_b
    .private_segment_fixed_size: 0
    .sgpr_count:     16
    .sgpr_spill_count: 0
    .symbol:         _ZN9rocsparseL19gebsrmvn_2xn_kernelILj128ELj1ELj4E21rocsparse_complex_numIdEEEvi20rocsparse_direction_NS_24const_host_device_scalarIT2_EEPKiS8_PKS5_SA_S6_PS5_21rocsparse_index_base_b.kd
    .uniform_work_group_size: 1
    .uses_dynamic_stack: false
    .vgpr_count:     35
    .vgpr_spill_count: 0
    .wavefront_size: 32
  - .args:
      - .offset:         0
        .size:           4
        .value_kind:     by_value
      - .offset:         4
        .size:           4
        .value_kind:     by_value
      - .offset:         8
        .size:           16
        .value_kind:     by_value
      - .actual_access:  read_only
        .address_space:  global
        .offset:         24
        .size:           8
        .value_kind:     global_buffer
      - .actual_access:  read_only
        .address_space:  global
        .offset:         32
        .size:           8
        .value_kind:     global_buffer
      - .actual_access:  read_only
        .address_space:  global
        .offset:         40
        .size:           8
        .value_kind:     global_buffer
      - .actual_access:  read_only
        .address_space:  global
        .offset:         48
        .size:           8
        .value_kind:     global_buffer
      - .offset:         56
        .size:           16
        .value_kind:     by_value
      - .address_space:  global
        .offset:         72
        .size:           8
        .value_kind:     global_buffer
      - .offset:         80
        .size:           4
        .value_kind:     by_value
      - .offset:         84
        .size:           1
        .value_kind:     by_value
    .group_segment_fixed_size: 0
    .kernarg_segment_align: 8
    .kernarg_segment_size: 88
    .language:       OpenCL C
    .language_version:
      - 2
      - 0
    .max_flat_workgroup_size: 128
    .name:           _ZN9rocsparseL19gebsrmvn_2xn_kernelILj128ELj1ELj8E21rocsparse_complex_numIdEEEvi20rocsparse_direction_NS_24const_host_device_scalarIT2_EEPKiS8_PKS5_SA_S6_PS5_21rocsparse_index_base_b
    .private_segment_fixed_size: 0
    .sgpr_count:     16
    .sgpr_spill_count: 0
    .symbol:         _ZN9rocsparseL19gebsrmvn_2xn_kernelILj128ELj1ELj8E21rocsparse_complex_numIdEEEvi20rocsparse_direction_NS_24const_host_device_scalarIT2_EEPKiS8_PKS5_SA_S6_PS5_21rocsparse_index_base_b.kd
    .uniform_work_group_size: 1
    .uses_dynamic_stack: false
    .vgpr_count:     35
    .vgpr_spill_count: 0
    .wavefront_size: 32
  - .args:
      - .offset:         0
        .size:           4
        .value_kind:     by_value
      - .offset:         4
        .size:           4
        .value_kind:     by_value
      - .offset:         8
        .size:           16
        .value_kind:     by_value
      - .actual_access:  read_only
        .address_space:  global
        .offset:         24
        .size:           8
        .value_kind:     global_buffer
      - .actual_access:  read_only
        .address_space:  global
        .offset:         32
        .size:           8
        .value_kind:     global_buffer
      - .actual_access:  read_only
        .address_space:  global
        .offset:         40
        .size:           8
        .value_kind:     global_buffer
      - .actual_access:  read_only
        .address_space:  global
        .offset:         48
        .size:           8
        .value_kind:     global_buffer
      - .offset:         56
        .size:           16
        .value_kind:     by_value
      - .address_space:  global
        .offset:         72
        .size:           8
        .value_kind:     global_buffer
      - .offset:         80
        .size:           4
        .value_kind:     by_value
      - .offset:         84
        .size:           1
        .value_kind:     by_value
    .group_segment_fixed_size: 0
    .kernarg_segment_align: 8
    .kernarg_segment_size: 88
    .language:       OpenCL C
    .language_version:
      - 2
      - 0
    .max_flat_workgroup_size: 128
    .name:           _ZN9rocsparseL19gebsrmvn_2xn_kernelILj128ELj1ELj16E21rocsparse_complex_numIdEEEvi20rocsparse_direction_NS_24const_host_device_scalarIT2_EEPKiS8_PKS5_SA_S6_PS5_21rocsparse_index_base_b
    .private_segment_fixed_size: 0
    .sgpr_count:     16
    .sgpr_spill_count: 0
    .symbol:         _ZN9rocsparseL19gebsrmvn_2xn_kernelILj128ELj1ELj16E21rocsparse_complex_numIdEEEvi20rocsparse_direction_NS_24const_host_device_scalarIT2_EEPKiS8_PKS5_SA_S6_PS5_21rocsparse_index_base_b.kd
    .uniform_work_group_size: 1
    .uses_dynamic_stack: false
    .vgpr_count:     35
    .vgpr_spill_count: 0
    .wavefront_size: 32
  - .args:
      - .offset:         0
        .size:           4
        .value_kind:     by_value
      - .offset:         4
        .size:           4
        .value_kind:     by_value
      - .offset:         8
        .size:           16
        .value_kind:     by_value
      - .actual_access:  read_only
        .address_space:  global
        .offset:         24
        .size:           8
        .value_kind:     global_buffer
      - .actual_access:  read_only
        .address_space:  global
        .offset:         32
        .size:           8
        .value_kind:     global_buffer
      - .actual_access:  read_only
        .address_space:  global
        .offset:         40
        .size:           8
        .value_kind:     global_buffer
      - .actual_access:  read_only
        .address_space:  global
        .offset:         48
        .size:           8
        .value_kind:     global_buffer
      - .offset:         56
        .size:           16
        .value_kind:     by_value
      - .address_space:  global
        .offset:         72
        .size:           8
        .value_kind:     global_buffer
      - .offset:         80
        .size:           4
        .value_kind:     by_value
      - .offset:         84
        .size:           1
        .value_kind:     by_value
    .group_segment_fixed_size: 0
    .kernarg_segment_align: 8
    .kernarg_segment_size: 88
    .language:       OpenCL C
    .language_version:
      - 2
      - 0
    .max_flat_workgroup_size: 128
    .name:           _ZN9rocsparseL19gebsrmvn_2xn_kernelILj128ELj1ELj32E21rocsparse_complex_numIdEEEvi20rocsparse_direction_NS_24const_host_device_scalarIT2_EEPKiS8_PKS5_SA_S6_PS5_21rocsparse_index_base_b
    .private_segment_fixed_size: 0
    .sgpr_count:     16
    .sgpr_spill_count: 0
    .symbol:         _ZN9rocsparseL19gebsrmvn_2xn_kernelILj128ELj1ELj32E21rocsparse_complex_numIdEEEvi20rocsparse_direction_NS_24const_host_device_scalarIT2_EEPKiS8_PKS5_SA_S6_PS5_21rocsparse_index_base_b.kd
    .uniform_work_group_size: 1
    .uses_dynamic_stack: false
    .vgpr_count:     35
    .vgpr_spill_count: 0
    .wavefront_size: 32
  - .args:
      - .offset:         0
        .size:           4
        .value_kind:     by_value
      - .offset:         4
        .size:           4
        .value_kind:     by_value
      - .offset:         8
        .size:           16
        .value_kind:     by_value
      - .actual_access:  read_only
        .address_space:  global
        .offset:         24
        .size:           8
        .value_kind:     global_buffer
      - .actual_access:  read_only
        .address_space:  global
        .offset:         32
        .size:           8
        .value_kind:     global_buffer
      - .actual_access:  read_only
        .address_space:  global
        .offset:         40
        .size:           8
        .value_kind:     global_buffer
      - .actual_access:  read_only
        .address_space:  global
        .offset:         48
        .size:           8
        .value_kind:     global_buffer
      - .offset:         56
        .size:           16
        .value_kind:     by_value
      - .address_space:  global
        .offset:         72
        .size:           8
        .value_kind:     global_buffer
      - .offset:         80
        .size:           4
        .value_kind:     by_value
      - .offset:         84
        .size:           1
        .value_kind:     by_value
    .group_segment_fixed_size: 0
    .kernarg_segment_align: 8
    .kernarg_segment_size: 88
    .language:       OpenCL C
    .language_version:
      - 2
      - 0
    .max_flat_workgroup_size: 128
    .name:           _ZN9rocsparseL19gebsrmvn_2xn_kernelILj128ELj1ELj64E21rocsparse_complex_numIdEEEvi20rocsparse_direction_NS_24const_host_device_scalarIT2_EEPKiS8_PKS5_SA_S6_PS5_21rocsparse_index_base_b
    .private_segment_fixed_size: 0
    .sgpr_count:     16
    .sgpr_spill_count: 0
    .symbol:         _ZN9rocsparseL19gebsrmvn_2xn_kernelILj128ELj1ELj64E21rocsparse_complex_numIdEEEvi20rocsparse_direction_NS_24const_host_device_scalarIT2_EEPKiS8_PKS5_SA_S6_PS5_21rocsparse_index_base_b.kd
    .uniform_work_group_size: 1
    .uses_dynamic_stack: false
    .vgpr_count:     35
    .vgpr_spill_count: 0
    .wavefront_size: 32
  - .args:
      - .offset:         0
        .size:           4
        .value_kind:     by_value
      - .offset:         4
        .size:           4
        .value_kind:     by_value
      - .offset:         8
        .size:           16
        .value_kind:     by_value
      - .actual_access:  read_only
        .address_space:  global
        .offset:         24
        .size:           8
        .value_kind:     global_buffer
      - .actual_access:  read_only
        .address_space:  global
        .offset:         32
        .size:           8
        .value_kind:     global_buffer
      - .actual_access:  read_only
        .address_space:  global
        .offset:         40
        .size:           8
        .value_kind:     global_buffer
      - .actual_access:  read_only
        .address_space:  global
        .offset:         48
        .size:           8
        .value_kind:     global_buffer
      - .offset:         56
        .size:           16
        .value_kind:     by_value
      - .address_space:  global
        .offset:         72
        .size:           8
        .value_kind:     global_buffer
      - .offset:         80
        .size:           4
        .value_kind:     by_value
      - .offset:         84
        .size:           1
        .value_kind:     by_value
    .group_segment_fixed_size: 0
    .kernarg_segment_align: 8
    .kernarg_segment_size: 88
    .language:       OpenCL C
    .language_version:
      - 2
      - 0
    .max_flat_workgroup_size: 128
    .name:           _ZN9rocsparseL19gebsrmvn_2xn_kernelILj128ELj3ELj4E21rocsparse_complex_numIdEEEvi20rocsparse_direction_NS_24const_host_device_scalarIT2_EEPKiS8_PKS5_SA_S6_PS5_21rocsparse_index_base_b
    .private_segment_fixed_size: 0
    .sgpr_count:     16
    .sgpr_spill_count: 0
    .symbol:         _ZN9rocsparseL19gebsrmvn_2xn_kernelILj128ELj3ELj4E21rocsparse_complex_numIdEEEvi20rocsparse_direction_NS_24const_host_device_scalarIT2_EEPKiS8_PKS5_SA_S6_PS5_21rocsparse_index_base_b.kd
    .uniform_work_group_size: 1
    .uses_dynamic_stack: false
    .vgpr_count:     60
    .vgpr_spill_count: 0
    .wavefront_size: 32
  - .args:
      - .offset:         0
        .size:           4
        .value_kind:     by_value
      - .offset:         4
        .size:           4
        .value_kind:     by_value
      - .offset:         8
        .size:           16
        .value_kind:     by_value
      - .actual_access:  read_only
        .address_space:  global
        .offset:         24
        .size:           8
        .value_kind:     global_buffer
      - .actual_access:  read_only
        .address_space:  global
        .offset:         32
        .size:           8
        .value_kind:     global_buffer
      - .actual_access:  read_only
        .address_space:  global
        .offset:         40
        .size:           8
        .value_kind:     global_buffer
      - .actual_access:  read_only
        .address_space:  global
        .offset:         48
        .size:           8
        .value_kind:     global_buffer
      - .offset:         56
        .size:           16
        .value_kind:     by_value
      - .address_space:  global
        .offset:         72
        .size:           8
        .value_kind:     global_buffer
      - .offset:         80
        .size:           4
        .value_kind:     by_value
      - .offset:         84
        .size:           1
        .value_kind:     by_value
    .group_segment_fixed_size: 0
    .kernarg_segment_align: 8
    .kernarg_segment_size: 88
    .language:       OpenCL C
    .language_version:
      - 2
      - 0
    .max_flat_workgroup_size: 128
    .name:           _ZN9rocsparseL19gebsrmvn_2xn_kernelILj128ELj3ELj8E21rocsparse_complex_numIdEEEvi20rocsparse_direction_NS_24const_host_device_scalarIT2_EEPKiS8_PKS5_SA_S6_PS5_21rocsparse_index_base_b
    .private_segment_fixed_size: 0
    .sgpr_count:     16
    .sgpr_spill_count: 0
    .symbol:         _ZN9rocsparseL19gebsrmvn_2xn_kernelILj128ELj3ELj8E21rocsparse_complex_numIdEEEvi20rocsparse_direction_NS_24const_host_device_scalarIT2_EEPKiS8_PKS5_SA_S6_PS5_21rocsparse_index_base_b.kd
    .uniform_work_group_size: 1
    .uses_dynamic_stack: false
    .vgpr_count:     60
    .vgpr_spill_count: 0
    .wavefront_size: 32
  - .args:
      - .offset:         0
        .size:           4
        .value_kind:     by_value
      - .offset:         4
        .size:           4
        .value_kind:     by_value
      - .offset:         8
        .size:           16
        .value_kind:     by_value
      - .actual_access:  read_only
        .address_space:  global
        .offset:         24
        .size:           8
        .value_kind:     global_buffer
      - .actual_access:  read_only
        .address_space:  global
        .offset:         32
        .size:           8
        .value_kind:     global_buffer
      - .actual_access:  read_only
        .address_space:  global
        .offset:         40
        .size:           8
        .value_kind:     global_buffer
      - .actual_access:  read_only
        .address_space:  global
        .offset:         48
        .size:           8
        .value_kind:     global_buffer
      - .offset:         56
        .size:           16
        .value_kind:     by_value
      - .address_space:  global
        .offset:         72
        .size:           8
        .value_kind:     global_buffer
      - .offset:         80
        .size:           4
        .value_kind:     by_value
      - .offset:         84
        .size:           1
        .value_kind:     by_value
    .group_segment_fixed_size: 0
    .kernarg_segment_align: 8
    .kernarg_segment_size: 88
    .language:       OpenCL C
    .language_version:
      - 2
      - 0
    .max_flat_workgroup_size: 128
    .name:           _ZN9rocsparseL19gebsrmvn_2xn_kernelILj128ELj3ELj16E21rocsparse_complex_numIdEEEvi20rocsparse_direction_NS_24const_host_device_scalarIT2_EEPKiS8_PKS5_SA_S6_PS5_21rocsparse_index_base_b
    .private_segment_fixed_size: 0
    .sgpr_count:     16
    .sgpr_spill_count: 0
    .symbol:         _ZN9rocsparseL19gebsrmvn_2xn_kernelILj128ELj3ELj16E21rocsparse_complex_numIdEEEvi20rocsparse_direction_NS_24const_host_device_scalarIT2_EEPKiS8_PKS5_SA_S6_PS5_21rocsparse_index_base_b.kd
    .uniform_work_group_size: 1
    .uses_dynamic_stack: false
    .vgpr_count:     60
    .vgpr_spill_count: 0
    .wavefront_size: 32
  - .args:
      - .offset:         0
        .size:           4
        .value_kind:     by_value
      - .offset:         4
        .size:           4
        .value_kind:     by_value
      - .offset:         8
        .size:           16
        .value_kind:     by_value
      - .actual_access:  read_only
        .address_space:  global
        .offset:         24
        .size:           8
        .value_kind:     global_buffer
      - .actual_access:  read_only
        .address_space:  global
        .offset:         32
        .size:           8
        .value_kind:     global_buffer
      - .actual_access:  read_only
        .address_space:  global
        .offset:         40
        .size:           8
        .value_kind:     global_buffer
      - .actual_access:  read_only
        .address_space:  global
        .offset:         48
        .size:           8
        .value_kind:     global_buffer
      - .offset:         56
        .size:           16
        .value_kind:     by_value
      - .address_space:  global
        .offset:         72
        .size:           8
        .value_kind:     global_buffer
      - .offset:         80
        .size:           4
        .value_kind:     by_value
      - .offset:         84
        .size:           1
        .value_kind:     by_value
    .group_segment_fixed_size: 0
    .kernarg_segment_align: 8
    .kernarg_segment_size: 88
    .language:       OpenCL C
    .language_version:
      - 2
      - 0
    .max_flat_workgroup_size: 128
    .name:           _ZN9rocsparseL19gebsrmvn_2xn_kernelILj128ELj3ELj32E21rocsparse_complex_numIdEEEvi20rocsparse_direction_NS_24const_host_device_scalarIT2_EEPKiS8_PKS5_SA_S6_PS5_21rocsparse_index_base_b
    .private_segment_fixed_size: 0
    .sgpr_count:     16
    .sgpr_spill_count: 0
    .symbol:         _ZN9rocsparseL19gebsrmvn_2xn_kernelILj128ELj3ELj32E21rocsparse_complex_numIdEEEvi20rocsparse_direction_NS_24const_host_device_scalarIT2_EEPKiS8_PKS5_SA_S6_PS5_21rocsparse_index_base_b.kd
    .uniform_work_group_size: 1
    .uses_dynamic_stack: false
    .vgpr_count:     60
    .vgpr_spill_count: 0
    .wavefront_size: 32
  - .args:
      - .offset:         0
        .size:           4
        .value_kind:     by_value
      - .offset:         4
        .size:           4
        .value_kind:     by_value
      - .offset:         8
        .size:           16
        .value_kind:     by_value
      - .actual_access:  read_only
        .address_space:  global
        .offset:         24
        .size:           8
        .value_kind:     global_buffer
      - .actual_access:  read_only
        .address_space:  global
        .offset:         32
        .size:           8
        .value_kind:     global_buffer
      - .actual_access:  read_only
        .address_space:  global
        .offset:         40
        .size:           8
        .value_kind:     global_buffer
      - .actual_access:  read_only
        .address_space:  global
        .offset:         48
        .size:           8
        .value_kind:     global_buffer
      - .offset:         56
        .size:           16
        .value_kind:     by_value
      - .address_space:  global
        .offset:         72
        .size:           8
        .value_kind:     global_buffer
      - .offset:         80
        .size:           4
        .value_kind:     by_value
      - .offset:         84
        .size:           1
        .value_kind:     by_value
    .group_segment_fixed_size: 0
    .kernarg_segment_align: 8
    .kernarg_segment_size: 88
    .language:       OpenCL C
    .language_version:
      - 2
      - 0
    .max_flat_workgroup_size: 128
    .name:           _ZN9rocsparseL19gebsrmvn_2xn_kernelILj128ELj3ELj64E21rocsparse_complex_numIdEEEvi20rocsparse_direction_NS_24const_host_device_scalarIT2_EEPKiS8_PKS5_SA_S6_PS5_21rocsparse_index_base_b
    .private_segment_fixed_size: 0
    .sgpr_count:     16
    .sgpr_spill_count: 0
    .symbol:         _ZN9rocsparseL19gebsrmvn_2xn_kernelILj128ELj3ELj64E21rocsparse_complex_numIdEEEvi20rocsparse_direction_NS_24const_host_device_scalarIT2_EEPKiS8_PKS5_SA_S6_PS5_21rocsparse_index_base_b.kd
    .uniform_work_group_size: 1
    .uses_dynamic_stack: false
    .vgpr_count:     60
    .vgpr_spill_count: 0
    .wavefront_size: 32
  - .args:
      - .offset:         0
        .size:           4
        .value_kind:     by_value
      - .offset:         4
        .size:           4
        .value_kind:     by_value
      - .offset:         8
        .size:           16
        .value_kind:     by_value
      - .actual_access:  read_only
        .address_space:  global
        .offset:         24
        .size:           8
        .value_kind:     global_buffer
      - .actual_access:  read_only
        .address_space:  global
        .offset:         32
        .size:           8
        .value_kind:     global_buffer
      - .actual_access:  read_only
        .address_space:  global
        .offset:         40
        .size:           8
        .value_kind:     global_buffer
      - .actual_access:  read_only
        .address_space:  global
        .offset:         48
        .size:           8
        .value_kind:     global_buffer
      - .offset:         56
        .size:           16
        .value_kind:     by_value
      - .address_space:  global
        .offset:         72
        .size:           8
        .value_kind:     global_buffer
      - .offset:         80
        .size:           4
        .value_kind:     by_value
      - .offset:         84
        .size:           1
        .value_kind:     by_value
    .group_segment_fixed_size: 0
    .kernarg_segment_align: 8
    .kernarg_segment_size: 88
    .language:       OpenCL C
    .language_version:
      - 2
      - 0
    .max_flat_workgroup_size: 128
    .name:           _ZN9rocsparseL19gebsrmvn_2xn_kernelILj128ELj4ELj4E21rocsparse_complex_numIdEEEvi20rocsparse_direction_NS_24const_host_device_scalarIT2_EEPKiS8_PKS5_SA_S6_PS5_21rocsparse_index_base_b
    .private_segment_fixed_size: 0
    .sgpr_count:     16
    .sgpr_spill_count: 0
    .symbol:         _ZN9rocsparseL19gebsrmvn_2xn_kernelILj128ELj4ELj4E21rocsparse_complex_numIdEEEvi20rocsparse_direction_NS_24const_host_device_scalarIT2_EEPKiS8_PKS5_SA_S6_PS5_21rocsparse_index_base_b.kd
    .uniform_work_group_size: 1
    .uses_dynamic_stack: false
    .vgpr_count:     71
    .vgpr_spill_count: 0
    .wavefront_size: 32
  - .args:
      - .offset:         0
        .size:           4
        .value_kind:     by_value
      - .offset:         4
        .size:           4
        .value_kind:     by_value
      - .offset:         8
        .size:           16
        .value_kind:     by_value
      - .actual_access:  read_only
        .address_space:  global
        .offset:         24
        .size:           8
        .value_kind:     global_buffer
      - .actual_access:  read_only
        .address_space:  global
        .offset:         32
        .size:           8
        .value_kind:     global_buffer
      - .actual_access:  read_only
        .address_space:  global
        .offset:         40
        .size:           8
        .value_kind:     global_buffer
      - .actual_access:  read_only
        .address_space:  global
        .offset:         48
        .size:           8
        .value_kind:     global_buffer
      - .offset:         56
        .size:           16
        .value_kind:     by_value
      - .address_space:  global
        .offset:         72
        .size:           8
        .value_kind:     global_buffer
      - .offset:         80
        .size:           4
        .value_kind:     by_value
      - .offset:         84
        .size:           1
        .value_kind:     by_value
    .group_segment_fixed_size: 0
    .kernarg_segment_align: 8
    .kernarg_segment_size: 88
    .language:       OpenCL C
    .language_version:
      - 2
      - 0
    .max_flat_workgroup_size: 128
    .name:           _ZN9rocsparseL19gebsrmvn_2xn_kernelILj128ELj4ELj8E21rocsparse_complex_numIdEEEvi20rocsparse_direction_NS_24const_host_device_scalarIT2_EEPKiS8_PKS5_SA_S6_PS5_21rocsparse_index_base_b
    .private_segment_fixed_size: 0
    .sgpr_count:     16
    .sgpr_spill_count: 0
    .symbol:         _ZN9rocsparseL19gebsrmvn_2xn_kernelILj128ELj4ELj8E21rocsparse_complex_numIdEEEvi20rocsparse_direction_NS_24const_host_device_scalarIT2_EEPKiS8_PKS5_SA_S6_PS5_21rocsparse_index_base_b.kd
    .uniform_work_group_size: 1
    .uses_dynamic_stack: false
    .vgpr_count:     71
    .vgpr_spill_count: 0
    .wavefront_size: 32
  - .args:
      - .offset:         0
        .size:           4
        .value_kind:     by_value
      - .offset:         4
        .size:           4
        .value_kind:     by_value
      - .offset:         8
        .size:           16
        .value_kind:     by_value
      - .actual_access:  read_only
        .address_space:  global
        .offset:         24
        .size:           8
        .value_kind:     global_buffer
      - .actual_access:  read_only
        .address_space:  global
        .offset:         32
        .size:           8
        .value_kind:     global_buffer
      - .actual_access:  read_only
        .address_space:  global
        .offset:         40
        .size:           8
        .value_kind:     global_buffer
      - .actual_access:  read_only
        .address_space:  global
        .offset:         48
        .size:           8
        .value_kind:     global_buffer
      - .offset:         56
        .size:           16
        .value_kind:     by_value
      - .address_space:  global
        .offset:         72
        .size:           8
        .value_kind:     global_buffer
      - .offset:         80
        .size:           4
        .value_kind:     by_value
      - .offset:         84
        .size:           1
        .value_kind:     by_value
    .group_segment_fixed_size: 0
    .kernarg_segment_align: 8
    .kernarg_segment_size: 88
    .language:       OpenCL C
    .language_version:
      - 2
      - 0
    .max_flat_workgroup_size: 128
    .name:           _ZN9rocsparseL19gebsrmvn_2xn_kernelILj128ELj4ELj16E21rocsparse_complex_numIdEEEvi20rocsparse_direction_NS_24const_host_device_scalarIT2_EEPKiS8_PKS5_SA_S6_PS5_21rocsparse_index_base_b
    .private_segment_fixed_size: 0
    .sgpr_count:     16
    .sgpr_spill_count: 0
    .symbol:         _ZN9rocsparseL19gebsrmvn_2xn_kernelILj128ELj4ELj16E21rocsparse_complex_numIdEEEvi20rocsparse_direction_NS_24const_host_device_scalarIT2_EEPKiS8_PKS5_SA_S6_PS5_21rocsparse_index_base_b.kd
    .uniform_work_group_size: 1
    .uses_dynamic_stack: false
    .vgpr_count:     71
    .vgpr_spill_count: 0
    .wavefront_size: 32
  - .args:
      - .offset:         0
        .size:           4
        .value_kind:     by_value
      - .offset:         4
        .size:           4
        .value_kind:     by_value
      - .offset:         8
        .size:           16
        .value_kind:     by_value
      - .actual_access:  read_only
        .address_space:  global
        .offset:         24
        .size:           8
        .value_kind:     global_buffer
      - .actual_access:  read_only
        .address_space:  global
        .offset:         32
        .size:           8
        .value_kind:     global_buffer
      - .actual_access:  read_only
        .address_space:  global
        .offset:         40
        .size:           8
        .value_kind:     global_buffer
      - .actual_access:  read_only
        .address_space:  global
        .offset:         48
        .size:           8
        .value_kind:     global_buffer
      - .offset:         56
        .size:           16
        .value_kind:     by_value
      - .address_space:  global
        .offset:         72
        .size:           8
        .value_kind:     global_buffer
      - .offset:         80
        .size:           4
        .value_kind:     by_value
      - .offset:         84
        .size:           1
        .value_kind:     by_value
    .group_segment_fixed_size: 0
    .kernarg_segment_align: 8
    .kernarg_segment_size: 88
    .language:       OpenCL C
    .language_version:
      - 2
      - 0
    .max_flat_workgroup_size: 128
    .name:           _ZN9rocsparseL19gebsrmvn_2xn_kernelILj128ELj4ELj32E21rocsparse_complex_numIdEEEvi20rocsparse_direction_NS_24const_host_device_scalarIT2_EEPKiS8_PKS5_SA_S6_PS5_21rocsparse_index_base_b
    .private_segment_fixed_size: 0
    .sgpr_count:     16
    .sgpr_spill_count: 0
    .symbol:         _ZN9rocsparseL19gebsrmvn_2xn_kernelILj128ELj4ELj32E21rocsparse_complex_numIdEEEvi20rocsparse_direction_NS_24const_host_device_scalarIT2_EEPKiS8_PKS5_SA_S6_PS5_21rocsparse_index_base_b.kd
    .uniform_work_group_size: 1
    .uses_dynamic_stack: false
    .vgpr_count:     71
    .vgpr_spill_count: 0
    .wavefront_size: 32
  - .args:
      - .offset:         0
        .size:           4
        .value_kind:     by_value
      - .offset:         4
        .size:           4
        .value_kind:     by_value
      - .offset:         8
        .size:           16
        .value_kind:     by_value
      - .actual_access:  read_only
        .address_space:  global
        .offset:         24
        .size:           8
        .value_kind:     global_buffer
      - .actual_access:  read_only
        .address_space:  global
        .offset:         32
        .size:           8
        .value_kind:     global_buffer
      - .actual_access:  read_only
        .address_space:  global
        .offset:         40
        .size:           8
        .value_kind:     global_buffer
      - .actual_access:  read_only
        .address_space:  global
        .offset:         48
        .size:           8
        .value_kind:     global_buffer
      - .offset:         56
        .size:           16
        .value_kind:     by_value
      - .address_space:  global
        .offset:         72
        .size:           8
        .value_kind:     global_buffer
      - .offset:         80
        .size:           4
        .value_kind:     by_value
      - .offset:         84
        .size:           1
        .value_kind:     by_value
    .group_segment_fixed_size: 0
    .kernarg_segment_align: 8
    .kernarg_segment_size: 88
    .language:       OpenCL C
    .language_version:
      - 2
      - 0
    .max_flat_workgroup_size: 128
    .name:           _ZN9rocsparseL19gebsrmvn_2xn_kernelILj128ELj4ELj64E21rocsparse_complex_numIdEEEvi20rocsparse_direction_NS_24const_host_device_scalarIT2_EEPKiS8_PKS5_SA_S6_PS5_21rocsparse_index_base_b
    .private_segment_fixed_size: 0
    .sgpr_count:     16
    .sgpr_spill_count: 0
    .symbol:         _ZN9rocsparseL19gebsrmvn_2xn_kernelILj128ELj4ELj64E21rocsparse_complex_numIdEEEvi20rocsparse_direction_NS_24const_host_device_scalarIT2_EEPKiS8_PKS5_SA_S6_PS5_21rocsparse_index_base_b.kd
    .uniform_work_group_size: 1
    .uses_dynamic_stack: false
    .vgpr_count:     71
    .vgpr_spill_count: 0
    .wavefront_size: 32
  - .args:
      - .offset:         0
        .size:           4
        .value_kind:     by_value
      - .offset:         4
        .size:           4
        .value_kind:     by_value
      - .offset:         8
        .size:           16
        .value_kind:     by_value
      - .actual_access:  read_only
        .address_space:  global
        .offset:         24
        .size:           8
        .value_kind:     global_buffer
      - .actual_access:  read_only
        .address_space:  global
        .offset:         32
        .size:           8
        .value_kind:     global_buffer
      - .actual_access:  read_only
        .address_space:  global
        .offset:         40
        .size:           8
        .value_kind:     global_buffer
      - .actual_access:  read_only
        .address_space:  global
        .offset:         48
        .size:           8
        .value_kind:     global_buffer
      - .offset:         56
        .size:           16
        .value_kind:     by_value
      - .address_space:  global
        .offset:         72
        .size:           8
        .value_kind:     global_buffer
      - .offset:         80
        .size:           4
        .value_kind:     by_value
      - .offset:         84
        .size:           1
        .value_kind:     by_value
    .group_segment_fixed_size: 0
    .kernarg_segment_align: 8
    .kernarg_segment_size: 88
    .language:       OpenCL C
    .language_version:
      - 2
      - 0
    .max_flat_workgroup_size: 128
    .name:           _ZN9rocsparseL19gebsrmvn_2xn_kernelILj128ELj5ELj4E21rocsparse_complex_numIdEEEvi20rocsparse_direction_NS_24const_host_device_scalarIT2_EEPKiS8_PKS5_SA_S6_PS5_21rocsparse_index_base_b
    .private_segment_fixed_size: 0
    .sgpr_count:     16
    .sgpr_spill_count: 0
    .symbol:         _ZN9rocsparseL19gebsrmvn_2xn_kernelILj128ELj5ELj4E21rocsparse_complex_numIdEEEvi20rocsparse_direction_NS_24const_host_device_scalarIT2_EEPKiS8_PKS5_SA_S6_PS5_21rocsparse_index_base_b.kd
    .uniform_work_group_size: 1
    .uses_dynamic_stack: false
    .vgpr_count:     83
    .vgpr_spill_count: 0
    .wavefront_size: 32
  - .args:
      - .offset:         0
        .size:           4
        .value_kind:     by_value
      - .offset:         4
        .size:           4
        .value_kind:     by_value
      - .offset:         8
        .size:           16
        .value_kind:     by_value
      - .actual_access:  read_only
        .address_space:  global
        .offset:         24
        .size:           8
        .value_kind:     global_buffer
      - .actual_access:  read_only
        .address_space:  global
        .offset:         32
        .size:           8
        .value_kind:     global_buffer
      - .actual_access:  read_only
        .address_space:  global
        .offset:         40
        .size:           8
        .value_kind:     global_buffer
      - .actual_access:  read_only
        .address_space:  global
        .offset:         48
        .size:           8
        .value_kind:     global_buffer
      - .offset:         56
        .size:           16
        .value_kind:     by_value
      - .address_space:  global
        .offset:         72
        .size:           8
        .value_kind:     global_buffer
      - .offset:         80
        .size:           4
        .value_kind:     by_value
      - .offset:         84
        .size:           1
        .value_kind:     by_value
    .group_segment_fixed_size: 0
    .kernarg_segment_align: 8
    .kernarg_segment_size: 88
    .language:       OpenCL C
    .language_version:
      - 2
      - 0
    .max_flat_workgroup_size: 128
    .name:           _ZN9rocsparseL19gebsrmvn_2xn_kernelILj128ELj5ELj8E21rocsparse_complex_numIdEEEvi20rocsparse_direction_NS_24const_host_device_scalarIT2_EEPKiS8_PKS5_SA_S6_PS5_21rocsparse_index_base_b
    .private_segment_fixed_size: 0
    .sgpr_count:     16
    .sgpr_spill_count: 0
    .symbol:         _ZN9rocsparseL19gebsrmvn_2xn_kernelILj128ELj5ELj8E21rocsparse_complex_numIdEEEvi20rocsparse_direction_NS_24const_host_device_scalarIT2_EEPKiS8_PKS5_SA_S6_PS5_21rocsparse_index_base_b.kd
    .uniform_work_group_size: 1
    .uses_dynamic_stack: false
    .vgpr_count:     83
    .vgpr_spill_count: 0
    .wavefront_size: 32
  - .args:
      - .offset:         0
        .size:           4
        .value_kind:     by_value
      - .offset:         4
        .size:           4
        .value_kind:     by_value
      - .offset:         8
        .size:           16
        .value_kind:     by_value
      - .actual_access:  read_only
        .address_space:  global
        .offset:         24
        .size:           8
        .value_kind:     global_buffer
      - .actual_access:  read_only
        .address_space:  global
        .offset:         32
        .size:           8
        .value_kind:     global_buffer
      - .actual_access:  read_only
        .address_space:  global
        .offset:         40
        .size:           8
        .value_kind:     global_buffer
      - .actual_access:  read_only
        .address_space:  global
        .offset:         48
        .size:           8
        .value_kind:     global_buffer
      - .offset:         56
        .size:           16
        .value_kind:     by_value
      - .address_space:  global
        .offset:         72
        .size:           8
        .value_kind:     global_buffer
      - .offset:         80
        .size:           4
        .value_kind:     by_value
      - .offset:         84
        .size:           1
        .value_kind:     by_value
    .group_segment_fixed_size: 0
    .kernarg_segment_align: 8
    .kernarg_segment_size: 88
    .language:       OpenCL C
    .language_version:
      - 2
      - 0
    .max_flat_workgroup_size: 128
    .name:           _ZN9rocsparseL19gebsrmvn_2xn_kernelILj128ELj5ELj16E21rocsparse_complex_numIdEEEvi20rocsparse_direction_NS_24const_host_device_scalarIT2_EEPKiS8_PKS5_SA_S6_PS5_21rocsparse_index_base_b
    .private_segment_fixed_size: 0
    .sgpr_count:     16
    .sgpr_spill_count: 0
    .symbol:         _ZN9rocsparseL19gebsrmvn_2xn_kernelILj128ELj5ELj16E21rocsparse_complex_numIdEEEvi20rocsparse_direction_NS_24const_host_device_scalarIT2_EEPKiS8_PKS5_SA_S6_PS5_21rocsparse_index_base_b.kd
    .uniform_work_group_size: 1
    .uses_dynamic_stack: false
    .vgpr_count:     83
    .vgpr_spill_count: 0
    .wavefront_size: 32
  - .args:
      - .offset:         0
        .size:           4
        .value_kind:     by_value
      - .offset:         4
        .size:           4
        .value_kind:     by_value
      - .offset:         8
        .size:           16
        .value_kind:     by_value
      - .actual_access:  read_only
        .address_space:  global
        .offset:         24
        .size:           8
        .value_kind:     global_buffer
      - .actual_access:  read_only
        .address_space:  global
        .offset:         32
        .size:           8
        .value_kind:     global_buffer
      - .actual_access:  read_only
        .address_space:  global
        .offset:         40
        .size:           8
        .value_kind:     global_buffer
      - .actual_access:  read_only
        .address_space:  global
        .offset:         48
        .size:           8
        .value_kind:     global_buffer
      - .offset:         56
        .size:           16
        .value_kind:     by_value
      - .address_space:  global
        .offset:         72
        .size:           8
        .value_kind:     global_buffer
      - .offset:         80
        .size:           4
        .value_kind:     by_value
      - .offset:         84
        .size:           1
        .value_kind:     by_value
    .group_segment_fixed_size: 0
    .kernarg_segment_align: 8
    .kernarg_segment_size: 88
    .language:       OpenCL C
    .language_version:
      - 2
      - 0
    .max_flat_workgroup_size: 128
    .name:           _ZN9rocsparseL19gebsrmvn_2xn_kernelILj128ELj5ELj32E21rocsparse_complex_numIdEEEvi20rocsparse_direction_NS_24const_host_device_scalarIT2_EEPKiS8_PKS5_SA_S6_PS5_21rocsparse_index_base_b
    .private_segment_fixed_size: 0
    .sgpr_count:     16
    .sgpr_spill_count: 0
    .symbol:         _ZN9rocsparseL19gebsrmvn_2xn_kernelILj128ELj5ELj32E21rocsparse_complex_numIdEEEvi20rocsparse_direction_NS_24const_host_device_scalarIT2_EEPKiS8_PKS5_SA_S6_PS5_21rocsparse_index_base_b.kd
    .uniform_work_group_size: 1
    .uses_dynamic_stack: false
    .vgpr_count:     83
    .vgpr_spill_count: 0
    .wavefront_size: 32
  - .args:
      - .offset:         0
        .size:           4
        .value_kind:     by_value
      - .offset:         4
        .size:           4
        .value_kind:     by_value
      - .offset:         8
        .size:           16
        .value_kind:     by_value
      - .actual_access:  read_only
        .address_space:  global
        .offset:         24
        .size:           8
        .value_kind:     global_buffer
      - .actual_access:  read_only
        .address_space:  global
        .offset:         32
        .size:           8
        .value_kind:     global_buffer
      - .actual_access:  read_only
        .address_space:  global
        .offset:         40
        .size:           8
        .value_kind:     global_buffer
      - .actual_access:  read_only
        .address_space:  global
        .offset:         48
        .size:           8
        .value_kind:     global_buffer
      - .offset:         56
        .size:           16
        .value_kind:     by_value
      - .address_space:  global
        .offset:         72
        .size:           8
        .value_kind:     global_buffer
      - .offset:         80
        .size:           4
        .value_kind:     by_value
      - .offset:         84
        .size:           1
        .value_kind:     by_value
    .group_segment_fixed_size: 0
    .kernarg_segment_align: 8
    .kernarg_segment_size: 88
    .language:       OpenCL C
    .language_version:
      - 2
      - 0
    .max_flat_workgroup_size: 128
    .name:           _ZN9rocsparseL19gebsrmvn_2xn_kernelILj128ELj5ELj64E21rocsparse_complex_numIdEEEvi20rocsparse_direction_NS_24const_host_device_scalarIT2_EEPKiS8_PKS5_SA_S6_PS5_21rocsparse_index_base_b
    .private_segment_fixed_size: 0
    .sgpr_count:     16
    .sgpr_spill_count: 0
    .symbol:         _ZN9rocsparseL19gebsrmvn_2xn_kernelILj128ELj5ELj64E21rocsparse_complex_numIdEEEvi20rocsparse_direction_NS_24const_host_device_scalarIT2_EEPKiS8_PKS5_SA_S6_PS5_21rocsparse_index_base_b.kd
    .uniform_work_group_size: 1
    .uses_dynamic_stack: false
    .vgpr_count:     83
    .vgpr_spill_count: 0
    .wavefront_size: 32
  - .args:
      - .offset:         0
        .size:           4
        .value_kind:     by_value
      - .offset:         4
        .size:           4
        .value_kind:     by_value
      - .offset:         8
        .size:           16
        .value_kind:     by_value
      - .actual_access:  read_only
        .address_space:  global
        .offset:         24
        .size:           8
        .value_kind:     global_buffer
      - .actual_access:  read_only
        .address_space:  global
        .offset:         32
        .size:           8
        .value_kind:     global_buffer
      - .actual_access:  read_only
        .address_space:  global
        .offset:         40
        .size:           8
        .value_kind:     global_buffer
      - .actual_access:  read_only
        .address_space:  global
        .offset:         48
        .size:           8
        .value_kind:     global_buffer
      - .offset:         56
        .size:           16
        .value_kind:     by_value
      - .address_space:  global
        .offset:         72
        .size:           8
        .value_kind:     global_buffer
      - .offset:         80
        .size:           4
        .value_kind:     by_value
      - .offset:         84
        .size:           1
        .value_kind:     by_value
    .group_segment_fixed_size: 0
    .kernarg_segment_align: 8
    .kernarg_segment_size: 88
    .language:       OpenCL C
    .language_version:
      - 2
      - 0
    .max_flat_workgroup_size: 128
    .name:           _ZN9rocsparseL19gebsrmvn_2xn_kernelILj128ELj6ELj4E21rocsparse_complex_numIdEEEvi20rocsparse_direction_NS_24const_host_device_scalarIT2_EEPKiS8_PKS5_SA_S6_PS5_21rocsparse_index_base_b
    .private_segment_fixed_size: 0
    .sgpr_count:     16
    .sgpr_spill_count: 0
    .symbol:         _ZN9rocsparseL19gebsrmvn_2xn_kernelILj128ELj6ELj4E21rocsparse_complex_numIdEEEvi20rocsparse_direction_NS_24const_host_device_scalarIT2_EEPKiS8_PKS5_SA_S6_PS5_21rocsparse_index_base_b.kd
    .uniform_work_group_size: 1
    .uses_dynamic_stack: false
    .vgpr_count:     96
    .vgpr_spill_count: 0
    .wavefront_size: 32
  - .args:
      - .offset:         0
        .size:           4
        .value_kind:     by_value
      - .offset:         4
        .size:           4
        .value_kind:     by_value
      - .offset:         8
        .size:           16
        .value_kind:     by_value
      - .actual_access:  read_only
        .address_space:  global
        .offset:         24
        .size:           8
        .value_kind:     global_buffer
      - .actual_access:  read_only
        .address_space:  global
        .offset:         32
        .size:           8
        .value_kind:     global_buffer
      - .actual_access:  read_only
        .address_space:  global
        .offset:         40
        .size:           8
        .value_kind:     global_buffer
      - .actual_access:  read_only
        .address_space:  global
        .offset:         48
        .size:           8
        .value_kind:     global_buffer
      - .offset:         56
        .size:           16
        .value_kind:     by_value
      - .address_space:  global
        .offset:         72
        .size:           8
        .value_kind:     global_buffer
      - .offset:         80
        .size:           4
        .value_kind:     by_value
      - .offset:         84
        .size:           1
        .value_kind:     by_value
    .group_segment_fixed_size: 0
    .kernarg_segment_align: 8
    .kernarg_segment_size: 88
    .language:       OpenCL C
    .language_version:
      - 2
      - 0
    .max_flat_workgroup_size: 128
    .name:           _ZN9rocsparseL19gebsrmvn_2xn_kernelILj128ELj6ELj8E21rocsparse_complex_numIdEEEvi20rocsparse_direction_NS_24const_host_device_scalarIT2_EEPKiS8_PKS5_SA_S6_PS5_21rocsparse_index_base_b
    .private_segment_fixed_size: 0
    .sgpr_count:     16
    .sgpr_spill_count: 0
    .symbol:         _ZN9rocsparseL19gebsrmvn_2xn_kernelILj128ELj6ELj8E21rocsparse_complex_numIdEEEvi20rocsparse_direction_NS_24const_host_device_scalarIT2_EEPKiS8_PKS5_SA_S6_PS5_21rocsparse_index_base_b.kd
    .uniform_work_group_size: 1
    .uses_dynamic_stack: false
    .vgpr_count:     96
    .vgpr_spill_count: 0
    .wavefront_size: 32
  - .args:
      - .offset:         0
        .size:           4
        .value_kind:     by_value
      - .offset:         4
        .size:           4
        .value_kind:     by_value
      - .offset:         8
        .size:           16
        .value_kind:     by_value
      - .actual_access:  read_only
        .address_space:  global
        .offset:         24
        .size:           8
        .value_kind:     global_buffer
      - .actual_access:  read_only
        .address_space:  global
        .offset:         32
        .size:           8
        .value_kind:     global_buffer
      - .actual_access:  read_only
        .address_space:  global
        .offset:         40
        .size:           8
        .value_kind:     global_buffer
      - .actual_access:  read_only
        .address_space:  global
        .offset:         48
        .size:           8
        .value_kind:     global_buffer
      - .offset:         56
        .size:           16
        .value_kind:     by_value
      - .address_space:  global
        .offset:         72
        .size:           8
        .value_kind:     global_buffer
      - .offset:         80
        .size:           4
        .value_kind:     by_value
      - .offset:         84
        .size:           1
        .value_kind:     by_value
    .group_segment_fixed_size: 0
    .kernarg_segment_align: 8
    .kernarg_segment_size: 88
    .language:       OpenCL C
    .language_version:
      - 2
      - 0
    .max_flat_workgroup_size: 128
    .name:           _ZN9rocsparseL19gebsrmvn_2xn_kernelILj128ELj6ELj16E21rocsparse_complex_numIdEEEvi20rocsparse_direction_NS_24const_host_device_scalarIT2_EEPKiS8_PKS5_SA_S6_PS5_21rocsparse_index_base_b
    .private_segment_fixed_size: 0
    .sgpr_count:     16
    .sgpr_spill_count: 0
    .symbol:         _ZN9rocsparseL19gebsrmvn_2xn_kernelILj128ELj6ELj16E21rocsparse_complex_numIdEEEvi20rocsparse_direction_NS_24const_host_device_scalarIT2_EEPKiS8_PKS5_SA_S6_PS5_21rocsparse_index_base_b.kd
    .uniform_work_group_size: 1
    .uses_dynamic_stack: false
    .vgpr_count:     96
    .vgpr_spill_count: 0
    .wavefront_size: 32
  - .args:
      - .offset:         0
        .size:           4
        .value_kind:     by_value
      - .offset:         4
        .size:           4
        .value_kind:     by_value
      - .offset:         8
        .size:           16
        .value_kind:     by_value
      - .actual_access:  read_only
        .address_space:  global
        .offset:         24
        .size:           8
        .value_kind:     global_buffer
      - .actual_access:  read_only
        .address_space:  global
        .offset:         32
        .size:           8
        .value_kind:     global_buffer
      - .actual_access:  read_only
        .address_space:  global
        .offset:         40
        .size:           8
        .value_kind:     global_buffer
      - .actual_access:  read_only
        .address_space:  global
        .offset:         48
        .size:           8
        .value_kind:     global_buffer
      - .offset:         56
        .size:           16
        .value_kind:     by_value
      - .address_space:  global
        .offset:         72
        .size:           8
        .value_kind:     global_buffer
      - .offset:         80
        .size:           4
        .value_kind:     by_value
      - .offset:         84
        .size:           1
        .value_kind:     by_value
    .group_segment_fixed_size: 0
    .kernarg_segment_align: 8
    .kernarg_segment_size: 88
    .language:       OpenCL C
    .language_version:
      - 2
      - 0
    .max_flat_workgroup_size: 128
    .name:           _ZN9rocsparseL19gebsrmvn_2xn_kernelILj128ELj6ELj32E21rocsparse_complex_numIdEEEvi20rocsparse_direction_NS_24const_host_device_scalarIT2_EEPKiS8_PKS5_SA_S6_PS5_21rocsparse_index_base_b
    .private_segment_fixed_size: 0
    .sgpr_count:     16
    .sgpr_spill_count: 0
    .symbol:         _ZN9rocsparseL19gebsrmvn_2xn_kernelILj128ELj6ELj32E21rocsparse_complex_numIdEEEvi20rocsparse_direction_NS_24const_host_device_scalarIT2_EEPKiS8_PKS5_SA_S6_PS5_21rocsparse_index_base_b.kd
    .uniform_work_group_size: 1
    .uses_dynamic_stack: false
    .vgpr_count:     96
    .vgpr_spill_count: 0
    .wavefront_size: 32
  - .args:
      - .offset:         0
        .size:           4
        .value_kind:     by_value
      - .offset:         4
        .size:           4
        .value_kind:     by_value
      - .offset:         8
        .size:           16
        .value_kind:     by_value
      - .actual_access:  read_only
        .address_space:  global
        .offset:         24
        .size:           8
        .value_kind:     global_buffer
      - .actual_access:  read_only
        .address_space:  global
        .offset:         32
        .size:           8
        .value_kind:     global_buffer
      - .actual_access:  read_only
        .address_space:  global
        .offset:         40
        .size:           8
        .value_kind:     global_buffer
      - .actual_access:  read_only
        .address_space:  global
        .offset:         48
        .size:           8
        .value_kind:     global_buffer
      - .offset:         56
        .size:           16
        .value_kind:     by_value
      - .address_space:  global
        .offset:         72
        .size:           8
        .value_kind:     global_buffer
      - .offset:         80
        .size:           4
        .value_kind:     by_value
      - .offset:         84
        .size:           1
        .value_kind:     by_value
    .group_segment_fixed_size: 0
    .kernarg_segment_align: 8
    .kernarg_segment_size: 88
    .language:       OpenCL C
    .language_version:
      - 2
      - 0
    .max_flat_workgroup_size: 128
    .name:           _ZN9rocsparseL19gebsrmvn_2xn_kernelILj128ELj6ELj64E21rocsparse_complex_numIdEEEvi20rocsparse_direction_NS_24const_host_device_scalarIT2_EEPKiS8_PKS5_SA_S6_PS5_21rocsparse_index_base_b
    .private_segment_fixed_size: 0
    .sgpr_count:     16
    .sgpr_spill_count: 0
    .symbol:         _ZN9rocsparseL19gebsrmvn_2xn_kernelILj128ELj6ELj64E21rocsparse_complex_numIdEEEvi20rocsparse_direction_NS_24const_host_device_scalarIT2_EEPKiS8_PKS5_SA_S6_PS5_21rocsparse_index_base_b.kd
    .uniform_work_group_size: 1
    .uses_dynamic_stack: false
    .vgpr_count:     96
    .vgpr_spill_count: 0
    .wavefront_size: 32
  - .args:
      - .offset:         0
        .size:           4
        .value_kind:     by_value
      - .offset:         4
        .size:           4
        .value_kind:     by_value
      - .offset:         8
        .size:           16
        .value_kind:     by_value
      - .actual_access:  read_only
        .address_space:  global
        .offset:         24
        .size:           8
        .value_kind:     global_buffer
      - .actual_access:  read_only
        .address_space:  global
        .offset:         32
        .size:           8
        .value_kind:     global_buffer
      - .actual_access:  read_only
        .address_space:  global
        .offset:         40
        .size:           8
        .value_kind:     global_buffer
      - .actual_access:  read_only
        .address_space:  global
        .offset:         48
        .size:           8
        .value_kind:     global_buffer
      - .offset:         56
        .size:           16
        .value_kind:     by_value
      - .address_space:  global
        .offset:         72
        .size:           8
        .value_kind:     global_buffer
      - .offset:         80
        .size:           4
        .value_kind:     by_value
      - .offset:         84
        .size:           1
        .value_kind:     by_value
    .group_segment_fixed_size: 0
    .kernarg_segment_align: 8
    .kernarg_segment_size: 88
    .language:       OpenCL C
    .language_version:
      - 2
      - 0
    .max_flat_workgroup_size: 128
    .name:           _ZN9rocsparseL19gebsrmvn_2xn_kernelILj128ELj7ELj4E21rocsparse_complex_numIdEEEvi20rocsparse_direction_NS_24const_host_device_scalarIT2_EEPKiS8_PKS5_SA_S6_PS5_21rocsparse_index_base_b
    .private_segment_fixed_size: 0
    .sgpr_count:     16
    .sgpr_spill_count: 0
    .symbol:         _ZN9rocsparseL19gebsrmvn_2xn_kernelILj128ELj7ELj4E21rocsparse_complex_numIdEEEvi20rocsparse_direction_NS_24const_host_device_scalarIT2_EEPKiS8_PKS5_SA_S6_PS5_21rocsparse_index_base_b.kd
    .uniform_work_group_size: 1
    .uses_dynamic_stack: false
    .vgpr_count:     95
    .vgpr_spill_count: 0
    .wavefront_size: 32
  - .args:
      - .offset:         0
        .size:           4
        .value_kind:     by_value
      - .offset:         4
        .size:           4
        .value_kind:     by_value
      - .offset:         8
        .size:           16
        .value_kind:     by_value
      - .actual_access:  read_only
        .address_space:  global
        .offset:         24
        .size:           8
        .value_kind:     global_buffer
      - .actual_access:  read_only
        .address_space:  global
        .offset:         32
        .size:           8
        .value_kind:     global_buffer
      - .actual_access:  read_only
        .address_space:  global
        .offset:         40
        .size:           8
        .value_kind:     global_buffer
      - .actual_access:  read_only
        .address_space:  global
        .offset:         48
        .size:           8
        .value_kind:     global_buffer
      - .offset:         56
        .size:           16
        .value_kind:     by_value
      - .address_space:  global
        .offset:         72
        .size:           8
        .value_kind:     global_buffer
      - .offset:         80
        .size:           4
        .value_kind:     by_value
      - .offset:         84
        .size:           1
        .value_kind:     by_value
    .group_segment_fixed_size: 0
    .kernarg_segment_align: 8
    .kernarg_segment_size: 88
    .language:       OpenCL C
    .language_version:
      - 2
      - 0
    .max_flat_workgroup_size: 128
    .name:           _ZN9rocsparseL19gebsrmvn_2xn_kernelILj128ELj7ELj8E21rocsparse_complex_numIdEEEvi20rocsparse_direction_NS_24const_host_device_scalarIT2_EEPKiS8_PKS5_SA_S6_PS5_21rocsparse_index_base_b
    .private_segment_fixed_size: 0
    .sgpr_count:     16
    .sgpr_spill_count: 0
    .symbol:         _ZN9rocsparseL19gebsrmvn_2xn_kernelILj128ELj7ELj8E21rocsparse_complex_numIdEEEvi20rocsparse_direction_NS_24const_host_device_scalarIT2_EEPKiS8_PKS5_SA_S6_PS5_21rocsparse_index_base_b.kd
    .uniform_work_group_size: 1
    .uses_dynamic_stack: false
    .vgpr_count:     95
    .vgpr_spill_count: 0
    .wavefront_size: 32
  - .args:
      - .offset:         0
        .size:           4
        .value_kind:     by_value
      - .offset:         4
        .size:           4
        .value_kind:     by_value
      - .offset:         8
        .size:           16
        .value_kind:     by_value
      - .actual_access:  read_only
        .address_space:  global
        .offset:         24
        .size:           8
        .value_kind:     global_buffer
      - .actual_access:  read_only
        .address_space:  global
        .offset:         32
        .size:           8
        .value_kind:     global_buffer
      - .actual_access:  read_only
        .address_space:  global
        .offset:         40
        .size:           8
        .value_kind:     global_buffer
      - .actual_access:  read_only
        .address_space:  global
        .offset:         48
        .size:           8
        .value_kind:     global_buffer
      - .offset:         56
        .size:           16
        .value_kind:     by_value
      - .address_space:  global
        .offset:         72
        .size:           8
        .value_kind:     global_buffer
      - .offset:         80
        .size:           4
        .value_kind:     by_value
      - .offset:         84
        .size:           1
        .value_kind:     by_value
    .group_segment_fixed_size: 0
    .kernarg_segment_align: 8
    .kernarg_segment_size: 88
    .language:       OpenCL C
    .language_version:
      - 2
      - 0
    .max_flat_workgroup_size: 128
    .name:           _ZN9rocsparseL19gebsrmvn_2xn_kernelILj128ELj7ELj16E21rocsparse_complex_numIdEEEvi20rocsparse_direction_NS_24const_host_device_scalarIT2_EEPKiS8_PKS5_SA_S6_PS5_21rocsparse_index_base_b
    .private_segment_fixed_size: 0
    .sgpr_count:     16
    .sgpr_spill_count: 0
    .symbol:         _ZN9rocsparseL19gebsrmvn_2xn_kernelILj128ELj7ELj16E21rocsparse_complex_numIdEEEvi20rocsparse_direction_NS_24const_host_device_scalarIT2_EEPKiS8_PKS5_SA_S6_PS5_21rocsparse_index_base_b.kd
    .uniform_work_group_size: 1
    .uses_dynamic_stack: false
    .vgpr_count:     95
    .vgpr_spill_count: 0
    .wavefront_size: 32
  - .args:
      - .offset:         0
        .size:           4
        .value_kind:     by_value
      - .offset:         4
        .size:           4
        .value_kind:     by_value
      - .offset:         8
        .size:           16
        .value_kind:     by_value
      - .actual_access:  read_only
        .address_space:  global
        .offset:         24
        .size:           8
        .value_kind:     global_buffer
      - .actual_access:  read_only
        .address_space:  global
        .offset:         32
        .size:           8
        .value_kind:     global_buffer
      - .actual_access:  read_only
        .address_space:  global
        .offset:         40
        .size:           8
        .value_kind:     global_buffer
      - .actual_access:  read_only
        .address_space:  global
        .offset:         48
        .size:           8
        .value_kind:     global_buffer
      - .offset:         56
        .size:           16
        .value_kind:     by_value
      - .address_space:  global
        .offset:         72
        .size:           8
        .value_kind:     global_buffer
      - .offset:         80
        .size:           4
        .value_kind:     by_value
      - .offset:         84
        .size:           1
        .value_kind:     by_value
    .group_segment_fixed_size: 0
    .kernarg_segment_align: 8
    .kernarg_segment_size: 88
    .language:       OpenCL C
    .language_version:
      - 2
      - 0
    .max_flat_workgroup_size: 128
    .name:           _ZN9rocsparseL19gebsrmvn_2xn_kernelILj128ELj7ELj32E21rocsparse_complex_numIdEEEvi20rocsparse_direction_NS_24const_host_device_scalarIT2_EEPKiS8_PKS5_SA_S6_PS5_21rocsparse_index_base_b
    .private_segment_fixed_size: 0
    .sgpr_count:     16
    .sgpr_spill_count: 0
    .symbol:         _ZN9rocsparseL19gebsrmvn_2xn_kernelILj128ELj7ELj32E21rocsparse_complex_numIdEEEvi20rocsparse_direction_NS_24const_host_device_scalarIT2_EEPKiS8_PKS5_SA_S6_PS5_21rocsparse_index_base_b.kd
    .uniform_work_group_size: 1
    .uses_dynamic_stack: false
    .vgpr_count:     95
    .vgpr_spill_count: 0
    .wavefront_size: 32
  - .args:
      - .offset:         0
        .size:           4
        .value_kind:     by_value
      - .offset:         4
        .size:           4
        .value_kind:     by_value
      - .offset:         8
        .size:           16
        .value_kind:     by_value
      - .actual_access:  read_only
        .address_space:  global
        .offset:         24
        .size:           8
        .value_kind:     global_buffer
      - .actual_access:  read_only
        .address_space:  global
        .offset:         32
        .size:           8
        .value_kind:     global_buffer
      - .actual_access:  read_only
        .address_space:  global
        .offset:         40
        .size:           8
        .value_kind:     global_buffer
      - .actual_access:  read_only
        .address_space:  global
        .offset:         48
        .size:           8
        .value_kind:     global_buffer
      - .offset:         56
        .size:           16
        .value_kind:     by_value
      - .address_space:  global
        .offset:         72
        .size:           8
        .value_kind:     global_buffer
      - .offset:         80
        .size:           4
        .value_kind:     by_value
      - .offset:         84
        .size:           1
        .value_kind:     by_value
    .group_segment_fixed_size: 0
    .kernarg_segment_align: 8
    .kernarg_segment_size: 88
    .language:       OpenCL C
    .language_version:
      - 2
      - 0
    .max_flat_workgroup_size: 128
    .name:           _ZN9rocsparseL19gebsrmvn_2xn_kernelILj128ELj7ELj64E21rocsparse_complex_numIdEEEvi20rocsparse_direction_NS_24const_host_device_scalarIT2_EEPKiS8_PKS5_SA_S6_PS5_21rocsparse_index_base_b
    .private_segment_fixed_size: 0
    .sgpr_count:     16
    .sgpr_spill_count: 0
    .symbol:         _ZN9rocsparseL19gebsrmvn_2xn_kernelILj128ELj7ELj64E21rocsparse_complex_numIdEEEvi20rocsparse_direction_NS_24const_host_device_scalarIT2_EEPKiS8_PKS5_SA_S6_PS5_21rocsparse_index_base_b.kd
    .uniform_work_group_size: 1
    .uses_dynamic_stack: false
    .vgpr_count:     95
    .vgpr_spill_count: 0
    .wavefront_size: 32
  - .args:
      - .offset:         0
        .size:           4
        .value_kind:     by_value
      - .offset:         4
        .size:           4
        .value_kind:     by_value
      - .offset:         8
        .size:           16
        .value_kind:     by_value
      - .actual_access:  read_only
        .address_space:  global
        .offset:         24
        .size:           8
        .value_kind:     global_buffer
      - .actual_access:  read_only
        .address_space:  global
        .offset:         32
        .size:           8
        .value_kind:     global_buffer
      - .actual_access:  read_only
        .address_space:  global
        .offset:         40
        .size:           8
        .value_kind:     global_buffer
      - .actual_access:  read_only
        .address_space:  global
        .offset:         48
        .size:           8
        .value_kind:     global_buffer
      - .offset:         56
        .size:           16
        .value_kind:     by_value
      - .address_space:  global
        .offset:         72
        .size:           8
        .value_kind:     global_buffer
      - .offset:         80
        .size:           4
        .value_kind:     by_value
      - .offset:         84
        .size:           1
        .value_kind:     by_value
    .group_segment_fixed_size: 0
    .kernarg_segment_align: 8
    .kernarg_segment_size: 88
    .language:       OpenCL C
    .language_version:
      - 2
      - 0
    .max_flat_workgroup_size: 128
    .name:           _ZN9rocsparseL19gebsrmvn_2xn_kernelILj128ELj8ELj4E21rocsparse_complex_numIdEEEvi20rocsparse_direction_NS_24const_host_device_scalarIT2_EEPKiS8_PKS5_SA_S6_PS5_21rocsparse_index_base_b
    .private_segment_fixed_size: 0
    .sgpr_count:     16
    .sgpr_spill_count: 0
    .symbol:         _ZN9rocsparseL19gebsrmvn_2xn_kernelILj128ELj8ELj4E21rocsparse_complex_numIdEEEvi20rocsparse_direction_NS_24const_host_device_scalarIT2_EEPKiS8_PKS5_SA_S6_PS5_21rocsparse_index_base_b.kd
    .uniform_work_group_size: 1
    .uses_dynamic_stack: false
    .vgpr_count:     102
    .vgpr_spill_count: 0
    .wavefront_size: 32
  - .args:
      - .offset:         0
        .size:           4
        .value_kind:     by_value
      - .offset:         4
        .size:           4
        .value_kind:     by_value
      - .offset:         8
        .size:           16
        .value_kind:     by_value
      - .actual_access:  read_only
        .address_space:  global
        .offset:         24
        .size:           8
        .value_kind:     global_buffer
      - .actual_access:  read_only
        .address_space:  global
        .offset:         32
        .size:           8
        .value_kind:     global_buffer
      - .actual_access:  read_only
        .address_space:  global
        .offset:         40
        .size:           8
        .value_kind:     global_buffer
      - .actual_access:  read_only
        .address_space:  global
        .offset:         48
        .size:           8
        .value_kind:     global_buffer
      - .offset:         56
        .size:           16
        .value_kind:     by_value
      - .address_space:  global
        .offset:         72
        .size:           8
        .value_kind:     global_buffer
      - .offset:         80
        .size:           4
        .value_kind:     by_value
      - .offset:         84
        .size:           1
        .value_kind:     by_value
    .group_segment_fixed_size: 0
    .kernarg_segment_align: 8
    .kernarg_segment_size: 88
    .language:       OpenCL C
    .language_version:
      - 2
      - 0
    .max_flat_workgroup_size: 128
    .name:           _ZN9rocsparseL19gebsrmvn_2xn_kernelILj128ELj8ELj8E21rocsparse_complex_numIdEEEvi20rocsparse_direction_NS_24const_host_device_scalarIT2_EEPKiS8_PKS5_SA_S6_PS5_21rocsparse_index_base_b
    .private_segment_fixed_size: 0
    .sgpr_count:     16
    .sgpr_spill_count: 0
    .symbol:         _ZN9rocsparseL19gebsrmvn_2xn_kernelILj128ELj8ELj8E21rocsparse_complex_numIdEEEvi20rocsparse_direction_NS_24const_host_device_scalarIT2_EEPKiS8_PKS5_SA_S6_PS5_21rocsparse_index_base_b.kd
    .uniform_work_group_size: 1
    .uses_dynamic_stack: false
    .vgpr_count:     102
    .vgpr_spill_count: 0
    .wavefront_size: 32
  - .args:
      - .offset:         0
        .size:           4
        .value_kind:     by_value
      - .offset:         4
        .size:           4
        .value_kind:     by_value
      - .offset:         8
        .size:           16
        .value_kind:     by_value
      - .actual_access:  read_only
        .address_space:  global
        .offset:         24
        .size:           8
        .value_kind:     global_buffer
      - .actual_access:  read_only
        .address_space:  global
        .offset:         32
        .size:           8
        .value_kind:     global_buffer
      - .actual_access:  read_only
        .address_space:  global
        .offset:         40
        .size:           8
        .value_kind:     global_buffer
      - .actual_access:  read_only
        .address_space:  global
        .offset:         48
        .size:           8
        .value_kind:     global_buffer
      - .offset:         56
        .size:           16
        .value_kind:     by_value
      - .address_space:  global
        .offset:         72
        .size:           8
        .value_kind:     global_buffer
      - .offset:         80
        .size:           4
        .value_kind:     by_value
      - .offset:         84
        .size:           1
        .value_kind:     by_value
    .group_segment_fixed_size: 0
    .kernarg_segment_align: 8
    .kernarg_segment_size: 88
    .language:       OpenCL C
    .language_version:
      - 2
      - 0
    .max_flat_workgroup_size: 128
    .name:           _ZN9rocsparseL19gebsrmvn_2xn_kernelILj128ELj8ELj16E21rocsparse_complex_numIdEEEvi20rocsparse_direction_NS_24const_host_device_scalarIT2_EEPKiS8_PKS5_SA_S6_PS5_21rocsparse_index_base_b
    .private_segment_fixed_size: 0
    .sgpr_count:     16
    .sgpr_spill_count: 0
    .symbol:         _ZN9rocsparseL19gebsrmvn_2xn_kernelILj128ELj8ELj16E21rocsparse_complex_numIdEEEvi20rocsparse_direction_NS_24const_host_device_scalarIT2_EEPKiS8_PKS5_SA_S6_PS5_21rocsparse_index_base_b.kd
    .uniform_work_group_size: 1
    .uses_dynamic_stack: false
    .vgpr_count:     102
    .vgpr_spill_count: 0
    .wavefront_size: 32
  - .args:
      - .offset:         0
        .size:           4
        .value_kind:     by_value
      - .offset:         4
        .size:           4
        .value_kind:     by_value
      - .offset:         8
        .size:           16
        .value_kind:     by_value
      - .actual_access:  read_only
        .address_space:  global
        .offset:         24
        .size:           8
        .value_kind:     global_buffer
      - .actual_access:  read_only
        .address_space:  global
        .offset:         32
        .size:           8
        .value_kind:     global_buffer
      - .actual_access:  read_only
        .address_space:  global
        .offset:         40
        .size:           8
        .value_kind:     global_buffer
      - .actual_access:  read_only
        .address_space:  global
        .offset:         48
        .size:           8
        .value_kind:     global_buffer
      - .offset:         56
        .size:           16
        .value_kind:     by_value
      - .address_space:  global
        .offset:         72
        .size:           8
        .value_kind:     global_buffer
      - .offset:         80
        .size:           4
        .value_kind:     by_value
      - .offset:         84
        .size:           1
        .value_kind:     by_value
    .group_segment_fixed_size: 0
    .kernarg_segment_align: 8
    .kernarg_segment_size: 88
    .language:       OpenCL C
    .language_version:
      - 2
      - 0
    .max_flat_workgroup_size: 128
    .name:           _ZN9rocsparseL19gebsrmvn_2xn_kernelILj128ELj8ELj32E21rocsparse_complex_numIdEEEvi20rocsparse_direction_NS_24const_host_device_scalarIT2_EEPKiS8_PKS5_SA_S6_PS5_21rocsparse_index_base_b
    .private_segment_fixed_size: 0
    .sgpr_count:     16
    .sgpr_spill_count: 0
    .symbol:         _ZN9rocsparseL19gebsrmvn_2xn_kernelILj128ELj8ELj32E21rocsparse_complex_numIdEEEvi20rocsparse_direction_NS_24const_host_device_scalarIT2_EEPKiS8_PKS5_SA_S6_PS5_21rocsparse_index_base_b.kd
    .uniform_work_group_size: 1
    .uses_dynamic_stack: false
    .vgpr_count:     102
    .vgpr_spill_count: 0
    .wavefront_size: 32
  - .args:
      - .offset:         0
        .size:           4
        .value_kind:     by_value
      - .offset:         4
        .size:           4
        .value_kind:     by_value
      - .offset:         8
        .size:           16
        .value_kind:     by_value
      - .actual_access:  read_only
        .address_space:  global
        .offset:         24
        .size:           8
        .value_kind:     global_buffer
      - .actual_access:  read_only
        .address_space:  global
        .offset:         32
        .size:           8
        .value_kind:     global_buffer
      - .actual_access:  read_only
        .address_space:  global
        .offset:         40
        .size:           8
        .value_kind:     global_buffer
      - .actual_access:  read_only
        .address_space:  global
        .offset:         48
        .size:           8
        .value_kind:     global_buffer
      - .offset:         56
        .size:           16
        .value_kind:     by_value
      - .address_space:  global
        .offset:         72
        .size:           8
        .value_kind:     global_buffer
      - .offset:         80
        .size:           4
        .value_kind:     by_value
      - .offset:         84
        .size:           1
        .value_kind:     by_value
    .group_segment_fixed_size: 0
    .kernarg_segment_align: 8
    .kernarg_segment_size: 88
    .language:       OpenCL C
    .language_version:
      - 2
      - 0
    .max_flat_workgroup_size: 128
    .name:           _ZN9rocsparseL19gebsrmvn_2xn_kernelILj128ELj8ELj64E21rocsparse_complex_numIdEEEvi20rocsparse_direction_NS_24const_host_device_scalarIT2_EEPKiS8_PKS5_SA_S6_PS5_21rocsparse_index_base_b
    .private_segment_fixed_size: 0
    .sgpr_count:     16
    .sgpr_spill_count: 0
    .symbol:         _ZN9rocsparseL19gebsrmvn_2xn_kernelILj128ELj8ELj64E21rocsparse_complex_numIdEEEvi20rocsparse_direction_NS_24const_host_device_scalarIT2_EEPKiS8_PKS5_SA_S6_PS5_21rocsparse_index_base_b.kd
    .uniform_work_group_size: 1
    .uses_dynamic_stack: false
    .vgpr_count:     102
    .vgpr_spill_count: 0
    .wavefront_size: 32
  - .args:
      - .offset:         0
        .size:           4
        .value_kind:     by_value
      - .offset:         4
        .size:           4
        .value_kind:     by_value
      - .offset:         8
        .size:           16
        .value_kind:     by_value
      - .actual_access:  read_only
        .address_space:  global
        .offset:         24
        .size:           8
        .value_kind:     global_buffer
      - .actual_access:  read_only
        .address_space:  global
        .offset:         32
        .size:           8
        .value_kind:     global_buffer
      - .actual_access:  read_only
        .address_space:  global
        .offset:         40
        .size:           8
        .value_kind:     global_buffer
      - .actual_access:  read_only
        .address_space:  global
        .offset:         48
        .size:           8
        .value_kind:     global_buffer
      - .offset:         56
        .size:           16
        .value_kind:     by_value
      - .address_space:  global
        .offset:         72
        .size:           8
        .value_kind:     global_buffer
      - .offset:         80
        .size:           4
        .value_kind:     by_value
      - .offset:         84
        .size:           1
        .value_kind:     by_value
    .group_segment_fixed_size: 0
    .kernarg_segment_align: 8
    .kernarg_segment_size: 88
    .language:       OpenCL C
    .language_version:
      - 2
      - 0
    .max_flat_workgroup_size: 128
    .name:           _ZN9rocsparseL19gebsrmvn_2xn_kernelILj128ELj9ELj4E21rocsparse_complex_numIdEEEvi20rocsparse_direction_NS_24const_host_device_scalarIT2_EEPKiS8_PKS5_SA_S6_PS5_21rocsparse_index_base_b
    .private_segment_fixed_size: 0
    .sgpr_count:     16
    .sgpr_spill_count: 0
    .symbol:         _ZN9rocsparseL19gebsrmvn_2xn_kernelILj128ELj9ELj4E21rocsparse_complex_numIdEEEvi20rocsparse_direction_NS_24const_host_device_scalarIT2_EEPKiS8_PKS5_SA_S6_PS5_21rocsparse_index_base_b.kd
    .uniform_work_group_size: 1
    .uses_dynamic_stack: false
    .vgpr_count:     97
    .vgpr_spill_count: 0
    .wavefront_size: 32
  - .args:
      - .offset:         0
        .size:           4
        .value_kind:     by_value
      - .offset:         4
        .size:           4
        .value_kind:     by_value
      - .offset:         8
        .size:           16
        .value_kind:     by_value
      - .actual_access:  read_only
        .address_space:  global
        .offset:         24
        .size:           8
        .value_kind:     global_buffer
      - .actual_access:  read_only
        .address_space:  global
        .offset:         32
        .size:           8
        .value_kind:     global_buffer
      - .actual_access:  read_only
        .address_space:  global
        .offset:         40
        .size:           8
        .value_kind:     global_buffer
      - .actual_access:  read_only
        .address_space:  global
        .offset:         48
        .size:           8
        .value_kind:     global_buffer
      - .offset:         56
        .size:           16
        .value_kind:     by_value
      - .address_space:  global
        .offset:         72
        .size:           8
        .value_kind:     global_buffer
      - .offset:         80
        .size:           4
        .value_kind:     by_value
      - .offset:         84
        .size:           1
        .value_kind:     by_value
    .group_segment_fixed_size: 0
    .kernarg_segment_align: 8
    .kernarg_segment_size: 88
    .language:       OpenCL C
    .language_version:
      - 2
      - 0
    .max_flat_workgroup_size: 128
    .name:           _ZN9rocsparseL19gebsrmvn_2xn_kernelILj128ELj9ELj8E21rocsparse_complex_numIdEEEvi20rocsparse_direction_NS_24const_host_device_scalarIT2_EEPKiS8_PKS5_SA_S6_PS5_21rocsparse_index_base_b
    .private_segment_fixed_size: 0
    .sgpr_count:     16
    .sgpr_spill_count: 0
    .symbol:         _ZN9rocsparseL19gebsrmvn_2xn_kernelILj128ELj9ELj8E21rocsparse_complex_numIdEEEvi20rocsparse_direction_NS_24const_host_device_scalarIT2_EEPKiS8_PKS5_SA_S6_PS5_21rocsparse_index_base_b.kd
    .uniform_work_group_size: 1
    .uses_dynamic_stack: false
    .vgpr_count:     97
    .vgpr_spill_count: 0
    .wavefront_size: 32
  - .args:
      - .offset:         0
        .size:           4
        .value_kind:     by_value
      - .offset:         4
        .size:           4
        .value_kind:     by_value
      - .offset:         8
        .size:           16
        .value_kind:     by_value
      - .actual_access:  read_only
        .address_space:  global
        .offset:         24
        .size:           8
        .value_kind:     global_buffer
      - .actual_access:  read_only
        .address_space:  global
        .offset:         32
        .size:           8
        .value_kind:     global_buffer
      - .actual_access:  read_only
        .address_space:  global
        .offset:         40
        .size:           8
        .value_kind:     global_buffer
      - .actual_access:  read_only
        .address_space:  global
        .offset:         48
        .size:           8
        .value_kind:     global_buffer
      - .offset:         56
        .size:           16
        .value_kind:     by_value
      - .address_space:  global
        .offset:         72
        .size:           8
        .value_kind:     global_buffer
      - .offset:         80
        .size:           4
        .value_kind:     by_value
      - .offset:         84
        .size:           1
        .value_kind:     by_value
    .group_segment_fixed_size: 0
    .kernarg_segment_align: 8
    .kernarg_segment_size: 88
    .language:       OpenCL C
    .language_version:
      - 2
      - 0
    .max_flat_workgroup_size: 128
    .name:           _ZN9rocsparseL19gebsrmvn_2xn_kernelILj128ELj9ELj16E21rocsparse_complex_numIdEEEvi20rocsparse_direction_NS_24const_host_device_scalarIT2_EEPKiS8_PKS5_SA_S6_PS5_21rocsparse_index_base_b
    .private_segment_fixed_size: 0
    .sgpr_count:     16
    .sgpr_spill_count: 0
    .symbol:         _ZN9rocsparseL19gebsrmvn_2xn_kernelILj128ELj9ELj16E21rocsparse_complex_numIdEEEvi20rocsparse_direction_NS_24const_host_device_scalarIT2_EEPKiS8_PKS5_SA_S6_PS5_21rocsparse_index_base_b.kd
    .uniform_work_group_size: 1
    .uses_dynamic_stack: false
    .vgpr_count:     97
    .vgpr_spill_count: 0
    .wavefront_size: 32
  - .args:
      - .offset:         0
        .size:           4
        .value_kind:     by_value
      - .offset:         4
        .size:           4
        .value_kind:     by_value
      - .offset:         8
        .size:           16
        .value_kind:     by_value
      - .actual_access:  read_only
        .address_space:  global
        .offset:         24
        .size:           8
        .value_kind:     global_buffer
      - .actual_access:  read_only
        .address_space:  global
        .offset:         32
        .size:           8
        .value_kind:     global_buffer
      - .actual_access:  read_only
        .address_space:  global
        .offset:         40
        .size:           8
        .value_kind:     global_buffer
      - .actual_access:  read_only
        .address_space:  global
        .offset:         48
        .size:           8
        .value_kind:     global_buffer
      - .offset:         56
        .size:           16
        .value_kind:     by_value
      - .address_space:  global
        .offset:         72
        .size:           8
        .value_kind:     global_buffer
      - .offset:         80
        .size:           4
        .value_kind:     by_value
      - .offset:         84
        .size:           1
        .value_kind:     by_value
    .group_segment_fixed_size: 0
    .kernarg_segment_align: 8
    .kernarg_segment_size: 88
    .language:       OpenCL C
    .language_version:
      - 2
      - 0
    .max_flat_workgroup_size: 128
    .name:           _ZN9rocsparseL19gebsrmvn_2xn_kernelILj128ELj9ELj32E21rocsparse_complex_numIdEEEvi20rocsparse_direction_NS_24const_host_device_scalarIT2_EEPKiS8_PKS5_SA_S6_PS5_21rocsparse_index_base_b
    .private_segment_fixed_size: 0
    .sgpr_count:     16
    .sgpr_spill_count: 0
    .symbol:         _ZN9rocsparseL19gebsrmvn_2xn_kernelILj128ELj9ELj32E21rocsparse_complex_numIdEEEvi20rocsparse_direction_NS_24const_host_device_scalarIT2_EEPKiS8_PKS5_SA_S6_PS5_21rocsparse_index_base_b.kd
    .uniform_work_group_size: 1
    .uses_dynamic_stack: false
    .vgpr_count:     97
    .vgpr_spill_count: 0
    .wavefront_size: 32
  - .args:
      - .offset:         0
        .size:           4
        .value_kind:     by_value
      - .offset:         4
        .size:           4
        .value_kind:     by_value
      - .offset:         8
        .size:           16
        .value_kind:     by_value
      - .actual_access:  read_only
        .address_space:  global
        .offset:         24
        .size:           8
        .value_kind:     global_buffer
      - .actual_access:  read_only
        .address_space:  global
        .offset:         32
        .size:           8
        .value_kind:     global_buffer
      - .actual_access:  read_only
        .address_space:  global
        .offset:         40
        .size:           8
        .value_kind:     global_buffer
      - .actual_access:  read_only
        .address_space:  global
        .offset:         48
        .size:           8
        .value_kind:     global_buffer
      - .offset:         56
        .size:           16
        .value_kind:     by_value
      - .address_space:  global
        .offset:         72
        .size:           8
        .value_kind:     global_buffer
      - .offset:         80
        .size:           4
        .value_kind:     by_value
      - .offset:         84
        .size:           1
        .value_kind:     by_value
    .group_segment_fixed_size: 0
    .kernarg_segment_align: 8
    .kernarg_segment_size: 88
    .language:       OpenCL C
    .language_version:
      - 2
      - 0
    .max_flat_workgroup_size: 128
    .name:           _ZN9rocsparseL19gebsrmvn_2xn_kernelILj128ELj9ELj64E21rocsparse_complex_numIdEEEvi20rocsparse_direction_NS_24const_host_device_scalarIT2_EEPKiS8_PKS5_SA_S6_PS5_21rocsparse_index_base_b
    .private_segment_fixed_size: 0
    .sgpr_count:     16
    .sgpr_spill_count: 0
    .symbol:         _ZN9rocsparseL19gebsrmvn_2xn_kernelILj128ELj9ELj64E21rocsparse_complex_numIdEEEvi20rocsparse_direction_NS_24const_host_device_scalarIT2_EEPKiS8_PKS5_SA_S6_PS5_21rocsparse_index_base_b.kd
    .uniform_work_group_size: 1
    .uses_dynamic_stack: false
    .vgpr_count:     97
    .vgpr_spill_count: 0
    .wavefront_size: 32
  - .args:
      - .offset:         0
        .size:           4
        .value_kind:     by_value
      - .offset:         4
        .size:           4
        .value_kind:     by_value
      - .offset:         8
        .size:           16
        .value_kind:     by_value
      - .actual_access:  read_only
        .address_space:  global
        .offset:         24
        .size:           8
        .value_kind:     global_buffer
      - .actual_access:  read_only
        .address_space:  global
        .offset:         32
        .size:           8
        .value_kind:     global_buffer
      - .actual_access:  read_only
        .address_space:  global
        .offset:         40
        .size:           8
        .value_kind:     global_buffer
      - .actual_access:  read_only
        .address_space:  global
        .offset:         48
        .size:           8
        .value_kind:     global_buffer
      - .offset:         56
        .size:           16
        .value_kind:     by_value
      - .address_space:  global
        .offset:         72
        .size:           8
        .value_kind:     global_buffer
      - .offset:         80
        .size:           4
        .value_kind:     by_value
      - .offset:         84
        .size:           1
        .value_kind:     by_value
    .group_segment_fixed_size: 0
    .kernarg_segment_align: 8
    .kernarg_segment_size: 88
    .language:       OpenCL C
    .language_version:
      - 2
      - 0
    .max_flat_workgroup_size: 128
    .name:           _ZN9rocsparseL19gebsrmvn_2xn_kernelILj128ELj10ELj4E21rocsparse_complex_numIdEEEvi20rocsparse_direction_NS_24const_host_device_scalarIT2_EEPKiS8_PKS5_SA_S6_PS5_21rocsparse_index_base_b
    .private_segment_fixed_size: 0
    .sgpr_count:     16
    .sgpr_spill_count: 0
    .symbol:         _ZN9rocsparseL19gebsrmvn_2xn_kernelILj128ELj10ELj4E21rocsparse_complex_numIdEEEvi20rocsparse_direction_NS_24const_host_device_scalarIT2_EEPKiS8_PKS5_SA_S6_PS5_21rocsparse_index_base_b.kd
    .uniform_work_group_size: 1
    .uses_dynamic_stack: false
    .vgpr_count:     50
    .vgpr_spill_count: 0
    .wavefront_size: 32
  - .args:
      - .offset:         0
        .size:           4
        .value_kind:     by_value
      - .offset:         4
        .size:           4
        .value_kind:     by_value
      - .offset:         8
        .size:           16
        .value_kind:     by_value
      - .actual_access:  read_only
        .address_space:  global
        .offset:         24
        .size:           8
        .value_kind:     global_buffer
      - .actual_access:  read_only
        .address_space:  global
        .offset:         32
        .size:           8
        .value_kind:     global_buffer
      - .actual_access:  read_only
        .address_space:  global
        .offset:         40
        .size:           8
        .value_kind:     global_buffer
      - .actual_access:  read_only
        .address_space:  global
        .offset:         48
        .size:           8
        .value_kind:     global_buffer
      - .offset:         56
        .size:           16
        .value_kind:     by_value
      - .address_space:  global
        .offset:         72
        .size:           8
        .value_kind:     global_buffer
      - .offset:         80
        .size:           4
        .value_kind:     by_value
      - .offset:         84
        .size:           1
        .value_kind:     by_value
    .group_segment_fixed_size: 0
    .kernarg_segment_align: 8
    .kernarg_segment_size: 88
    .language:       OpenCL C
    .language_version:
      - 2
      - 0
    .max_flat_workgroup_size: 128
    .name:           _ZN9rocsparseL19gebsrmvn_2xn_kernelILj128ELj10ELj8E21rocsparse_complex_numIdEEEvi20rocsparse_direction_NS_24const_host_device_scalarIT2_EEPKiS8_PKS5_SA_S6_PS5_21rocsparse_index_base_b
    .private_segment_fixed_size: 0
    .sgpr_count:     16
    .sgpr_spill_count: 0
    .symbol:         _ZN9rocsparseL19gebsrmvn_2xn_kernelILj128ELj10ELj8E21rocsparse_complex_numIdEEEvi20rocsparse_direction_NS_24const_host_device_scalarIT2_EEPKiS8_PKS5_SA_S6_PS5_21rocsparse_index_base_b.kd
    .uniform_work_group_size: 1
    .uses_dynamic_stack: false
    .vgpr_count:     50
    .vgpr_spill_count: 0
    .wavefront_size: 32
  - .args:
      - .offset:         0
        .size:           4
        .value_kind:     by_value
      - .offset:         4
        .size:           4
        .value_kind:     by_value
      - .offset:         8
        .size:           16
        .value_kind:     by_value
      - .actual_access:  read_only
        .address_space:  global
        .offset:         24
        .size:           8
        .value_kind:     global_buffer
      - .actual_access:  read_only
        .address_space:  global
        .offset:         32
        .size:           8
        .value_kind:     global_buffer
      - .actual_access:  read_only
        .address_space:  global
        .offset:         40
        .size:           8
        .value_kind:     global_buffer
      - .actual_access:  read_only
        .address_space:  global
        .offset:         48
        .size:           8
        .value_kind:     global_buffer
      - .offset:         56
        .size:           16
        .value_kind:     by_value
      - .address_space:  global
        .offset:         72
        .size:           8
        .value_kind:     global_buffer
      - .offset:         80
        .size:           4
        .value_kind:     by_value
      - .offset:         84
        .size:           1
        .value_kind:     by_value
    .group_segment_fixed_size: 0
    .kernarg_segment_align: 8
    .kernarg_segment_size: 88
    .language:       OpenCL C
    .language_version:
      - 2
      - 0
    .max_flat_workgroup_size: 128
    .name:           _ZN9rocsparseL19gebsrmvn_2xn_kernelILj128ELj10ELj16E21rocsparse_complex_numIdEEEvi20rocsparse_direction_NS_24const_host_device_scalarIT2_EEPKiS8_PKS5_SA_S6_PS5_21rocsparse_index_base_b
    .private_segment_fixed_size: 0
    .sgpr_count:     16
    .sgpr_spill_count: 0
    .symbol:         _ZN9rocsparseL19gebsrmvn_2xn_kernelILj128ELj10ELj16E21rocsparse_complex_numIdEEEvi20rocsparse_direction_NS_24const_host_device_scalarIT2_EEPKiS8_PKS5_SA_S6_PS5_21rocsparse_index_base_b.kd
    .uniform_work_group_size: 1
    .uses_dynamic_stack: false
    .vgpr_count:     50
    .vgpr_spill_count: 0
    .wavefront_size: 32
  - .args:
      - .offset:         0
        .size:           4
        .value_kind:     by_value
      - .offset:         4
        .size:           4
        .value_kind:     by_value
      - .offset:         8
        .size:           16
        .value_kind:     by_value
      - .actual_access:  read_only
        .address_space:  global
        .offset:         24
        .size:           8
        .value_kind:     global_buffer
      - .actual_access:  read_only
        .address_space:  global
        .offset:         32
        .size:           8
        .value_kind:     global_buffer
      - .actual_access:  read_only
        .address_space:  global
        .offset:         40
        .size:           8
        .value_kind:     global_buffer
      - .actual_access:  read_only
        .address_space:  global
        .offset:         48
        .size:           8
        .value_kind:     global_buffer
      - .offset:         56
        .size:           16
        .value_kind:     by_value
      - .address_space:  global
        .offset:         72
        .size:           8
        .value_kind:     global_buffer
      - .offset:         80
        .size:           4
        .value_kind:     by_value
      - .offset:         84
        .size:           1
        .value_kind:     by_value
    .group_segment_fixed_size: 0
    .kernarg_segment_align: 8
    .kernarg_segment_size: 88
    .language:       OpenCL C
    .language_version:
      - 2
      - 0
    .max_flat_workgroup_size: 128
    .name:           _ZN9rocsparseL19gebsrmvn_2xn_kernelILj128ELj10ELj32E21rocsparse_complex_numIdEEEvi20rocsparse_direction_NS_24const_host_device_scalarIT2_EEPKiS8_PKS5_SA_S6_PS5_21rocsparse_index_base_b
    .private_segment_fixed_size: 0
    .sgpr_count:     16
    .sgpr_spill_count: 0
    .symbol:         _ZN9rocsparseL19gebsrmvn_2xn_kernelILj128ELj10ELj32E21rocsparse_complex_numIdEEEvi20rocsparse_direction_NS_24const_host_device_scalarIT2_EEPKiS8_PKS5_SA_S6_PS5_21rocsparse_index_base_b.kd
    .uniform_work_group_size: 1
    .uses_dynamic_stack: false
    .vgpr_count:     50
    .vgpr_spill_count: 0
    .wavefront_size: 32
  - .args:
      - .offset:         0
        .size:           4
        .value_kind:     by_value
      - .offset:         4
        .size:           4
        .value_kind:     by_value
      - .offset:         8
        .size:           16
        .value_kind:     by_value
      - .actual_access:  read_only
        .address_space:  global
        .offset:         24
        .size:           8
        .value_kind:     global_buffer
      - .actual_access:  read_only
        .address_space:  global
        .offset:         32
        .size:           8
        .value_kind:     global_buffer
      - .actual_access:  read_only
        .address_space:  global
        .offset:         40
        .size:           8
        .value_kind:     global_buffer
      - .actual_access:  read_only
        .address_space:  global
        .offset:         48
        .size:           8
        .value_kind:     global_buffer
      - .offset:         56
        .size:           16
        .value_kind:     by_value
      - .address_space:  global
        .offset:         72
        .size:           8
        .value_kind:     global_buffer
      - .offset:         80
        .size:           4
        .value_kind:     by_value
      - .offset:         84
        .size:           1
        .value_kind:     by_value
    .group_segment_fixed_size: 0
    .kernarg_segment_align: 8
    .kernarg_segment_size: 88
    .language:       OpenCL C
    .language_version:
      - 2
      - 0
    .max_flat_workgroup_size: 128
    .name:           _ZN9rocsparseL19gebsrmvn_2xn_kernelILj128ELj10ELj64E21rocsparse_complex_numIdEEEvi20rocsparse_direction_NS_24const_host_device_scalarIT2_EEPKiS8_PKS5_SA_S6_PS5_21rocsparse_index_base_b
    .private_segment_fixed_size: 0
    .sgpr_count:     16
    .sgpr_spill_count: 0
    .symbol:         _ZN9rocsparseL19gebsrmvn_2xn_kernelILj128ELj10ELj64E21rocsparse_complex_numIdEEEvi20rocsparse_direction_NS_24const_host_device_scalarIT2_EEPKiS8_PKS5_SA_S6_PS5_21rocsparse_index_base_b.kd
    .uniform_work_group_size: 1
    .uses_dynamic_stack: false
    .vgpr_count:     50
    .vgpr_spill_count: 0
    .wavefront_size: 32
  - .args:
      - .offset:         0
        .size:           4
        .value_kind:     by_value
      - .offset:         4
        .size:           4
        .value_kind:     by_value
      - .offset:         8
        .size:           16
        .value_kind:     by_value
      - .actual_access:  read_only
        .address_space:  global
        .offset:         24
        .size:           8
        .value_kind:     global_buffer
      - .actual_access:  read_only
        .address_space:  global
        .offset:         32
        .size:           8
        .value_kind:     global_buffer
      - .actual_access:  read_only
        .address_space:  global
        .offset:         40
        .size:           8
        .value_kind:     global_buffer
      - .actual_access:  read_only
        .address_space:  global
        .offset:         48
        .size:           8
        .value_kind:     global_buffer
      - .offset:         56
        .size:           16
        .value_kind:     by_value
      - .address_space:  global
        .offset:         72
        .size:           8
        .value_kind:     global_buffer
      - .offset:         80
        .size:           4
        .value_kind:     by_value
      - .offset:         84
        .size:           1
        .value_kind:     by_value
    .group_segment_fixed_size: 0
    .kernarg_segment_align: 8
    .kernarg_segment_size: 88
    .language:       OpenCL C
    .language_version:
      - 2
      - 0
    .max_flat_workgroup_size: 128
    .name:           _ZN9rocsparseL19gebsrmvn_2xn_kernelILj128ELj11ELj4E21rocsparse_complex_numIdEEEvi20rocsparse_direction_NS_24const_host_device_scalarIT2_EEPKiS8_PKS5_SA_S6_PS5_21rocsparse_index_base_b
    .private_segment_fixed_size: 0
    .sgpr_count:     16
    .sgpr_spill_count: 0
    .symbol:         _ZN9rocsparseL19gebsrmvn_2xn_kernelILj128ELj11ELj4E21rocsparse_complex_numIdEEEvi20rocsparse_direction_NS_24const_host_device_scalarIT2_EEPKiS8_PKS5_SA_S6_PS5_21rocsparse_index_base_b.kd
    .uniform_work_group_size: 1
    .uses_dynamic_stack: false
    .vgpr_count:     66
    .vgpr_spill_count: 0
    .wavefront_size: 32
  - .args:
      - .offset:         0
        .size:           4
        .value_kind:     by_value
      - .offset:         4
        .size:           4
        .value_kind:     by_value
      - .offset:         8
        .size:           16
        .value_kind:     by_value
      - .actual_access:  read_only
        .address_space:  global
        .offset:         24
        .size:           8
        .value_kind:     global_buffer
      - .actual_access:  read_only
        .address_space:  global
        .offset:         32
        .size:           8
        .value_kind:     global_buffer
      - .actual_access:  read_only
        .address_space:  global
        .offset:         40
        .size:           8
        .value_kind:     global_buffer
      - .actual_access:  read_only
        .address_space:  global
        .offset:         48
        .size:           8
        .value_kind:     global_buffer
      - .offset:         56
        .size:           16
        .value_kind:     by_value
      - .address_space:  global
        .offset:         72
        .size:           8
        .value_kind:     global_buffer
      - .offset:         80
        .size:           4
        .value_kind:     by_value
      - .offset:         84
        .size:           1
        .value_kind:     by_value
    .group_segment_fixed_size: 0
    .kernarg_segment_align: 8
    .kernarg_segment_size: 88
    .language:       OpenCL C
    .language_version:
      - 2
      - 0
    .max_flat_workgroup_size: 128
    .name:           _ZN9rocsparseL19gebsrmvn_2xn_kernelILj128ELj11ELj8E21rocsparse_complex_numIdEEEvi20rocsparse_direction_NS_24const_host_device_scalarIT2_EEPKiS8_PKS5_SA_S6_PS5_21rocsparse_index_base_b
    .private_segment_fixed_size: 0
    .sgpr_count:     16
    .sgpr_spill_count: 0
    .symbol:         _ZN9rocsparseL19gebsrmvn_2xn_kernelILj128ELj11ELj8E21rocsparse_complex_numIdEEEvi20rocsparse_direction_NS_24const_host_device_scalarIT2_EEPKiS8_PKS5_SA_S6_PS5_21rocsparse_index_base_b.kd
    .uniform_work_group_size: 1
    .uses_dynamic_stack: false
    .vgpr_count:     66
    .vgpr_spill_count: 0
    .wavefront_size: 32
  - .args:
      - .offset:         0
        .size:           4
        .value_kind:     by_value
      - .offset:         4
        .size:           4
        .value_kind:     by_value
      - .offset:         8
        .size:           16
        .value_kind:     by_value
      - .actual_access:  read_only
        .address_space:  global
        .offset:         24
        .size:           8
        .value_kind:     global_buffer
      - .actual_access:  read_only
        .address_space:  global
        .offset:         32
        .size:           8
        .value_kind:     global_buffer
      - .actual_access:  read_only
        .address_space:  global
        .offset:         40
        .size:           8
        .value_kind:     global_buffer
      - .actual_access:  read_only
        .address_space:  global
        .offset:         48
        .size:           8
        .value_kind:     global_buffer
      - .offset:         56
        .size:           16
        .value_kind:     by_value
      - .address_space:  global
        .offset:         72
        .size:           8
        .value_kind:     global_buffer
      - .offset:         80
        .size:           4
        .value_kind:     by_value
      - .offset:         84
        .size:           1
        .value_kind:     by_value
    .group_segment_fixed_size: 0
    .kernarg_segment_align: 8
    .kernarg_segment_size: 88
    .language:       OpenCL C
    .language_version:
      - 2
      - 0
    .max_flat_workgroup_size: 128
    .name:           _ZN9rocsparseL19gebsrmvn_2xn_kernelILj128ELj11ELj16E21rocsparse_complex_numIdEEEvi20rocsparse_direction_NS_24const_host_device_scalarIT2_EEPKiS8_PKS5_SA_S6_PS5_21rocsparse_index_base_b
    .private_segment_fixed_size: 0
    .sgpr_count:     16
    .sgpr_spill_count: 0
    .symbol:         _ZN9rocsparseL19gebsrmvn_2xn_kernelILj128ELj11ELj16E21rocsparse_complex_numIdEEEvi20rocsparse_direction_NS_24const_host_device_scalarIT2_EEPKiS8_PKS5_SA_S6_PS5_21rocsparse_index_base_b.kd
    .uniform_work_group_size: 1
    .uses_dynamic_stack: false
    .vgpr_count:     66
    .vgpr_spill_count: 0
    .wavefront_size: 32
  - .args:
      - .offset:         0
        .size:           4
        .value_kind:     by_value
      - .offset:         4
        .size:           4
        .value_kind:     by_value
      - .offset:         8
        .size:           16
        .value_kind:     by_value
      - .actual_access:  read_only
        .address_space:  global
        .offset:         24
        .size:           8
        .value_kind:     global_buffer
      - .actual_access:  read_only
        .address_space:  global
        .offset:         32
        .size:           8
        .value_kind:     global_buffer
      - .actual_access:  read_only
        .address_space:  global
        .offset:         40
        .size:           8
        .value_kind:     global_buffer
      - .actual_access:  read_only
        .address_space:  global
        .offset:         48
        .size:           8
        .value_kind:     global_buffer
      - .offset:         56
        .size:           16
        .value_kind:     by_value
      - .address_space:  global
        .offset:         72
        .size:           8
        .value_kind:     global_buffer
      - .offset:         80
        .size:           4
        .value_kind:     by_value
      - .offset:         84
        .size:           1
        .value_kind:     by_value
    .group_segment_fixed_size: 0
    .kernarg_segment_align: 8
    .kernarg_segment_size: 88
    .language:       OpenCL C
    .language_version:
      - 2
      - 0
    .max_flat_workgroup_size: 128
    .name:           _ZN9rocsparseL19gebsrmvn_2xn_kernelILj128ELj11ELj32E21rocsparse_complex_numIdEEEvi20rocsparse_direction_NS_24const_host_device_scalarIT2_EEPKiS8_PKS5_SA_S6_PS5_21rocsparse_index_base_b
    .private_segment_fixed_size: 0
    .sgpr_count:     16
    .sgpr_spill_count: 0
    .symbol:         _ZN9rocsparseL19gebsrmvn_2xn_kernelILj128ELj11ELj32E21rocsparse_complex_numIdEEEvi20rocsparse_direction_NS_24const_host_device_scalarIT2_EEPKiS8_PKS5_SA_S6_PS5_21rocsparse_index_base_b.kd
    .uniform_work_group_size: 1
    .uses_dynamic_stack: false
    .vgpr_count:     66
    .vgpr_spill_count: 0
    .wavefront_size: 32
  - .args:
      - .offset:         0
        .size:           4
        .value_kind:     by_value
      - .offset:         4
        .size:           4
        .value_kind:     by_value
      - .offset:         8
        .size:           16
        .value_kind:     by_value
      - .actual_access:  read_only
        .address_space:  global
        .offset:         24
        .size:           8
        .value_kind:     global_buffer
      - .actual_access:  read_only
        .address_space:  global
        .offset:         32
        .size:           8
        .value_kind:     global_buffer
      - .actual_access:  read_only
        .address_space:  global
        .offset:         40
        .size:           8
        .value_kind:     global_buffer
      - .actual_access:  read_only
        .address_space:  global
        .offset:         48
        .size:           8
        .value_kind:     global_buffer
      - .offset:         56
        .size:           16
        .value_kind:     by_value
      - .address_space:  global
        .offset:         72
        .size:           8
        .value_kind:     global_buffer
      - .offset:         80
        .size:           4
        .value_kind:     by_value
      - .offset:         84
        .size:           1
        .value_kind:     by_value
    .group_segment_fixed_size: 0
    .kernarg_segment_align: 8
    .kernarg_segment_size: 88
    .language:       OpenCL C
    .language_version:
      - 2
      - 0
    .max_flat_workgroup_size: 128
    .name:           _ZN9rocsparseL19gebsrmvn_2xn_kernelILj128ELj11ELj64E21rocsparse_complex_numIdEEEvi20rocsparse_direction_NS_24const_host_device_scalarIT2_EEPKiS8_PKS5_SA_S6_PS5_21rocsparse_index_base_b
    .private_segment_fixed_size: 0
    .sgpr_count:     16
    .sgpr_spill_count: 0
    .symbol:         _ZN9rocsparseL19gebsrmvn_2xn_kernelILj128ELj11ELj64E21rocsparse_complex_numIdEEEvi20rocsparse_direction_NS_24const_host_device_scalarIT2_EEPKiS8_PKS5_SA_S6_PS5_21rocsparse_index_base_b.kd
    .uniform_work_group_size: 1
    .uses_dynamic_stack: false
    .vgpr_count:     66
    .vgpr_spill_count: 0
    .wavefront_size: 32
  - .args:
      - .offset:         0
        .size:           4
        .value_kind:     by_value
      - .offset:         4
        .size:           4
        .value_kind:     by_value
      - .offset:         8
        .size:           16
        .value_kind:     by_value
      - .actual_access:  read_only
        .address_space:  global
        .offset:         24
        .size:           8
        .value_kind:     global_buffer
      - .actual_access:  read_only
        .address_space:  global
        .offset:         32
        .size:           8
        .value_kind:     global_buffer
      - .actual_access:  read_only
        .address_space:  global
        .offset:         40
        .size:           8
        .value_kind:     global_buffer
      - .actual_access:  read_only
        .address_space:  global
        .offset:         48
        .size:           8
        .value_kind:     global_buffer
      - .offset:         56
        .size:           16
        .value_kind:     by_value
      - .address_space:  global
        .offset:         72
        .size:           8
        .value_kind:     global_buffer
      - .offset:         80
        .size:           4
        .value_kind:     by_value
      - .offset:         84
        .size:           1
        .value_kind:     by_value
    .group_segment_fixed_size: 0
    .kernarg_segment_align: 8
    .kernarg_segment_size: 88
    .language:       OpenCL C
    .language_version:
      - 2
      - 0
    .max_flat_workgroup_size: 128
    .name:           _ZN9rocsparseL19gebsrmvn_2xn_kernelILj128ELj12ELj4E21rocsparse_complex_numIdEEEvi20rocsparse_direction_NS_24const_host_device_scalarIT2_EEPKiS8_PKS5_SA_S6_PS5_21rocsparse_index_base_b
    .private_segment_fixed_size: 0
    .sgpr_count:     16
    .sgpr_spill_count: 0
    .symbol:         _ZN9rocsparseL19gebsrmvn_2xn_kernelILj128ELj12ELj4E21rocsparse_complex_numIdEEEvi20rocsparse_direction_NS_24const_host_device_scalarIT2_EEPKiS8_PKS5_SA_S6_PS5_21rocsparse_index_base_b.kd
    .uniform_work_group_size: 1
    .uses_dynamic_stack: false
    .vgpr_count:     74
    .vgpr_spill_count: 0
    .wavefront_size: 32
  - .args:
      - .offset:         0
        .size:           4
        .value_kind:     by_value
      - .offset:         4
        .size:           4
        .value_kind:     by_value
      - .offset:         8
        .size:           16
        .value_kind:     by_value
      - .actual_access:  read_only
        .address_space:  global
        .offset:         24
        .size:           8
        .value_kind:     global_buffer
      - .actual_access:  read_only
        .address_space:  global
        .offset:         32
        .size:           8
        .value_kind:     global_buffer
      - .actual_access:  read_only
        .address_space:  global
        .offset:         40
        .size:           8
        .value_kind:     global_buffer
      - .actual_access:  read_only
        .address_space:  global
        .offset:         48
        .size:           8
        .value_kind:     global_buffer
      - .offset:         56
        .size:           16
        .value_kind:     by_value
      - .address_space:  global
        .offset:         72
        .size:           8
        .value_kind:     global_buffer
      - .offset:         80
        .size:           4
        .value_kind:     by_value
      - .offset:         84
        .size:           1
        .value_kind:     by_value
    .group_segment_fixed_size: 0
    .kernarg_segment_align: 8
    .kernarg_segment_size: 88
    .language:       OpenCL C
    .language_version:
      - 2
      - 0
    .max_flat_workgroup_size: 128
    .name:           _ZN9rocsparseL19gebsrmvn_2xn_kernelILj128ELj12ELj8E21rocsparse_complex_numIdEEEvi20rocsparse_direction_NS_24const_host_device_scalarIT2_EEPKiS8_PKS5_SA_S6_PS5_21rocsparse_index_base_b
    .private_segment_fixed_size: 0
    .sgpr_count:     16
    .sgpr_spill_count: 0
    .symbol:         _ZN9rocsparseL19gebsrmvn_2xn_kernelILj128ELj12ELj8E21rocsparse_complex_numIdEEEvi20rocsparse_direction_NS_24const_host_device_scalarIT2_EEPKiS8_PKS5_SA_S6_PS5_21rocsparse_index_base_b.kd
    .uniform_work_group_size: 1
    .uses_dynamic_stack: false
    .vgpr_count:     74
    .vgpr_spill_count: 0
    .wavefront_size: 32
  - .args:
      - .offset:         0
        .size:           4
        .value_kind:     by_value
      - .offset:         4
        .size:           4
        .value_kind:     by_value
      - .offset:         8
        .size:           16
        .value_kind:     by_value
      - .actual_access:  read_only
        .address_space:  global
        .offset:         24
        .size:           8
        .value_kind:     global_buffer
      - .actual_access:  read_only
        .address_space:  global
        .offset:         32
        .size:           8
        .value_kind:     global_buffer
      - .actual_access:  read_only
        .address_space:  global
        .offset:         40
        .size:           8
        .value_kind:     global_buffer
      - .actual_access:  read_only
        .address_space:  global
        .offset:         48
        .size:           8
        .value_kind:     global_buffer
      - .offset:         56
        .size:           16
        .value_kind:     by_value
      - .address_space:  global
        .offset:         72
        .size:           8
        .value_kind:     global_buffer
      - .offset:         80
        .size:           4
        .value_kind:     by_value
      - .offset:         84
        .size:           1
        .value_kind:     by_value
    .group_segment_fixed_size: 0
    .kernarg_segment_align: 8
    .kernarg_segment_size: 88
    .language:       OpenCL C
    .language_version:
      - 2
      - 0
    .max_flat_workgroup_size: 128
    .name:           _ZN9rocsparseL19gebsrmvn_2xn_kernelILj128ELj12ELj16E21rocsparse_complex_numIdEEEvi20rocsparse_direction_NS_24const_host_device_scalarIT2_EEPKiS8_PKS5_SA_S6_PS5_21rocsparse_index_base_b
    .private_segment_fixed_size: 0
    .sgpr_count:     16
    .sgpr_spill_count: 0
    .symbol:         _ZN9rocsparseL19gebsrmvn_2xn_kernelILj128ELj12ELj16E21rocsparse_complex_numIdEEEvi20rocsparse_direction_NS_24const_host_device_scalarIT2_EEPKiS8_PKS5_SA_S6_PS5_21rocsparse_index_base_b.kd
    .uniform_work_group_size: 1
    .uses_dynamic_stack: false
    .vgpr_count:     74
    .vgpr_spill_count: 0
    .wavefront_size: 32
  - .args:
      - .offset:         0
        .size:           4
        .value_kind:     by_value
      - .offset:         4
        .size:           4
        .value_kind:     by_value
      - .offset:         8
        .size:           16
        .value_kind:     by_value
      - .actual_access:  read_only
        .address_space:  global
        .offset:         24
        .size:           8
        .value_kind:     global_buffer
      - .actual_access:  read_only
        .address_space:  global
        .offset:         32
        .size:           8
        .value_kind:     global_buffer
      - .actual_access:  read_only
        .address_space:  global
        .offset:         40
        .size:           8
        .value_kind:     global_buffer
      - .actual_access:  read_only
        .address_space:  global
        .offset:         48
        .size:           8
        .value_kind:     global_buffer
      - .offset:         56
        .size:           16
        .value_kind:     by_value
      - .address_space:  global
        .offset:         72
        .size:           8
        .value_kind:     global_buffer
      - .offset:         80
        .size:           4
        .value_kind:     by_value
      - .offset:         84
        .size:           1
        .value_kind:     by_value
    .group_segment_fixed_size: 0
    .kernarg_segment_align: 8
    .kernarg_segment_size: 88
    .language:       OpenCL C
    .language_version:
      - 2
      - 0
    .max_flat_workgroup_size: 128
    .name:           _ZN9rocsparseL19gebsrmvn_2xn_kernelILj128ELj12ELj32E21rocsparse_complex_numIdEEEvi20rocsparse_direction_NS_24const_host_device_scalarIT2_EEPKiS8_PKS5_SA_S6_PS5_21rocsparse_index_base_b
    .private_segment_fixed_size: 0
    .sgpr_count:     16
    .sgpr_spill_count: 0
    .symbol:         _ZN9rocsparseL19gebsrmvn_2xn_kernelILj128ELj12ELj32E21rocsparse_complex_numIdEEEvi20rocsparse_direction_NS_24const_host_device_scalarIT2_EEPKiS8_PKS5_SA_S6_PS5_21rocsparse_index_base_b.kd
    .uniform_work_group_size: 1
    .uses_dynamic_stack: false
    .vgpr_count:     74
    .vgpr_spill_count: 0
    .wavefront_size: 32
  - .args:
      - .offset:         0
        .size:           4
        .value_kind:     by_value
      - .offset:         4
        .size:           4
        .value_kind:     by_value
      - .offset:         8
        .size:           16
        .value_kind:     by_value
      - .actual_access:  read_only
        .address_space:  global
        .offset:         24
        .size:           8
        .value_kind:     global_buffer
      - .actual_access:  read_only
        .address_space:  global
        .offset:         32
        .size:           8
        .value_kind:     global_buffer
      - .actual_access:  read_only
        .address_space:  global
        .offset:         40
        .size:           8
        .value_kind:     global_buffer
      - .actual_access:  read_only
        .address_space:  global
        .offset:         48
        .size:           8
        .value_kind:     global_buffer
      - .offset:         56
        .size:           16
        .value_kind:     by_value
      - .address_space:  global
        .offset:         72
        .size:           8
        .value_kind:     global_buffer
      - .offset:         80
        .size:           4
        .value_kind:     by_value
      - .offset:         84
        .size:           1
        .value_kind:     by_value
    .group_segment_fixed_size: 0
    .kernarg_segment_align: 8
    .kernarg_segment_size: 88
    .language:       OpenCL C
    .language_version:
      - 2
      - 0
    .max_flat_workgroup_size: 128
    .name:           _ZN9rocsparseL19gebsrmvn_2xn_kernelILj128ELj12ELj64E21rocsparse_complex_numIdEEEvi20rocsparse_direction_NS_24const_host_device_scalarIT2_EEPKiS8_PKS5_SA_S6_PS5_21rocsparse_index_base_b
    .private_segment_fixed_size: 0
    .sgpr_count:     16
    .sgpr_spill_count: 0
    .symbol:         _ZN9rocsparseL19gebsrmvn_2xn_kernelILj128ELj12ELj64E21rocsparse_complex_numIdEEEvi20rocsparse_direction_NS_24const_host_device_scalarIT2_EEPKiS8_PKS5_SA_S6_PS5_21rocsparse_index_base_b.kd
    .uniform_work_group_size: 1
    .uses_dynamic_stack: false
    .vgpr_count:     74
    .vgpr_spill_count: 0
    .wavefront_size: 32
  - .args:
      - .offset:         0
        .size:           4
        .value_kind:     by_value
      - .offset:         4
        .size:           4
        .value_kind:     by_value
      - .offset:         8
        .size:           16
        .value_kind:     by_value
      - .actual_access:  read_only
        .address_space:  global
        .offset:         24
        .size:           8
        .value_kind:     global_buffer
      - .actual_access:  read_only
        .address_space:  global
        .offset:         32
        .size:           8
        .value_kind:     global_buffer
      - .actual_access:  read_only
        .address_space:  global
        .offset:         40
        .size:           8
        .value_kind:     global_buffer
      - .actual_access:  read_only
        .address_space:  global
        .offset:         48
        .size:           8
        .value_kind:     global_buffer
      - .offset:         56
        .size:           16
        .value_kind:     by_value
      - .address_space:  global
        .offset:         72
        .size:           8
        .value_kind:     global_buffer
      - .offset:         80
        .size:           4
        .value_kind:     by_value
      - .offset:         84
        .size:           1
        .value_kind:     by_value
    .group_segment_fixed_size: 0
    .kernarg_segment_align: 8
    .kernarg_segment_size: 88
    .language:       OpenCL C
    .language_version:
      - 2
      - 0
    .max_flat_workgroup_size: 128
    .name:           _ZN9rocsparseL19gebsrmvn_2xn_kernelILj128ELj13ELj4E21rocsparse_complex_numIdEEEvi20rocsparse_direction_NS_24const_host_device_scalarIT2_EEPKiS8_PKS5_SA_S6_PS5_21rocsparse_index_base_b
    .private_segment_fixed_size: 0
    .sgpr_count:     16
    .sgpr_spill_count: 0
    .symbol:         _ZN9rocsparseL19gebsrmvn_2xn_kernelILj128ELj13ELj4E21rocsparse_complex_numIdEEEvi20rocsparse_direction_NS_24const_host_device_scalarIT2_EEPKiS8_PKS5_SA_S6_PS5_21rocsparse_index_base_b.kd
    .uniform_work_group_size: 1
    .uses_dynamic_stack: false
    .vgpr_count:     68
    .vgpr_spill_count: 0
    .wavefront_size: 32
  - .args:
      - .offset:         0
        .size:           4
        .value_kind:     by_value
      - .offset:         4
        .size:           4
        .value_kind:     by_value
      - .offset:         8
        .size:           16
        .value_kind:     by_value
      - .actual_access:  read_only
        .address_space:  global
        .offset:         24
        .size:           8
        .value_kind:     global_buffer
      - .actual_access:  read_only
        .address_space:  global
        .offset:         32
        .size:           8
        .value_kind:     global_buffer
      - .actual_access:  read_only
        .address_space:  global
        .offset:         40
        .size:           8
        .value_kind:     global_buffer
      - .actual_access:  read_only
        .address_space:  global
        .offset:         48
        .size:           8
        .value_kind:     global_buffer
      - .offset:         56
        .size:           16
        .value_kind:     by_value
      - .address_space:  global
        .offset:         72
        .size:           8
        .value_kind:     global_buffer
      - .offset:         80
        .size:           4
        .value_kind:     by_value
      - .offset:         84
        .size:           1
        .value_kind:     by_value
    .group_segment_fixed_size: 0
    .kernarg_segment_align: 8
    .kernarg_segment_size: 88
    .language:       OpenCL C
    .language_version:
      - 2
      - 0
    .max_flat_workgroup_size: 128
    .name:           _ZN9rocsparseL19gebsrmvn_2xn_kernelILj128ELj13ELj8E21rocsparse_complex_numIdEEEvi20rocsparse_direction_NS_24const_host_device_scalarIT2_EEPKiS8_PKS5_SA_S6_PS5_21rocsparse_index_base_b
    .private_segment_fixed_size: 0
    .sgpr_count:     16
    .sgpr_spill_count: 0
    .symbol:         _ZN9rocsparseL19gebsrmvn_2xn_kernelILj128ELj13ELj8E21rocsparse_complex_numIdEEEvi20rocsparse_direction_NS_24const_host_device_scalarIT2_EEPKiS8_PKS5_SA_S6_PS5_21rocsparse_index_base_b.kd
    .uniform_work_group_size: 1
    .uses_dynamic_stack: false
    .vgpr_count:     68
    .vgpr_spill_count: 0
    .wavefront_size: 32
  - .args:
      - .offset:         0
        .size:           4
        .value_kind:     by_value
      - .offset:         4
        .size:           4
        .value_kind:     by_value
      - .offset:         8
        .size:           16
        .value_kind:     by_value
      - .actual_access:  read_only
        .address_space:  global
        .offset:         24
        .size:           8
        .value_kind:     global_buffer
      - .actual_access:  read_only
        .address_space:  global
        .offset:         32
        .size:           8
        .value_kind:     global_buffer
      - .actual_access:  read_only
        .address_space:  global
        .offset:         40
        .size:           8
        .value_kind:     global_buffer
      - .actual_access:  read_only
        .address_space:  global
        .offset:         48
        .size:           8
        .value_kind:     global_buffer
      - .offset:         56
        .size:           16
        .value_kind:     by_value
      - .address_space:  global
        .offset:         72
        .size:           8
        .value_kind:     global_buffer
      - .offset:         80
        .size:           4
        .value_kind:     by_value
      - .offset:         84
        .size:           1
        .value_kind:     by_value
    .group_segment_fixed_size: 0
    .kernarg_segment_align: 8
    .kernarg_segment_size: 88
    .language:       OpenCL C
    .language_version:
      - 2
      - 0
    .max_flat_workgroup_size: 128
    .name:           _ZN9rocsparseL19gebsrmvn_2xn_kernelILj128ELj13ELj16E21rocsparse_complex_numIdEEEvi20rocsparse_direction_NS_24const_host_device_scalarIT2_EEPKiS8_PKS5_SA_S6_PS5_21rocsparse_index_base_b
    .private_segment_fixed_size: 0
    .sgpr_count:     16
    .sgpr_spill_count: 0
    .symbol:         _ZN9rocsparseL19gebsrmvn_2xn_kernelILj128ELj13ELj16E21rocsparse_complex_numIdEEEvi20rocsparse_direction_NS_24const_host_device_scalarIT2_EEPKiS8_PKS5_SA_S6_PS5_21rocsparse_index_base_b.kd
    .uniform_work_group_size: 1
    .uses_dynamic_stack: false
    .vgpr_count:     68
    .vgpr_spill_count: 0
    .wavefront_size: 32
  - .args:
      - .offset:         0
        .size:           4
        .value_kind:     by_value
      - .offset:         4
        .size:           4
        .value_kind:     by_value
      - .offset:         8
        .size:           16
        .value_kind:     by_value
      - .actual_access:  read_only
        .address_space:  global
        .offset:         24
        .size:           8
        .value_kind:     global_buffer
      - .actual_access:  read_only
        .address_space:  global
        .offset:         32
        .size:           8
        .value_kind:     global_buffer
      - .actual_access:  read_only
        .address_space:  global
        .offset:         40
        .size:           8
        .value_kind:     global_buffer
      - .actual_access:  read_only
        .address_space:  global
        .offset:         48
        .size:           8
        .value_kind:     global_buffer
      - .offset:         56
        .size:           16
        .value_kind:     by_value
      - .address_space:  global
        .offset:         72
        .size:           8
        .value_kind:     global_buffer
      - .offset:         80
        .size:           4
        .value_kind:     by_value
      - .offset:         84
        .size:           1
        .value_kind:     by_value
    .group_segment_fixed_size: 0
    .kernarg_segment_align: 8
    .kernarg_segment_size: 88
    .language:       OpenCL C
    .language_version:
      - 2
      - 0
    .max_flat_workgroup_size: 128
    .name:           _ZN9rocsparseL19gebsrmvn_2xn_kernelILj128ELj13ELj32E21rocsparse_complex_numIdEEEvi20rocsparse_direction_NS_24const_host_device_scalarIT2_EEPKiS8_PKS5_SA_S6_PS5_21rocsparse_index_base_b
    .private_segment_fixed_size: 0
    .sgpr_count:     16
    .sgpr_spill_count: 0
    .symbol:         _ZN9rocsparseL19gebsrmvn_2xn_kernelILj128ELj13ELj32E21rocsparse_complex_numIdEEEvi20rocsparse_direction_NS_24const_host_device_scalarIT2_EEPKiS8_PKS5_SA_S6_PS5_21rocsparse_index_base_b.kd
    .uniform_work_group_size: 1
    .uses_dynamic_stack: false
    .vgpr_count:     68
    .vgpr_spill_count: 0
    .wavefront_size: 32
  - .args:
      - .offset:         0
        .size:           4
        .value_kind:     by_value
      - .offset:         4
        .size:           4
        .value_kind:     by_value
      - .offset:         8
        .size:           16
        .value_kind:     by_value
      - .actual_access:  read_only
        .address_space:  global
        .offset:         24
        .size:           8
        .value_kind:     global_buffer
      - .actual_access:  read_only
        .address_space:  global
        .offset:         32
        .size:           8
        .value_kind:     global_buffer
      - .actual_access:  read_only
        .address_space:  global
        .offset:         40
        .size:           8
        .value_kind:     global_buffer
      - .actual_access:  read_only
        .address_space:  global
        .offset:         48
        .size:           8
        .value_kind:     global_buffer
      - .offset:         56
        .size:           16
        .value_kind:     by_value
      - .address_space:  global
        .offset:         72
        .size:           8
        .value_kind:     global_buffer
      - .offset:         80
        .size:           4
        .value_kind:     by_value
      - .offset:         84
        .size:           1
        .value_kind:     by_value
    .group_segment_fixed_size: 0
    .kernarg_segment_align: 8
    .kernarg_segment_size: 88
    .language:       OpenCL C
    .language_version:
      - 2
      - 0
    .max_flat_workgroup_size: 128
    .name:           _ZN9rocsparseL19gebsrmvn_2xn_kernelILj128ELj13ELj64E21rocsparse_complex_numIdEEEvi20rocsparse_direction_NS_24const_host_device_scalarIT2_EEPKiS8_PKS5_SA_S6_PS5_21rocsparse_index_base_b
    .private_segment_fixed_size: 0
    .sgpr_count:     16
    .sgpr_spill_count: 0
    .symbol:         _ZN9rocsparseL19gebsrmvn_2xn_kernelILj128ELj13ELj64E21rocsparse_complex_numIdEEEvi20rocsparse_direction_NS_24const_host_device_scalarIT2_EEPKiS8_PKS5_SA_S6_PS5_21rocsparse_index_base_b.kd
    .uniform_work_group_size: 1
    .uses_dynamic_stack: false
    .vgpr_count:     68
    .vgpr_spill_count: 0
    .wavefront_size: 32
  - .args:
      - .offset:         0
        .size:           4
        .value_kind:     by_value
      - .offset:         4
        .size:           4
        .value_kind:     by_value
      - .offset:         8
        .size:           16
        .value_kind:     by_value
      - .actual_access:  read_only
        .address_space:  global
        .offset:         24
        .size:           8
        .value_kind:     global_buffer
      - .actual_access:  read_only
        .address_space:  global
        .offset:         32
        .size:           8
        .value_kind:     global_buffer
      - .actual_access:  read_only
        .address_space:  global
        .offset:         40
        .size:           8
        .value_kind:     global_buffer
      - .actual_access:  read_only
        .address_space:  global
        .offset:         48
        .size:           8
        .value_kind:     global_buffer
      - .offset:         56
        .size:           16
        .value_kind:     by_value
      - .address_space:  global
        .offset:         72
        .size:           8
        .value_kind:     global_buffer
      - .offset:         80
        .size:           4
        .value_kind:     by_value
      - .offset:         84
        .size:           1
        .value_kind:     by_value
    .group_segment_fixed_size: 0
    .kernarg_segment_align: 8
    .kernarg_segment_size: 88
    .language:       OpenCL C
    .language_version:
      - 2
      - 0
    .max_flat_workgroup_size: 128
    .name:           _ZN9rocsparseL19gebsrmvn_2xn_kernelILj128ELj14ELj4E21rocsparse_complex_numIdEEEvi20rocsparse_direction_NS_24const_host_device_scalarIT2_EEPKiS8_PKS5_SA_S6_PS5_21rocsparse_index_base_b
    .private_segment_fixed_size: 0
    .sgpr_count:     16
    .sgpr_spill_count: 0
    .symbol:         _ZN9rocsparseL19gebsrmvn_2xn_kernelILj128ELj14ELj4E21rocsparse_complex_numIdEEEvi20rocsparse_direction_NS_24const_host_device_scalarIT2_EEPKiS8_PKS5_SA_S6_PS5_21rocsparse_index_base_b.kd
    .uniform_work_group_size: 1
    .uses_dynamic_stack: false
    .vgpr_count:     50
    .vgpr_spill_count: 0
    .wavefront_size: 32
  - .args:
      - .offset:         0
        .size:           4
        .value_kind:     by_value
      - .offset:         4
        .size:           4
        .value_kind:     by_value
      - .offset:         8
        .size:           16
        .value_kind:     by_value
      - .actual_access:  read_only
        .address_space:  global
        .offset:         24
        .size:           8
        .value_kind:     global_buffer
      - .actual_access:  read_only
        .address_space:  global
        .offset:         32
        .size:           8
        .value_kind:     global_buffer
      - .actual_access:  read_only
        .address_space:  global
        .offset:         40
        .size:           8
        .value_kind:     global_buffer
      - .actual_access:  read_only
        .address_space:  global
        .offset:         48
        .size:           8
        .value_kind:     global_buffer
      - .offset:         56
        .size:           16
        .value_kind:     by_value
      - .address_space:  global
        .offset:         72
        .size:           8
        .value_kind:     global_buffer
      - .offset:         80
        .size:           4
        .value_kind:     by_value
      - .offset:         84
        .size:           1
        .value_kind:     by_value
    .group_segment_fixed_size: 0
    .kernarg_segment_align: 8
    .kernarg_segment_size: 88
    .language:       OpenCL C
    .language_version:
      - 2
      - 0
    .max_flat_workgroup_size: 128
    .name:           _ZN9rocsparseL19gebsrmvn_2xn_kernelILj128ELj14ELj8E21rocsparse_complex_numIdEEEvi20rocsparse_direction_NS_24const_host_device_scalarIT2_EEPKiS8_PKS5_SA_S6_PS5_21rocsparse_index_base_b
    .private_segment_fixed_size: 0
    .sgpr_count:     16
    .sgpr_spill_count: 0
    .symbol:         _ZN9rocsparseL19gebsrmvn_2xn_kernelILj128ELj14ELj8E21rocsparse_complex_numIdEEEvi20rocsparse_direction_NS_24const_host_device_scalarIT2_EEPKiS8_PKS5_SA_S6_PS5_21rocsparse_index_base_b.kd
    .uniform_work_group_size: 1
    .uses_dynamic_stack: false
    .vgpr_count:     50
    .vgpr_spill_count: 0
    .wavefront_size: 32
  - .args:
      - .offset:         0
        .size:           4
        .value_kind:     by_value
      - .offset:         4
        .size:           4
        .value_kind:     by_value
      - .offset:         8
        .size:           16
        .value_kind:     by_value
      - .actual_access:  read_only
        .address_space:  global
        .offset:         24
        .size:           8
        .value_kind:     global_buffer
      - .actual_access:  read_only
        .address_space:  global
        .offset:         32
        .size:           8
        .value_kind:     global_buffer
      - .actual_access:  read_only
        .address_space:  global
        .offset:         40
        .size:           8
        .value_kind:     global_buffer
      - .actual_access:  read_only
        .address_space:  global
        .offset:         48
        .size:           8
        .value_kind:     global_buffer
      - .offset:         56
        .size:           16
        .value_kind:     by_value
      - .address_space:  global
        .offset:         72
        .size:           8
        .value_kind:     global_buffer
      - .offset:         80
        .size:           4
        .value_kind:     by_value
      - .offset:         84
        .size:           1
        .value_kind:     by_value
    .group_segment_fixed_size: 0
    .kernarg_segment_align: 8
    .kernarg_segment_size: 88
    .language:       OpenCL C
    .language_version:
      - 2
      - 0
    .max_flat_workgroup_size: 128
    .name:           _ZN9rocsparseL19gebsrmvn_2xn_kernelILj128ELj14ELj16E21rocsparse_complex_numIdEEEvi20rocsparse_direction_NS_24const_host_device_scalarIT2_EEPKiS8_PKS5_SA_S6_PS5_21rocsparse_index_base_b
    .private_segment_fixed_size: 0
    .sgpr_count:     16
    .sgpr_spill_count: 0
    .symbol:         _ZN9rocsparseL19gebsrmvn_2xn_kernelILj128ELj14ELj16E21rocsparse_complex_numIdEEEvi20rocsparse_direction_NS_24const_host_device_scalarIT2_EEPKiS8_PKS5_SA_S6_PS5_21rocsparse_index_base_b.kd
    .uniform_work_group_size: 1
    .uses_dynamic_stack: false
    .vgpr_count:     50
    .vgpr_spill_count: 0
    .wavefront_size: 32
  - .args:
      - .offset:         0
        .size:           4
        .value_kind:     by_value
      - .offset:         4
        .size:           4
        .value_kind:     by_value
      - .offset:         8
        .size:           16
        .value_kind:     by_value
      - .actual_access:  read_only
        .address_space:  global
        .offset:         24
        .size:           8
        .value_kind:     global_buffer
      - .actual_access:  read_only
        .address_space:  global
        .offset:         32
        .size:           8
        .value_kind:     global_buffer
      - .actual_access:  read_only
        .address_space:  global
        .offset:         40
        .size:           8
        .value_kind:     global_buffer
      - .actual_access:  read_only
        .address_space:  global
        .offset:         48
        .size:           8
        .value_kind:     global_buffer
      - .offset:         56
        .size:           16
        .value_kind:     by_value
      - .address_space:  global
        .offset:         72
        .size:           8
        .value_kind:     global_buffer
      - .offset:         80
        .size:           4
        .value_kind:     by_value
      - .offset:         84
        .size:           1
        .value_kind:     by_value
    .group_segment_fixed_size: 0
    .kernarg_segment_align: 8
    .kernarg_segment_size: 88
    .language:       OpenCL C
    .language_version:
      - 2
      - 0
    .max_flat_workgroup_size: 128
    .name:           _ZN9rocsparseL19gebsrmvn_2xn_kernelILj128ELj14ELj32E21rocsparse_complex_numIdEEEvi20rocsparse_direction_NS_24const_host_device_scalarIT2_EEPKiS8_PKS5_SA_S6_PS5_21rocsparse_index_base_b
    .private_segment_fixed_size: 0
    .sgpr_count:     16
    .sgpr_spill_count: 0
    .symbol:         _ZN9rocsparseL19gebsrmvn_2xn_kernelILj128ELj14ELj32E21rocsparse_complex_numIdEEEvi20rocsparse_direction_NS_24const_host_device_scalarIT2_EEPKiS8_PKS5_SA_S6_PS5_21rocsparse_index_base_b.kd
    .uniform_work_group_size: 1
    .uses_dynamic_stack: false
    .vgpr_count:     50
    .vgpr_spill_count: 0
    .wavefront_size: 32
  - .args:
      - .offset:         0
        .size:           4
        .value_kind:     by_value
      - .offset:         4
        .size:           4
        .value_kind:     by_value
      - .offset:         8
        .size:           16
        .value_kind:     by_value
      - .actual_access:  read_only
        .address_space:  global
        .offset:         24
        .size:           8
        .value_kind:     global_buffer
      - .actual_access:  read_only
        .address_space:  global
        .offset:         32
        .size:           8
        .value_kind:     global_buffer
      - .actual_access:  read_only
        .address_space:  global
        .offset:         40
        .size:           8
        .value_kind:     global_buffer
      - .actual_access:  read_only
        .address_space:  global
        .offset:         48
        .size:           8
        .value_kind:     global_buffer
      - .offset:         56
        .size:           16
        .value_kind:     by_value
      - .address_space:  global
        .offset:         72
        .size:           8
        .value_kind:     global_buffer
      - .offset:         80
        .size:           4
        .value_kind:     by_value
      - .offset:         84
        .size:           1
        .value_kind:     by_value
    .group_segment_fixed_size: 0
    .kernarg_segment_align: 8
    .kernarg_segment_size: 88
    .language:       OpenCL C
    .language_version:
      - 2
      - 0
    .max_flat_workgroup_size: 128
    .name:           _ZN9rocsparseL19gebsrmvn_2xn_kernelILj128ELj14ELj64E21rocsparse_complex_numIdEEEvi20rocsparse_direction_NS_24const_host_device_scalarIT2_EEPKiS8_PKS5_SA_S6_PS5_21rocsparse_index_base_b
    .private_segment_fixed_size: 0
    .sgpr_count:     16
    .sgpr_spill_count: 0
    .symbol:         _ZN9rocsparseL19gebsrmvn_2xn_kernelILj128ELj14ELj64E21rocsparse_complex_numIdEEEvi20rocsparse_direction_NS_24const_host_device_scalarIT2_EEPKiS8_PKS5_SA_S6_PS5_21rocsparse_index_base_b.kd
    .uniform_work_group_size: 1
    .uses_dynamic_stack: false
    .vgpr_count:     50
    .vgpr_spill_count: 0
    .wavefront_size: 32
  - .args:
      - .offset:         0
        .size:           4
        .value_kind:     by_value
      - .offset:         4
        .size:           4
        .value_kind:     by_value
      - .offset:         8
        .size:           16
        .value_kind:     by_value
      - .actual_access:  read_only
        .address_space:  global
        .offset:         24
        .size:           8
        .value_kind:     global_buffer
      - .actual_access:  read_only
        .address_space:  global
        .offset:         32
        .size:           8
        .value_kind:     global_buffer
      - .actual_access:  read_only
        .address_space:  global
        .offset:         40
        .size:           8
        .value_kind:     global_buffer
      - .actual_access:  read_only
        .address_space:  global
        .offset:         48
        .size:           8
        .value_kind:     global_buffer
      - .offset:         56
        .size:           16
        .value_kind:     by_value
      - .address_space:  global
        .offset:         72
        .size:           8
        .value_kind:     global_buffer
      - .offset:         80
        .size:           4
        .value_kind:     by_value
      - .offset:         84
        .size:           1
        .value_kind:     by_value
    .group_segment_fixed_size: 0
    .kernarg_segment_align: 8
    .kernarg_segment_size: 88
    .language:       OpenCL C
    .language_version:
      - 2
      - 0
    .max_flat_workgroup_size: 128
    .name:           _ZN9rocsparseL19gebsrmvn_2xn_kernelILj128ELj15ELj4E21rocsparse_complex_numIdEEEvi20rocsparse_direction_NS_24const_host_device_scalarIT2_EEPKiS8_PKS5_SA_S6_PS5_21rocsparse_index_base_b
    .private_segment_fixed_size: 0
    .sgpr_count:     16
    .sgpr_spill_count: 0
    .symbol:         _ZN9rocsparseL19gebsrmvn_2xn_kernelILj128ELj15ELj4E21rocsparse_complex_numIdEEEvi20rocsparse_direction_NS_24const_host_device_scalarIT2_EEPKiS8_PKS5_SA_S6_PS5_21rocsparse_index_base_b.kd
    .uniform_work_group_size: 1
    .uses_dynamic_stack: false
    .vgpr_count:     63
    .vgpr_spill_count: 0
    .wavefront_size: 32
  - .args:
      - .offset:         0
        .size:           4
        .value_kind:     by_value
      - .offset:         4
        .size:           4
        .value_kind:     by_value
      - .offset:         8
        .size:           16
        .value_kind:     by_value
      - .actual_access:  read_only
        .address_space:  global
        .offset:         24
        .size:           8
        .value_kind:     global_buffer
      - .actual_access:  read_only
        .address_space:  global
        .offset:         32
        .size:           8
        .value_kind:     global_buffer
      - .actual_access:  read_only
        .address_space:  global
        .offset:         40
        .size:           8
        .value_kind:     global_buffer
      - .actual_access:  read_only
        .address_space:  global
        .offset:         48
        .size:           8
        .value_kind:     global_buffer
      - .offset:         56
        .size:           16
        .value_kind:     by_value
      - .address_space:  global
        .offset:         72
        .size:           8
        .value_kind:     global_buffer
      - .offset:         80
        .size:           4
        .value_kind:     by_value
      - .offset:         84
        .size:           1
        .value_kind:     by_value
    .group_segment_fixed_size: 0
    .kernarg_segment_align: 8
    .kernarg_segment_size: 88
    .language:       OpenCL C
    .language_version:
      - 2
      - 0
    .max_flat_workgroup_size: 128
    .name:           _ZN9rocsparseL19gebsrmvn_2xn_kernelILj128ELj15ELj8E21rocsparse_complex_numIdEEEvi20rocsparse_direction_NS_24const_host_device_scalarIT2_EEPKiS8_PKS5_SA_S6_PS5_21rocsparse_index_base_b
    .private_segment_fixed_size: 0
    .sgpr_count:     16
    .sgpr_spill_count: 0
    .symbol:         _ZN9rocsparseL19gebsrmvn_2xn_kernelILj128ELj15ELj8E21rocsparse_complex_numIdEEEvi20rocsparse_direction_NS_24const_host_device_scalarIT2_EEPKiS8_PKS5_SA_S6_PS5_21rocsparse_index_base_b.kd
    .uniform_work_group_size: 1
    .uses_dynamic_stack: false
    .vgpr_count:     63
    .vgpr_spill_count: 0
    .wavefront_size: 32
  - .args:
      - .offset:         0
        .size:           4
        .value_kind:     by_value
      - .offset:         4
        .size:           4
        .value_kind:     by_value
      - .offset:         8
        .size:           16
        .value_kind:     by_value
      - .actual_access:  read_only
        .address_space:  global
        .offset:         24
        .size:           8
        .value_kind:     global_buffer
      - .actual_access:  read_only
        .address_space:  global
        .offset:         32
        .size:           8
        .value_kind:     global_buffer
      - .actual_access:  read_only
        .address_space:  global
        .offset:         40
        .size:           8
        .value_kind:     global_buffer
      - .actual_access:  read_only
        .address_space:  global
        .offset:         48
        .size:           8
        .value_kind:     global_buffer
      - .offset:         56
        .size:           16
        .value_kind:     by_value
      - .address_space:  global
        .offset:         72
        .size:           8
        .value_kind:     global_buffer
      - .offset:         80
        .size:           4
        .value_kind:     by_value
      - .offset:         84
        .size:           1
        .value_kind:     by_value
    .group_segment_fixed_size: 0
    .kernarg_segment_align: 8
    .kernarg_segment_size: 88
    .language:       OpenCL C
    .language_version:
      - 2
      - 0
    .max_flat_workgroup_size: 128
    .name:           _ZN9rocsparseL19gebsrmvn_2xn_kernelILj128ELj15ELj16E21rocsparse_complex_numIdEEEvi20rocsparse_direction_NS_24const_host_device_scalarIT2_EEPKiS8_PKS5_SA_S6_PS5_21rocsparse_index_base_b
    .private_segment_fixed_size: 0
    .sgpr_count:     16
    .sgpr_spill_count: 0
    .symbol:         _ZN9rocsparseL19gebsrmvn_2xn_kernelILj128ELj15ELj16E21rocsparse_complex_numIdEEEvi20rocsparse_direction_NS_24const_host_device_scalarIT2_EEPKiS8_PKS5_SA_S6_PS5_21rocsparse_index_base_b.kd
    .uniform_work_group_size: 1
    .uses_dynamic_stack: false
    .vgpr_count:     63
    .vgpr_spill_count: 0
    .wavefront_size: 32
  - .args:
      - .offset:         0
        .size:           4
        .value_kind:     by_value
      - .offset:         4
        .size:           4
        .value_kind:     by_value
      - .offset:         8
        .size:           16
        .value_kind:     by_value
      - .actual_access:  read_only
        .address_space:  global
        .offset:         24
        .size:           8
        .value_kind:     global_buffer
      - .actual_access:  read_only
        .address_space:  global
        .offset:         32
        .size:           8
        .value_kind:     global_buffer
      - .actual_access:  read_only
        .address_space:  global
        .offset:         40
        .size:           8
        .value_kind:     global_buffer
      - .actual_access:  read_only
        .address_space:  global
        .offset:         48
        .size:           8
        .value_kind:     global_buffer
      - .offset:         56
        .size:           16
        .value_kind:     by_value
      - .address_space:  global
        .offset:         72
        .size:           8
        .value_kind:     global_buffer
      - .offset:         80
        .size:           4
        .value_kind:     by_value
      - .offset:         84
        .size:           1
        .value_kind:     by_value
    .group_segment_fixed_size: 0
    .kernarg_segment_align: 8
    .kernarg_segment_size: 88
    .language:       OpenCL C
    .language_version:
      - 2
      - 0
    .max_flat_workgroup_size: 128
    .name:           _ZN9rocsparseL19gebsrmvn_2xn_kernelILj128ELj15ELj32E21rocsparse_complex_numIdEEEvi20rocsparse_direction_NS_24const_host_device_scalarIT2_EEPKiS8_PKS5_SA_S6_PS5_21rocsparse_index_base_b
    .private_segment_fixed_size: 0
    .sgpr_count:     16
    .sgpr_spill_count: 0
    .symbol:         _ZN9rocsparseL19gebsrmvn_2xn_kernelILj128ELj15ELj32E21rocsparse_complex_numIdEEEvi20rocsparse_direction_NS_24const_host_device_scalarIT2_EEPKiS8_PKS5_SA_S6_PS5_21rocsparse_index_base_b.kd
    .uniform_work_group_size: 1
    .uses_dynamic_stack: false
    .vgpr_count:     63
    .vgpr_spill_count: 0
    .wavefront_size: 32
  - .args:
      - .offset:         0
        .size:           4
        .value_kind:     by_value
      - .offset:         4
        .size:           4
        .value_kind:     by_value
      - .offset:         8
        .size:           16
        .value_kind:     by_value
      - .actual_access:  read_only
        .address_space:  global
        .offset:         24
        .size:           8
        .value_kind:     global_buffer
      - .actual_access:  read_only
        .address_space:  global
        .offset:         32
        .size:           8
        .value_kind:     global_buffer
      - .actual_access:  read_only
        .address_space:  global
        .offset:         40
        .size:           8
        .value_kind:     global_buffer
      - .actual_access:  read_only
        .address_space:  global
        .offset:         48
        .size:           8
        .value_kind:     global_buffer
      - .offset:         56
        .size:           16
        .value_kind:     by_value
      - .address_space:  global
        .offset:         72
        .size:           8
        .value_kind:     global_buffer
      - .offset:         80
        .size:           4
        .value_kind:     by_value
      - .offset:         84
        .size:           1
        .value_kind:     by_value
    .group_segment_fixed_size: 0
    .kernarg_segment_align: 8
    .kernarg_segment_size: 88
    .language:       OpenCL C
    .language_version:
      - 2
      - 0
    .max_flat_workgroup_size: 128
    .name:           _ZN9rocsparseL19gebsrmvn_2xn_kernelILj128ELj15ELj64E21rocsparse_complex_numIdEEEvi20rocsparse_direction_NS_24const_host_device_scalarIT2_EEPKiS8_PKS5_SA_S6_PS5_21rocsparse_index_base_b
    .private_segment_fixed_size: 0
    .sgpr_count:     16
    .sgpr_spill_count: 0
    .symbol:         _ZN9rocsparseL19gebsrmvn_2xn_kernelILj128ELj15ELj64E21rocsparse_complex_numIdEEEvi20rocsparse_direction_NS_24const_host_device_scalarIT2_EEPKiS8_PKS5_SA_S6_PS5_21rocsparse_index_base_b.kd
    .uniform_work_group_size: 1
    .uses_dynamic_stack: false
    .vgpr_count:     63
    .vgpr_spill_count: 0
    .wavefront_size: 32
  - .args:
      - .offset:         0
        .size:           4
        .value_kind:     by_value
      - .offset:         4
        .size:           4
        .value_kind:     by_value
      - .offset:         8
        .size:           16
        .value_kind:     by_value
      - .actual_access:  read_only
        .address_space:  global
        .offset:         24
        .size:           8
        .value_kind:     global_buffer
      - .actual_access:  read_only
        .address_space:  global
        .offset:         32
        .size:           8
        .value_kind:     global_buffer
      - .actual_access:  read_only
        .address_space:  global
        .offset:         40
        .size:           8
        .value_kind:     global_buffer
      - .actual_access:  read_only
        .address_space:  global
        .offset:         48
        .size:           8
        .value_kind:     global_buffer
      - .offset:         56
        .size:           16
        .value_kind:     by_value
      - .address_space:  global
        .offset:         72
        .size:           8
        .value_kind:     global_buffer
      - .offset:         80
        .size:           4
        .value_kind:     by_value
      - .offset:         84
        .size:           1
        .value_kind:     by_value
    .group_segment_fixed_size: 0
    .kernarg_segment_align: 8
    .kernarg_segment_size: 88
    .language:       OpenCL C
    .language_version:
      - 2
      - 0
    .max_flat_workgroup_size: 128
    .name:           _ZN9rocsparseL19gebsrmvn_2xn_kernelILj128ELj16ELj4E21rocsparse_complex_numIdEEEvi20rocsparse_direction_NS_24const_host_device_scalarIT2_EEPKiS8_PKS5_SA_S6_PS5_21rocsparse_index_base_b
    .private_segment_fixed_size: 0
    .sgpr_count:     18
    .sgpr_spill_count: 0
    .symbol:         _ZN9rocsparseL19gebsrmvn_2xn_kernelILj128ELj16ELj4E21rocsparse_complex_numIdEEEvi20rocsparse_direction_NS_24const_host_device_scalarIT2_EEPKiS8_PKS5_SA_S6_PS5_21rocsparse_index_base_b.kd
    .uniform_work_group_size: 1
    .uses_dynamic_stack: false
    .vgpr_count:     80
    .vgpr_spill_count: 0
    .wavefront_size: 32
  - .args:
      - .offset:         0
        .size:           4
        .value_kind:     by_value
      - .offset:         4
        .size:           4
        .value_kind:     by_value
      - .offset:         8
        .size:           16
        .value_kind:     by_value
      - .actual_access:  read_only
        .address_space:  global
        .offset:         24
        .size:           8
        .value_kind:     global_buffer
      - .actual_access:  read_only
        .address_space:  global
        .offset:         32
        .size:           8
        .value_kind:     global_buffer
      - .actual_access:  read_only
        .address_space:  global
        .offset:         40
        .size:           8
        .value_kind:     global_buffer
      - .actual_access:  read_only
        .address_space:  global
        .offset:         48
        .size:           8
        .value_kind:     global_buffer
      - .offset:         56
        .size:           16
        .value_kind:     by_value
      - .address_space:  global
        .offset:         72
        .size:           8
        .value_kind:     global_buffer
      - .offset:         80
        .size:           4
        .value_kind:     by_value
      - .offset:         84
        .size:           1
        .value_kind:     by_value
    .group_segment_fixed_size: 0
    .kernarg_segment_align: 8
    .kernarg_segment_size: 88
    .language:       OpenCL C
    .language_version:
      - 2
      - 0
    .max_flat_workgroup_size: 128
    .name:           _ZN9rocsparseL19gebsrmvn_2xn_kernelILj128ELj16ELj8E21rocsparse_complex_numIdEEEvi20rocsparse_direction_NS_24const_host_device_scalarIT2_EEPKiS8_PKS5_SA_S6_PS5_21rocsparse_index_base_b
    .private_segment_fixed_size: 0
    .sgpr_count:     18
    .sgpr_spill_count: 0
    .symbol:         _ZN9rocsparseL19gebsrmvn_2xn_kernelILj128ELj16ELj8E21rocsparse_complex_numIdEEEvi20rocsparse_direction_NS_24const_host_device_scalarIT2_EEPKiS8_PKS5_SA_S6_PS5_21rocsparse_index_base_b.kd
    .uniform_work_group_size: 1
    .uses_dynamic_stack: false
    .vgpr_count:     80
    .vgpr_spill_count: 0
    .wavefront_size: 32
  - .args:
      - .offset:         0
        .size:           4
        .value_kind:     by_value
      - .offset:         4
        .size:           4
        .value_kind:     by_value
      - .offset:         8
        .size:           16
        .value_kind:     by_value
      - .actual_access:  read_only
        .address_space:  global
        .offset:         24
        .size:           8
        .value_kind:     global_buffer
      - .actual_access:  read_only
        .address_space:  global
        .offset:         32
        .size:           8
        .value_kind:     global_buffer
      - .actual_access:  read_only
        .address_space:  global
        .offset:         40
        .size:           8
        .value_kind:     global_buffer
      - .actual_access:  read_only
        .address_space:  global
        .offset:         48
        .size:           8
        .value_kind:     global_buffer
      - .offset:         56
        .size:           16
        .value_kind:     by_value
      - .address_space:  global
        .offset:         72
        .size:           8
        .value_kind:     global_buffer
      - .offset:         80
        .size:           4
        .value_kind:     by_value
      - .offset:         84
        .size:           1
        .value_kind:     by_value
    .group_segment_fixed_size: 0
    .kernarg_segment_align: 8
    .kernarg_segment_size: 88
    .language:       OpenCL C
    .language_version:
      - 2
      - 0
    .max_flat_workgroup_size: 128
    .name:           _ZN9rocsparseL19gebsrmvn_2xn_kernelILj128ELj16ELj16E21rocsparse_complex_numIdEEEvi20rocsparse_direction_NS_24const_host_device_scalarIT2_EEPKiS8_PKS5_SA_S6_PS5_21rocsparse_index_base_b
    .private_segment_fixed_size: 0
    .sgpr_count:     18
    .sgpr_spill_count: 0
    .symbol:         _ZN9rocsparseL19gebsrmvn_2xn_kernelILj128ELj16ELj16E21rocsparse_complex_numIdEEEvi20rocsparse_direction_NS_24const_host_device_scalarIT2_EEPKiS8_PKS5_SA_S6_PS5_21rocsparse_index_base_b.kd
    .uniform_work_group_size: 1
    .uses_dynamic_stack: false
    .vgpr_count:     80
    .vgpr_spill_count: 0
    .wavefront_size: 32
  - .args:
      - .offset:         0
        .size:           4
        .value_kind:     by_value
      - .offset:         4
        .size:           4
        .value_kind:     by_value
      - .offset:         8
        .size:           16
        .value_kind:     by_value
      - .actual_access:  read_only
        .address_space:  global
        .offset:         24
        .size:           8
        .value_kind:     global_buffer
      - .actual_access:  read_only
        .address_space:  global
        .offset:         32
        .size:           8
        .value_kind:     global_buffer
      - .actual_access:  read_only
        .address_space:  global
        .offset:         40
        .size:           8
        .value_kind:     global_buffer
      - .actual_access:  read_only
        .address_space:  global
        .offset:         48
        .size:           8
        .value_kind:     global_buffer
      - .offset:         56
        .size:           16
        .value_kind:     by_value
      - .address_space:  global
        .offset:         72
        .size:           8
        .value_kind:     global_buffer
      - .offset:         80
        .size:           4
        .value_kind:     by_value
      - .offset:         84
        .size:           1
        .value_kind:     by_value
    .group_segment_fixed_size: 0
    .kernarg_segment_align: 8
    .kernarg_segment_size: 88
    .language:       OpenCL C
    .language_version:
      - 2
      - 0
    .max_flat_workgroup_size: 128
    .name:           _ZN9rocsparseL19gebsrmvn_2xn_kernelILj128ELj16ELj32E21rocsparse_complex_numIdEEEvi20rocsparse_direction_NS_24const_host_device_scalarIT2_EEPKiS8_PKS5_SA_S6_PS5_21rocsparse_index_base_b
    .private_segment_fixed_size: 0
    .sgpr_count:     18
    .sgpr_spill_count: 0
    .symbol:         _ZN9rocsparseL19gebsrmvn_2xn_kernelILj128ELj16ELj32E21rocsparse_complex_numIdEEEvi20rocsparse_direction_NS_24const_host_device_scalarIT2_EEPKiS8_PKS5_SA_S6_PS5_21rocsparse_index_base_b.kd
    .uniform_work_group_size: 1
    .uses_dynamic_stack: false
    .vgpr_count:     80
    .vgpr_spill_count: 0
    .wavefront_size: 32
  - .args:
      - .offset:         0
        .size:           4
        .value_kind:     by_value
      - .offset:         4
        .size:           4
        .value_kind:     by_value
      - .offset:         8
        .size:           16
        .value_kind:     by_value
      - .actual_access:  read_only
        .address_space:  global
        .offset:         24
        .size:           8
        .value_kind:     global_buffer
      - .actual_access:  read_only
        .address_space:  global
        .offset:         32
        .size:           8
        .value_kind:     global_buffer
      - .actual_access:  read_only
        .address_space:  global
        .offset:         40
        .size:           8
        .value_kind:     global_buffer
      - .actual_access:  read_only
        .address_space:  global
        .offset:         48
        .size:           8
        .value_kind:     global_buffer
      - .offset:         56
        .size:           16
        .value_kind:     by_value
      - .address_space:  global
        .offset:         72
        .size:           8
        .value_kind:     global_buffer
      - .offset:         80
        .size:           4
        .value_kind:     by_value
      - .offset:         84
        .size:           1
        .value_kind:     by_value
    .group_segment_fixed_size: 0
    .kernarg_segment_align: 8
    .kernarg_segment_size: 88
    .language:       OpenCL C
    .language_version:
      - 2
      - 0
    .max_flat_workgroup_size: 128
    .name:           _ZN9rocsparseL19gebsrmvn_2xn_kernelILj128ELj16ELj64E21rocsparse_complex_numIdEEEvi20rocsparse_direction_NS_24const_host_device_scalarIT2_EEPKiS8_PKS5_SA_S6_PS5_21rocsparse_index_base_b
    .private_segment_fixed_size: 0
    .sgpr_count:     18
    .sgpr_spill_count: 0
    .symbol:         _ZN9rocsparseL19gebsrmvn_2xn_kernelILj128ELj16ELj64E21rocsparse_complex_numIdEEEvi20rocsparse_direction_NS_24const_host_device_scalarIT2_EEPKiS8_PKS5_SA_S6_PS5_21rocsparse_index_base_b.kd
    .uniform_work_group_size: 1
    .uses_dynamic_stack: false
    .vgpr_count:     80
    .vgpr_spill_count: 0
    .wavefront_size: 32
  - .args:
      - .offset:         0
        .size:           4
        .value_kind:     by_value
      - .offset:         4
        .size:           4
        .value_kind:     by_value
      - .offset:         8
        .size:           16
        .value_kind:     by_value
      - .actual_access:  read_only
        .address_space:  global
        .offset:         24
        .size:           8
        .value_kind:     global_buffer
      - .actual_access:  read_only
        .address_space:  global
        .offset:         32
        .size:           8
        .value_kind:     global_buffer
      - .actual_access:  read_only
        .address_space:  global
        .offset:         40
        .size:           8
        .value_kind:     global_buffer
      - .offset:         48
        .size:           4
        .value_kind:     by_value
      - .offset:         52
        .size:           4
        .value_kind:     by_value
      - .actual_access:  read_only
        .address_space:  global
        .offset:         56
        .size:           8
        .value_kind:     global_buffer
      - .offset:         64
        .size:           16
        .value_kind:     by_value
      - .address_space:  global
        .offset:         80
        .size:           8
        .value_kind:     global_buffer
      - .offset:         88
        .size:           4
        .value_kind:     by_value
      - .offset:         92
        .size:           1
        .value_kind:     by_value
    .group_segment_fixed_size: 0
    .kernarg_segment_align: 8
    .kernarg_segment_size: 96
    .language:       OpenCL C
    .language_version:
      - 2
      - 0
    .max_flat_workgroup_size: 32
    .name:           _ZN9rocsparseL23gebsrmvn_general_kernelILj32ELj32E21rocsparse_complex_numIdEEEvi20rocsparse_direction_NS_24const_host_device_scalarIT1_EEPKiS8_PKS5_iiSA_S6_PS5_21rocsparse_index_base_b
    .private_segment_fixed_size: 0
    .sgpr_count:     28
    .sgpr_spill_count: 0
    .symbol:         _ZN9rocsparseL23gebsrmvn_general_kernelILj32ELj32E21rocsparse_complex_numIdEEEvi20rocsparse_direction_NS_24const_host_device_scalarIT1_EEPKiS8_PKS5_iiSA_S6_PS5_21rocsparse_index_base_b.kd
    .uniform_work_group_size: 1
    .uses_dynamic_stack: false
    .vgpr_count:     32
    .vgpr_spill_count: 0
    .wavefront_size: 32
amdhsa.target:   amdgcn-amd-amdhsa--gfx1250
amdhsa.version:
  - 1
  - 2
...

	.end_amdgpu_metadata
